;; amdgpu-corpus repo=ROCm/rccl kind=compiled arch=gfx1030 opt=O3
	.amdgcn_target "amdgcn-amd-amdhsa--gfx1030"
	.amdhsa_code_object_version 6
	.text
	.p2align	2                               ; -- Begin function __ockl_fprintf_append_string_n
	.type	__ockl_fprintf_append_string_n,@function
__ockl_fprintf_append_string_n:         ; @__ockl_fprintf_append_string_n
; %bb.0:
	s_waitcnt vmcnt(0) expcnt(0) lgkmcnt(0)
	v_or_b32_e32 v2, 2, v0
	v_cmp_eq_u32_e32 vcc_lo, 0, v6
	v_mbcnt_lo_u32_b32 v35, -1, 0
	s_getpc_b64 s[4:5]
	s_add_u32 s4, s4, .str.3@rel32@lo+4
	s_addc_u32 s5, s5, .str.3@rel32@hi+12
	s_mov_b32 s14, 0
	s_cmp_lg_u64 s[4:5], 0
	v_cndmask_b32_e32 v34, v2, v0, vcc_lo
	s_cbranch_scc0 .LBB0_113
; %bb.1:
	s_load_dwordx2 s[6:7], s[8:9], 0x50
	v_and_b32_e32 v0, -3, v34
	s_getpc_b64 s[4:5]
	s_add_u32 s4, s4, .str.3@rel32@lo+4
	s_addc_u32 s5, s5, .str.3@rel32@hi+12
	v_mov_b32_e32 v11, v1
	v_mov_b32_e32 v2, s4
	v_and_b32_e32 v36, 2, v34
	v_mov_b32_e32 v7, 0
	v_mov_b32_e32 v3, s5
	;; [unrolled: 1-line block ×5, first 2 shown]
	s_mov_b32 s15, 0
	s_branch .LBB0_3
.LBB0_2:                                ;   in Loop: Header=BB0_3 Depth=1
	s_or_b32 exec_lo, exec_lo, s12
	v_sub_co_u32 v4, vcc_lo, v4, v30
	v_sub_co_ci_u32_e64 v5, null, v5, v31, vcc_lo
	v_add_co_u32 v2, s4, v2, v30
	v_add_co_ci_u32_e64 v3, null, v3, v31, s4
	v_cmp_eq_u64_e32 vcc_lo, 0, v[4:5]
	s_or_b32 s15, vcc_lo, s15
	s_andn2_b32 exec_lo, exec_lo, s15
	s_cbranch_execz .LBB0_85
.LBB0_3:                                ; =>This Loop Header: Depth=1
                                        ;     Child Loop BB0_6 Depth 2
                                        ;     Child Loop BB0_14 Depth 2
	;; [unrolled: 1-line block ×11, first 2 shown]
	v_cmp_gt_u64_e32 vcc_lo, 56, v[4:5]
	s_mov_b32 s5, exec_lo
	v_cndmask_b32_e32 v31, 0, v5, vcc_lo
	v_cndmask_b32_e32 v30, 56, v4, vcc_lo
	v_add_co_u32 v16, vcc_lo, v2, 8
	v_add_co_ci_u32_e64 v17, null, 0, v3, vcc_lo
	v_cmpx_gt_u64_e32 8, v[4:5]
	s_xor_b32 s5, exec_lo, s5
	s_cbranch_execz .LBB0_9
; %bb.4:                                ;   in Loop: Header=BB0_3 Depth=1
	s_waitcnt vmcnt(0)
	v_mov_b32_e32 v12, 0
	v_mov_b32_e32 v13, 0
	s_mov_b32 s12, exec_lo
	v_cmpx_ne_u64_e32 0, v[4:5]
	s_cbranch_execz .LBB0_8
; %bb.5:                                ;   in Loop: Header=BB0_3 Depth=1
	v_lshlrev_b64 v[14:15], 3, v[30:31]
	v_mov_b32_e32 v12, 0
	v_mov_b32_e32 v16, v3
	;; [unrolled: 1-line block ×4, first 2 shown]
	s_mov_b64 s[10:11], 0
	s_mov_b32 s13, 0
	.p2align	6
.LBB0_6:                                ;   Parent Loop BB0_3 Depth=1
                                        ; =>  This Inner Loop Header: Depth=2
	global_load_ubyte v0, v[15:16], off
	v_mov_b32_e32 v18, s14
	v_add_co_u32 v15, vcc_lo, v15, 1
	v_add_co_ci_u32_e64 v16, null, 0, v16, vcc_lo
	s_waitcnt vmcnt(0)
	v_and_b32_e32 v17, 0xffff, v0
	v_lshlrev_b64 v[17:18], s10, v[17:18]
	s_add_u32 s10, s10, 8
	s_addc_u32 s11, s11, 0
	v_cmp_eq_u32_e64 s4, s10, v14
	v_or_b32_e32 v13, v18, v13
	v_or_b32_e32 v12, v17, v12
	s_or_b32 s13, s4, s13
	s_andn2_b32 exec_lo, exec_lo, s13
	s_cbranch_execnz .LBB0_6
; %bb.7:                                ;   in Loop: Header=BB0_3 Depth=1
	s_or_b32 exec_lo, exec_lo, s13
.LBB0_8:                                ;   in Loop: Header=BB0_3 Depth=1
	s_or_b32 exec_lo, exec_lo, s12
	v_mov_b32_e32 v17, v3
	v_mov_b32_e32 v16, v2
.LBB0_9:                                ;   in Loop: Header=BB0_3 Depth=1
	s_or_saveexec_b32 s4, s5
	v_mov_b32_e32 v0, 0
	s_xor_b32 exec_lo, exec_lo, s4
	s_cbranch_execz .LBB0_11
; %bb.10:                               ;   in Loop: Header=BB0_3 Depth=1
	global_load_dwordx2 v[12:13], v[2:3], off
	v_add_nc_u32_e32 v0, -8, v30
.LBB0_11:                               ;   in Loop: Header=BB0_3 Depth=1
	s_or_b32 exec_lo, exec_lo, s4
	v_add_co_u32 v18, s4, v16, 8
	v_add_co_ci_u32_e64 v19, null, 0, v17, s4
                                        ; implicit-def: $vgpr14_vgpr15
	s_mov_b32 s4, exec_lo
	v_cmpx_gt_u32_e32 8, v0
	s_xor_b32 s12, exec_lo, s4
	s_cbranch_execz .LBB0_17
; %bb.12:                               ;   in Loop: Header=BB0_3 Depth=1
	v_mov_b32_e32 v14, 0
	v_mov_b32_e32 v15, 0
	s_mov_b32 s13, exec_lo
	v_cmpx_ne_u32_e32 0, v0
	s_cbranch_execz .LBB0_16
; %bb.13:                               ;   in Loop: Header=BB0_3 Depth=1
	v_mov_b32_e32 v14, 0
	v_mov_b32_e32 v15, 0
	s_mov_b64 s[4:5], 0
	s_mov_b32 s16, 0
	s_mov_b64 s[10:11], 0
	.p2align	6
.LBB0_14:                               ;   Parent Loop BB0_3 Depth=1
                                        ; =>  This Inner Loop Header: Depth=2
	v_add_co_u32 v18, vcc_lo, v16, s10
	v_add_co_ci_u32_e64 v19, null, s11, v17, vcc_lo
	s_add_u32 s10, s10, 1
	s_addc_u32 s11, s11, 0
	v_cmp_eq_u32_e32 vcc_lo, s10, v0
	global_load_ubyte v6, v[18:19], off
	v_mov_b32_e32 v19, s14
	s_waitcnt vmcnt(0)
	v_and_b32_e32 v18, 0xffff, v6
	v_lshlrev_b64 v[18:19], s4, v[18:19]
	s_add_u32 s4, s4, 8
	s_addc_u32 s5, s5, 0
	s_or_b32 s16, vcc_lo, s16
	v_or_b32_e32 v15, v19, v15
	v_or_b32_e32 v14, v18, v14
	s_andn2_b32 exec_lo, exec_lo, s16
	s_cbranch_execnz .LBB0_14
; %bb.15:                               ;   in Loop: Header=BB0_3 Depth=1
	s_or_b32 exec_lo, exec_lo, s16
.LBB0_16:                               ;   in Loop: Header=BB0_3 Depth=1
	s_or_b32 exec_lo, exec_lo, s13
	v_mov_b32_e32 v19, v17
	v_mov_b32_e32 v18, v16
                                        ; implicit-def: $vgpr0
.LBB0_17:                               ;   in Loop: Header=BB0_3 Depth=1
	s_or_saveexec_b32 s4, s12
	v_mov_b32_e32 v6, 0
	s_xor_b32 exec_lo, exec_lo, s4
	s_cbranch_execz .LBB0_19
; %bb.18:                               ;   in Loop: Header=BB0_3 Depth=1
	global_load_dwordx2 v[14:15], v[16:17], off
	v_add_nc_u32_e32 v6, -8, v0
.LBB0_19:                               ;   in Loop: Header=BB0_3 Depth=1
	s_or_b32 exec_lo, exec_lo, s4
	v_add_co_u32 v20, s4, v18, 8
	v_add_co_ci_u32_e64 v21, null, 0, v19, s4
	s_mov_b32 s4, exec_lo
	v_cmpx_gt_u32_e32 8, v6
	s_xor_b32 s12, exec_lo, s4
	s_cbranch_execz .LBB0_25
; %bb.20:                               ;   in Loop: Header=BB0_3 Depth=1
	v_mov_b32_e32 v16, 0
	v_mov_b32_e32 v17, 0
	s_mov_b32 s13, exec_lo
	v_cmpx_ne_u32_e32 0, v6
	s_cbranch_execz .LBB0_24
; %bb.21:                               ;   in Loop: Header=BB0_3 Depth=1
	v_mov_b32_e32 v16, 0
	v_mov_b32_e32 v17, 0
	s_mov_b64 s[4:5], 0
	s_mov_b32 s16, 0
	s_mov_b64 s[10:11], 0
	.p2align	6
.LBB0_22:                               ;   Parent Loop BB0_3 Depth=1
                                        ; =>  This Inner Loop Header: Depth=2
	v_add_co_u32 v20, vcc_lo, v18, s10
	v_add_co_ci_u32_e64 v21, null, s11, v19, vcc_lo
	s_add_u32 s10, s10, 1
	s_addc_u32 s11, s11, 0
	v_cmp_eq_u32_e32 vcc_lo, s10, v6
	global_load_ubyte v0, v[20:21], off
	v_mov_b32_e32 v21, s14
	s_waitcnt vmcnt(0)
	v_and_b32_e32 v20, 0xffff, v0
	v_lshlrev_b64 v[20:21], s4, v[20:21]
	s_add_u32 s4, s4, 8
	s_addc_u32 s5, s5, 0
	s_or_b32 s16, vcc_lo, s16
	v_or_b32_e32 v17, v21, v17
	v_or_b32_e32 v16, v20, v16
	s_andn2_b32 exec_lo, exec_lo, s16
	s_cbranch_execnz .LBB0_22
; %bb.23:                               ;   in Loop: Header=BB0_3 Depth=1
	s_or_b32 exec_lo, exec_lo, s16
.LBB0_24:                               ;   in Loop: Header=BB0_3 Depth=1
	s_or_b32 exec_lo, exec_lo, s13
	v_mov_b32_e32 v21, v19
	v_mov_b32_e32 v20, v18
                                        ; implicit-def: $vgpr6
.LBB0_25:                               ;   in Loop: Header=BB0_3 Depth=1
	s_or_saveexec_b32 s4, s12
	v_mov_b32_e32 v0, 0
	s_xor_b32 exec_lo, exec_lo, s4
	s_cbranch_execz .LBB0_27
; %bb.26:                               ;   in Loop: Header=BB0_3 Depth=1
	global_load_dwordx2 v[16:17], v[18:19], off
	v_add_nc_u32_e32 v0, -8, v6
.LBB0_27:                               ;   in Loop: Header=BB0_3 Depth=1
	s_or_b32 exec_lo, exec_lo, s4
	v_add_co_u32 v22, s4, v20, 8
	v_add_co_ci_u32_e64 v23, null, 0, v21, s4
                                        ; implicit-def: $vgpr18_vgpr19
	s_mov_b32 s4, exec_lo
	v_cmpx_gt_u32_e32 8, v0
	s_xor_b32 s12, exec_lo, s4
	s_cbranch_execz .LBB0_33
; %bb.28:                               ;   in Loop: Header=BB0_3 Depth=1
	v_mov_b32_e32 v18, 0
	v_mov_b32_e32 v19, 0
	s_mov_b32 s13, exec_lo
	v_cmpx_ne_u32_e32 0, v0
	s_cbranch_execz .LBB0_32
; %bb.29:                               ;   in Loop: Header=BB0_3 Depth=1
	v_mov_b32_e32 v18, 0
	v_mov_b32_e32 v19, 0
	s_mov_b64 s[4:5], 0
	s_mov_b32 s16, 0
	s_mov_b64 s[10:11], 0
	.p2align	6
.LBB0_30:                               ;   Parent Loop BB0_3 Depth=1
                                        ; =>  This Inner Loop Header: Depth=2
	v_add_co_u32 v22, vcc_lo, v20, s10
	v_add_co_ci_u32_e64 v23, null, s11, v21, vcc_lo
	s_add_u32 s10, s10, 1
	s_addc_u32 s11, s11, 0
	v_cmp_eq_u32_e32 vcc_lo, s10, v0
	global_load_ubyte v6, v[22:23], off
	v_mov_b32_e32 v23, s14
	s_waitcnt vmcnt(0)
	v_and_b32_e32 v22, 0xffff, v6
	v_lshlrev_b64 v[22:23], s4, v[22:23]
	s_add_u32 s4, s4, 8
	s_addc_u32 s5, s5, 0
	s_or_b32 s16, vcc_lo, s16
	v_or_b32_e32 v19, v23, v19
	v_or_b32_e32 v18, v22, v18
	s_andn2_b32 exec_lo, exec_lo, s16
	s_cbranch_execnz .LBB0_30
; %bb.31:                               ;   in Loop: Header=BB0_3 Depth=1
	s_or_b32 exec_lo, exec_lo, s16
.LBB0_32:                               ;   in Loop: Header=BB0_3 Depth=1
	s_or_b32 exec_lo, exec_lo, s13
	v_mov_b32_e32 v23, v21
	v_mov_b32_e32 v22, v20
                                        ; implicit-def: $vgpr0
.LBB0_33:                               ;   in Loop: Header=BB0_3 Depth=1
	s_or_saveexec_b32 s4, s12
	v_mov_b32_e32 v6, 0
	s_xor_b32 exec_lo, exec_lo, s4
	s_cbranch_execz .LBB0_35
; %bb.34:                               ;   in Loop: Header=BB0_3 Depth=1
	global_load_dwordx2 v[18:19], v[20:21], off
	v_add_nc_u32_e32 v6, -8, v0
.LBB0_35:                               ;   in Loop: Header=BB0_3 Depth=1
	s_or_b32 exec_lo, exec_lo, s4
	v_add_co_u32 v24, s4, v22, 8
	v_add_co_ci_u32_e64 v25, null, 0, v23, s4
	s_mov_b32 s4, exec_lo
	v_cmpx_gt_u32_e32 8, v6
	s_xor_b32 s12, exec_lo, s4
	s_cbranch_execz .LBB0_41
; %bb.36:                               ;   in Loop: Header=BB0_3 Depth=1
	v_mov_b32_e32 v20, 0
	v_mov_b32_e32 v21, 0
	s_mov_b32 s13, exec_lo
	v_cmpx_ne_u32_e32 0, v6
	s_cbranch_execz .LBB0_40
; %bb.37:                               ;   in Loop: Header=BB0_3 Depth=1
	v_mov_b32_e32 v20, 0
	v_mov_b32_e32 v21, 0
	s_mov_b64 s[4:5], 0
	s_mov_b32 s16, 0
	s_mov_b64 s[10:11], 0
	.p2align	6
.LBB0_38:                               ;   Parent Loop BB0_3 Depth=1
                                        ; =>  This Inner Loop Header: Depth=2
	v_add_co_u32 v24, vcc_lo, v22, s10
	v_add_co_ci_u32_e64 v25, null, s11, v23, vcc_lo
	s_add_u32 s10, s10, 1
	s_addc_u32 s11, s11, 0
	v_cmp_eq_u32_e32 vcc_lo, s10, v6
	global_load_ubyte v0, v[24:25], off
	v_mov_b32_e32 v25, s14
	s_waitcnt vmcnt(0)
	v_and_b32_e32 v24, 0xffff, v0
	v_lshlrev_b64 v[24:25], s4, v[24:25]
	s_add_u32 s4, s4, 8
	s_addc_u32 s5, s5, 0
	s_or_b32 s16, vcc_lo, s16
	v_or_b32_e32 v21, v25, v21
	v_or_b32_e32 v20, v24, v20
	s_andn2_b32 exec_lo, exec_lo, s16
	s_cbranch_execnz .LBB0_38
; %bb.39:                               ;   in Loop: Header=BB0_3 Depth=1
	s_or_b32 exec_lo, exec_lo, s16
.LBB0_40:                               ;   in Loop: Header=BB0_3 Depth=1
	s_or_b32 exec_lo, exec_lo, s13
	v_mov_b32_e32 v25, v23
	v_mov_b32_e32 v24, v22
                                        ; implicit-def: $vgpr6
.LBB0_41:                               ;   in Loop: Header=BB0_3 Depth=1
	s_or_saveexec_b32 s4, s12
	v_mov_b32_e32 v0, 0
	s_xor_b32 exec_lo, exec_lo, s4
	s_cbranch_execz .LBB0_43
; %bb.42:                               ;   in Loop: Header=BB0_3 Depth=1
	global_load_dwordx2 v[20:21], v[22:23], off
	v_add_nc_u32_e32 v0, -8, v6
.LBB0_43:                               ;   in Loop: Header=BB0_3 Depth=1
	s_or_b32 exec_lo, exec_lo, s4
	v_add_co_u32 v26, s4, v24, 8
	v_add_co_ci_u32_e64 v27, null, 0, v25, s4
                                        ; implicit-def: $vgpr22_vgpr23
	s_mov_b32 s4, exec_lo
	v_cmpx_gt_u32_e32 8, v0
	s_xor_b32 s12, exec_lo, s4
	s_cbranch_execz .LBB0_49
; %bb.44:                               ;   in Loop: Header=BB0_3 Depth=1
	v_mov_b32_e32 v22, 0
	v_mov_b32_e32 v23, 0
	s_mov_b32 s13, exec_lo
	v_cmpx_ne_u32_e32 0, v0
	s_cbranch_execz .LBB0_48
; %bb.45:                               ;   in Loop: Header=BB0_3 Depth=1
	v_mov_b32_e32 v22, 0
	v_mov_b32_e32 v23, 0
	s_mov_b64 s[4:5], 0
	s_mov_b32 s16, 0
	s_mov_b64 s[10:11], 0
	.p2align	6
.LBB0_46:                               ;   Parent Loop BB0_3 Depth=1
                                        ; =>  This Inner Loop Header: Depth=2
	v_add_co_u32 v26, vcc_lo, v24, s10
	v_add_co_ci_u32_e64 v27, null, s11, v25, vcc_lo
	s_add_u32 s10, s10, 1
	s_addc_u32 s11, s11, 0
	v_cmp_eq_u32_e32 vcc_lo, s10, v0
	global_load_ubyte v6, v[26:27], off
	v_mov_b32_e32 v27, s14
	s_waitcnt vmcnt(0)
	v_and_b32_e32 v26, 0xffff, v6
	v_lshlrev_b64 v[26:27], s4, v[26:27]
	s_add_u32 s4, s4, 8
	s_addc_u32 s5, s5, 0
	s_or_b32 s16, vcc_lo, s16
	v_or_b32_e32 v23, v27, v23
	v_or_b32_e32 v22, v26, v22
	s_andn2_b32 exec_lo, exec_lo, s16
	s_cbranch_execnz .LBB0_46
; %bb.47:                               ;   in Loop: Header=BB0_3 Depth=1
	s_or_b32 exec_lo, exec_lo, s16
.LBB0_48:                               ;   in Loop: Header=BB0_3 Depth=1
	s_or_b32 exec_lo, exec_lo, s13
	v_mov_b32_e32 v27, v25
	v_mov_b32_e32 v26, v24
                                        ; implicit-def: $vgpr0
.LBB0_49:                               ;   in Loop: Header=BB0_3 Depth=1
	s_or_saveexec_b32 s4, s12
	v_mov_b32_e32 v6, 0
	s_xor_b32 exec_lo, exec_lo, s4
	s_cbranch_execz .LBB0_51
; %bb.50:                               ;   in Loop: Header=BB0_3 Depth=1
	global_load_dwordx2 v[22:23], v[24:25], off
	v_add_nc_u32_e32 v6, -8, v0
.LBB0_51:                               ;   in Loop: Header=BB0_3 Depth=1
	s_or_b32 exec_lo, exec_lo, s4
	s_mov_b32 s4, exec_lo
	v_cmpx_gt_u32_e32 8, v6
	s_xor_b32 s10, exec_lo, s4
	s_cbranch_execz .LBB0_57
; %bb.52:                               ;   in Loop: Header=BB0_3 Depth=1
	v_mov_b32_e32 v24, 0
	v_mov_b32_e32 v25, 0
	s_mov_b32 s11, exec_lo
	v_cmpx_ne_u32_e32 0, v6
	s_cbranch_execz .LBB0_56
; %bb.53:                               ;   in Loop: Header=BB0_3 Depth=1
	v_mov_b32_e32 v24, 0
	v_mov_b32_e32 v25, 0
	s_mov_b64 s[4:5], 0
	s_mov_b32 s12, 0
	.p2align	6
.LBB0_54:                               ;   Parent Loop BB0_3 Depth=1
                                        ; =>  This Inner Loop Header: Depth=2
	global_load_ubyte v0, v[26:27], off
	v_mov_b32_e32 v29, s14
	v_add_nc_u32_e32 v6, -1, v6
	v_add_co_u32 v26, vcc_lo, v26, 1
	v_add_co_ci_u32_e64 v27, null, 0, v27, vcc_lo
	v_cmp_eq_u32_e32 vcc_lo, 0, v6
	s_waitcnt vmcnt(0)
	v_and_b32_e32 v28, 0xffff, v0
	v_lshlrev_b64 v[28:29], s4, v[28:29]
	s_add_u32 s4, s4, 8
	s_addc_u32 s5, s5, 0
	s_or_b32 s12, vcc_lo, s12
	v_or_b32_e32 v25, v29, v25
	v_or_b32_e32 v24, v28, v24
	s_andn2_b32 exec_lo, exec_lo, s12
	s_cbranch_execnz .LBB0_54
; %bb.55:                               ;   in Loop: Header=BB0_3 Depth=1
	s_or_b32 exec_lo, exec_lo, s12
.LBB0_56:                               ;   in Loop: Header=BB0_3 Depth=1
	s_or_b32 exec_lo, exec_lo, s11
                                        ; implicit-def: $vgpr26_vgpr27
.LBB0_57:                               ;   in Loop: Header=BB0_3 Depth=1
	s_andn2_saveexec_b32 s4, s10
	s_cbranch_execz .LBB0_59
; %bb.58:                               ;   in Loop: Header=BB0_3 Depth=1
	global_load_dwordx2 v[24:25], v[26:27], off
.LBB0_59:                               ;   in Loop: Header=BB0_3 Depth=1
	s_or_b32 exec_lo, exec_lo, s4
	v_readfirstlane_b32 s4, v35
	v_mov_b32_e32 v32, 0
	v_mov_b32_e32 v33, 0
	v_cmp_eq_u32_e64 s4, s4, v35
	s_and_saveexec_b32 s5, s4
	s_cbranch_execz .LBB0_65
; %bb.60:                               ;   in Loop: Header=BB0_3 Depth=1
	s_waitcnt lgkmcnt(0)
	global_load_dwordx2 v[28:29], v7, s[6:7] offset:24 glc dlc
	s_waitcnt vmcnt(0)
	buffer_gl1_inv
	buffer_gl0_inv
	s_clause 0x1
	global_load_dwordx2 v[26:27], v7, s[6:7] offset:40
	global_load_dwordx2 v[32:33], v7, s[6:7]
	s_mov_b32 s10, exec_lo
	s_waitcnt vmcnt(1)
	v_and_b32_e32 v0, v27, v29
	v_and_b32_e32 v6, v26, v28
	v_mul_lo_u32 v0, v0, 24
	v_mul_hi_u32 v26, v6, 24
	v_mul_lo_u32 v6, v6, 24
	v_add_nc_u32_e32 v0, v26, v0
	s_waitcnt vmcnt(0)
	v_add_co_u32 v26, vcc_lo, v32, v6
	v_add_co_ci_u32_e64 v27, null, v33, v0, vcc_lo
	global_load_dwordx2 v[26:27], v[26:27], off glc dlc
	s_waitcnt vmcnt(0)
	global_atomic_cmpswap_x2 v[32:33], v7, v[26:29], s[6:7] offset:24 glc
	s_waitcnt vmcnt(0)
	buffer_gl1_inv
	buffer_gl0_inv
	v_cmpx_ne_u64_e64 v[32:33], v[28:29]
	s_cbranch_execz .LBB0_64
; %bb.61:                               ;   in Loop: Header=BB0_3 Depth=1
	s_mov_b32 s11, 0
	.p2align	6
.LBB0_62:                               ;   Parent Loop BB0_3 Depth=1
                                        ; =>  This Inner Loop Header: Depth=2
	s_sleep 1
	s_clause 0x1
	global_load_dwordx2 v[26:27], v7, s[6:7] offset:40
	global_load_dwordx2 v[37:38], v7, s[6:7]
	v_mov_b32_e32 v28, v32
	v_mov_b32_e32 v29, v33
	s_waitcnt vmcnt(1)
	v_and_b32_e32 v0, v26, v28
	v_and_b32_e32 v6, v27, v29
	s_waitcnt vmcnt(0)
	v_mad_u64_u32 v[32:33], null, v0, 24, v[37:38]
	v_mov_b32_e32 v0, v33
	v_mad_u64_u32 v[26:27], null, v6, 24, v[0:1]
	v_mov_b32_e32 v33, v26
	global_load_dwordx2 v[26:27], v[32:33], off glc dlc
	s_waitcnt vmcnt(0)
	global_atomic_cmpswap_x2 v[32:33], v7, v[26:29], s[6:7] offset:24 glc
	s_waitcnt vmcnt(0)
	buffer_gl1_inv
	buffer_gl0_inv
	v_cmp_eq_u64_e32 vcc_lo, v[32:33], v[28:29]
	s_or_b32 s11, vcc_lo, s11
	s_andn2_b32 exec_lo, exec_lo, s11
	s_cbranch_execnz .LBB0_62
; %bb.63:                               ;   in Loop: Header=BB0_3 Depth=1
	s_or_b32 exec_lo, exec_lo, s11
.LBB0_64:                               ;   in Loop: Header=BB0_3 Depth=1
	s_or_b32 exec_lo, exec_lo, s10
.LBB0_65:                               ;   in Loop: Header=BB0_3 Depth=1
	s_or_b32 exec_lo, exec_lo, s5
	s_waitcnt lgkmcnt(0)
	s_clause 0x1
	global_load_dwordx2 v[37:38], v7, s[6:7] offset:40
	global_load_dwordx4 v[26:29], v7, s[6:7]
	v_readfirstlane_b32 s11, v33
	v_readfirstlane_b32 s10, v32
	s_mov_b32 s5, exec_lo
	s_waitcnt vmcnt(1)
	v_readfirstlane_b32 s12, v37
	v_readfirstlane_b32 s13, v38
	s_and_b64 s[12:13], s[12:13], s[10:11]
	s_mul_i32 s16, s13, 24
	s_mul_hi_u32 s17, s12, 24
	s_mul_i32 s18, s12, 24
	s_add_i32 s17, s17, s16
	s_waitcnt vmcnt(0)
	v_add_co_u32 v32, vcc_lo, v26, s18
	v_add_co_ci_u32_e64 v33, null, s17, v27, vcc_lo
	s_and_saveexec_b32 s16, s4
	s_cbranch_execz .LBB0_67
; %bb.66:                               ;   in Loop: Header=BB0_3 Depth=1
	v_mov_b32_e32 v6, s5
	global_store_dwordx4 v[32:33], v[6:9], off offset:8
.LBB0_67:                               ;   in Loop: Header=BB0_3 Depth=1
	s_or_b32 exec_lo, exec_lo, s16
	v_cmp_gt_u64_e32 vcc_lo, 57, v[4:5]
	s_lshl_b64 s[12:13], s[12:13], 12
	v_and_b32_e32 v10, 0xffffff1f, v10
	v_lshl_add_u32 v37, v30, 2, 28
	v_cndmask_b32_e32 v6, 0, v36, vcc_lo
	v_add_co_u32 v0, vcc_lo, v28, s12
	v_add_co_ci_u32_e64 v28, null, s13, v29, vcc_lo
	v_or_b32_e32 v6, v10, v6
	v_lshlrev_b32_e32 v29, 6, v35
	v_readfirstlane_b32 s12, v0
	v_readfirstlane_b32 s13, v28
	v_and_or_b32 v10, 0x1e0, v37, v6
	global_store_dwordx4 v29, v[14:17], s[12:13] offset:16
	global_store_dwordx4 v29, v[10:13], s[12:13]
	global_store_dwordx4 v29, v[18:21], s[12:13] offset:32
	global_store_dwordx4 v29, v[22:25], s[12:13] offset:48
	s_and_saveexec_b32 s5, s4
	s_cbranch_execz .LBB0_75
; %bb.68:                               ;   in Loop: Header=BB0_3 Depth=1
	s_clause 0x1
	global_load_dwordx2 v[18:19], v7, s[6:7] offset:32 glc dlc
	global_load_dwordx2 v[10:11], v7, s[6:7] offset:40
	v_mov_b32_e32 v16, s10
	v_mov_b32_e32 v17, s11
	s_waitcnt vmcnt(0)
	v_readfirstlane_b32 s12, v10
	v_readfirstlane_b32 s13, v11
	s_and_b64 s[12:13], s[12:13], s[10:11]
	s_mul_i32 s13, s13, 24
	s_mul_hi_u32 s16, s12, 24
	s_mul_i32 s12, s12, 24
	s_add_i32 s16, s16, s13
	v_add_co_u32 v14, vcc_lo, v26, s12
	v_add_co_ci_u32_e64 v15, null, s16, v27, vcc_lo
	s_mov_b32 s12, exec_lo
	global_store_dwordx2 v[14:15], v[18:19], off
	s_waitcnt_vscnt null, 0x0
	global_atomic_cmpswap_x2 v[12:13], v7, v[16:19], s[6:7] offset:32 glc
	s_waitcnt vmcnt(0)
	v_cmpx_ne_u64_e64 v[12:13], v[18:19]
	s_cbranch_execz .LBB0_71
; %bb.69:                               ;   in Loop: Header=BB0_3 Depth=1
	s_mov_b32 s13, 0
.LBB0_70:                               ;   Parent Loop BB0_3 Depth=1
                                        ; =>  This Inner Loop Header: Depth=2
	v_mov_b32_e32 v10, s10
	v_mov_b32_e32 v11, s11
	s_sleep 1
	global_store_dwordx2 v[14:15], v[12:13], off
	s_waitcnt_vscnt null, 0x0
	global_atomic_cmpswap_x2 v[10:11], v7, v[10:13], s[6:7] offset:32 glc
	s_waitcnt vmcnt(0)
	v_cmp_eq_u64_e32 vcc_lo, v[10:11], v[12:13]
	v_mov_b32_e32 v13, v11
	v_mov_b32_e32 v12, v10
	s_or_b32 s13, vcc_lo, s13
	s_andn2_b32 exec_lo, exec_lo, s13
	s_cbranch_execnz .LBB0_70
.LBB0_71:                               ;   in Loop: Header=BB0_3 Depth=1
	s_or_b32 exec_lo, exec_lo, s12
	global_load_dwordx2 v[10:11], v7, s[6:7] offset:16
	s_mov_b32 s13, exec_lo
	s_mov_b32 s12, exec_lo
	v_mbcnt_lo_u32_b32 v6, s13, 0
	v_cmpx_eq_u32_e32 0, v6
	s_cbranch_execz .LBB0_73
; %bb.72:                               ;   in Loop: Header=BB0_3 Depth=1
	s_bcnt1_i32_b32 s13, s13
	v_mov_b32_e32 v6, s13
	s_waitcnt vmcnt(0)
	global_atomic_add_x2 v[10:11], v[6:7], off offset:8
.LBB0_73:                               ;   in Loop: Header=BB0_3 Depth=1
	s_or_b32 exec_lo, exec_lo, s12
	s_waitcnt vmcnt(0)
	global_load_dwordx2 v[12:13], v[10:11], off offset:16
	s_waitcnt vmcnt(0)
	v_cmp_eq_u64_e32 vcc_lo, 0, v[12:13]
	s_cbranch_vccnz .LBB0_75
; %bb.74:                               ;   in Loop: Header=BB0_3 Depth=1
	global_load_dword v6, v[10:11], off offset:24
	s_waitcnt vmcnt(0)
	v_readfirstlane_b32 s12, v6
	s_waitcnt_vscnt null, 0x0
	global_store_dwordx2 v[12:13], v[6:7], off
	s_and_b32 m0, s12, 0x7fffff
	s_sendmsg sendmsg(MSG_INTERRUPT)
.LBB0_75:                               ;   in Loop: Header=BB0_3 Depth=1
	s_or_b32 exec_lo, exec_lo, s5
	v_add_co_u32 v10, vcc_lo, v0, v29
	v_add_co_ci_u32_e64 v11, null, 0, v28, vcc_lo
	s_branch .LBB0_79
	.p2align	6
.LBB0_76:                               ;   in Loop: Header=BB0_79 Depth=2
	s_or_b32 exec_lo, exec_lo, s5
	v_readfirstlane_b32 s5, v0
	s_cmp_eq_u32 s5, 0
	s_cbranch_scc1 .LBB0_78
; %bb.77:                               ;   in Loop: Header=BB0_79 Depth=2
	s_sleep 1
	s_cbranch_execnz .LBB0_79
	s_branch .LBB0_81
	.p2align	6
.LBB0_78:                               ;   in Loop: Header=BB0_3 Depth=1
	s_branch .LBB0_81
.LBB0_79:                               ;   Parent Loop BB0_3 Depth=1
                                        ; =>  This Inner Loop Header: Depth=2
	v_mov_b32_e32 v0, 1
	s_and_saveexec_b32 s5, s4
	s_cbranch_execz .LBB0_76
; %bb.80:                               ;   in Loop: Header=BB0_79 Depth=2
	global_load_dword v0, v[32:33], off offset:20 glc dlc
	s_waitcnt vmcnt(0)
	buffer_gl1_inv
	buffer_gl0_inv
	v_and_b32_e32 v0, 1, v0
	s_branch .LBB0_76
.LBB0_81:                               ;   in Loop: Header=BB0_3 Depth=1
	global_load_dwordx4 v[10:13], v[10:11], off
	s_and_saveexec_b32 s12, s4
	s_cbranch_execz .LBB0_2
; %bb.82:                               ;   in Loop: Header=BB0_3 Depth=1
	s_clause 0x2
	global_load_dwordx2 v[12:13], v7, s[6:7] offset:40
	global_load_dwordx2 v[20:21], v7, s[6:7] offset:24 glc dlc
	global_load_dwordx2 v[14:15], v7, s[6:7]
	s_waitcnt vmcnt(2)
	v_readfirstlane_b32 s16, v12
	v_readfirstlane_b32 s17, v13
	s_add_u32 s13, s16, 1
	s_addc_u32 s18, s17, 0
	s_add_u32 s4, s13, s10
	s_addc_u32 s5, s18, s11
	s_cmp_eq_u64 s[4:5], 0
	s_cselect_b32 s5, s18, s5
	s_cselect_b32 s4, s13, s4
	v_mov_b32_e32 v19, s5
	s_and_b64 s[10:11], s[4:5], s[16:17]
	v_mov_b32_e32 v18, s4
	s_mul_i32 s11, s11, 24
	s_mul_hi_u32 s13, s10, 24
	s_mul_i32 s10, s10, 24
	s_add_i32 s13, s13, s11
	s_waitcnt vmcnt(0)
	v_add_co_u32 v16, vcc_lo, v14, s10
	v_add_co_ci_u32_e64 v17, null, s13, v15, vcc_lo
	global_store_dwordx2 v[16:17], v[20:21], off
	s_waitcnt_vscnt null, 0x0
	global_atomic_cmpswap_x2 v[14:15], v7, v[18:21], s[6:7] offset:24 glc
	s_waitcnt vmcnt(0)
	v_cmp_ne_u64_e32 vcc_lo, v[14:15], v[20:21]
	s_and_b32 exec_lo, exec_lo, vcc_lo
	s_cbranch_execz .LBB0_2
; %bb.83:                               ;   in Loop: Header=BB0_3 Depth=1
	s_mov_b32 s10, 0
.LBB0_84:                               ;   Parent Loop BB0_3 Depth=1
                                        ; =>  This Inner Loop Header: Depth=2
	v_mov_b32_e32 v12, s4
	v_mov_b32_e32 v13, s5
	s_sleep 1
	global_store_dwordx2 v[16:17], v[14:15], off
	s_waitcnt_vscnt null, 0x0
	global_atomic_cmpswap_x2 v[12:13], v7, v[12:15], s[6:7] offset:24 glc
	s_waitcnt vmcnt(0)
	v_cmp_eq_u64_e32 vcc_lo, v[12:13], v[14:15]
	v_mov_b32_e32 v15, v13
	v_mov_b32_e32 v14, v12
	s_or_b32 s10, vcc_lo, s10
	s_andn2_b32 exec_lo, exec_lo, s10
	s_cbranch_execnz .LBB0_84
	s_branch .LBB0_2
.LBB0_85:
	s_or_b32 exec_lo, exec_lo, s15
	s_branch .LBB0_114
.LBB0_86:
	s_load_dwordx2 s[6:7], s[8:9], 0x50
	v_readfirstlane_b32 s4, v35
	v_mov_b32_e32 v8, 0
	v_mov_b32_e32 v9, 0
	v_cmp_eq_u32_e64 s4, s4, v35
	s_and_saveexec_b32 s5, s4
	s_cbranch_execz .LBB0_92
; %bb.87:
	v_mov_b32_e32 v0, 0
	s_mov_b32 s8, exec_lo
	s_waitcnt lgkmcnt(0)
	global_load_dwordx2 v[4:5], v0, s[6:7] offset:24 glc dlc
	s_waitcnt vmcnt(0)
	buffer_gl1_inv
	buffer_gl0_inv
	s_clause 0x1
	global_load_dwordx2 v[2:3], v0, s[6:7] offset:40
	global_load_dwordx2 v[6:7], v0, s[6:7]
	s_waitcnt vmcnt(1)
	v_and_b32_e32 v3, v3, v5
	v_and_b32_e32 v2, v2, v4
	v_mul_lo_u32 v3, v3, 24
	v_mul_hi_u32 v8, v2, 24
	v_mul_lo_u32 v2, v2, 24
	v_add_nc_u32_e32 v3, v8, v3
	s_waitcnt vmcnt(0)
	v_add_co_u32 v2, vcc_lo, v6, v2
	v_add_co_ci_u32_e64 v3, null, v7, v3, vcc_lo
	global_load_dwordx2 v[2:3], v[2:3], off glc dlc
	s_waitcnt vmcnt(0)
	global_atomic_cmpswap_x2 v[8:9], v0, v[2:5], s[6:7] offset:24 glc
	s_waitcnt vmcnt(0)
	buffer_gl1_inv
	buffer_gl0_inv
	v_cmpx_ne_u64_e64 v[8:9], v[4:5]
	s_cbranch_execz .LBB0_91
; %bb.88:
	s_mov_b32 s9, 0
	.p2align	6
.LBB0_89:                               ; =>This Inner Loop Header: Depth=1
	s_sleep 1
	s_clause 0x1
	global_load_dwordx2 v[2:3], v0, s[6:7] offset:40
	global_load_dwordx2 v[6:7], v0, s[6:7]
	v_mov_b32_e32 v4, v8
	v_mov_b32_e32 v5, v9
	s_waitcnt vmcnt(1)
	v_and_b32_e32 v2, v2, v4
	v_and_b32_e32 v3, v3, v5
	s_waitcnt vmcnt(0)
	v_mad_u64_u32 v[6:7], null, v2, 24, v[6:7]
	v_mov_b32_e32 v2, v7
	v_mad_u64_u32 v[2:3], null, v3, 24, v[2:3]
	v_mov_b32_e32 v7, v2
	global_load_dwordx2 v[2:3], v[6:7], off glc dlc
	s_waitcnt vmcnt(0)
	global_atomic_cmpswap_x2 v[8:9], v0, v[2:5], s[6:7] offset:24 glc
	s_waitcnt vmcnt(0)
	buffer_gl1_inv
	buffer_gl0_inv
	v_cmp_eq_u64_e32 vcc_lo, v[8:9], v[4:5]
	s_or_b32 s9, vcc_lo, s9
	s_andn2_b32 exec_lo, exec_lo, s9
	s_cbranch_execnz .LBB0_89
; %bb.90:
	s_or_b32 exec_lo, exec_lo, s9
.LBB0_91:
	s_or_b32 exec_lo, exec_lo, s8
.LBB0_92:
	s_or_b32 exec_lo, exec_lo, s5
	v_mov_b32_e32 v2, 0
	v_readfirstlane_b32 s9, v9
	v_readfirstlane_b32 s8, v8
	s_mov_b32 s5, exec_lo
	s_waitcnt lgkmcnt(0)
	s_clause 0x1
	global_load_dwordx2 v[10:11], v2, s[6:7] offset:40
	global_load_dwordx4 v[4:7], v2, s[6:7]
	s_waitcnt vmcnt(1)
	v_readfirstlane_b32 s10, v10
	v_readfirstlane_b32 s11, v11
	s_and_b64 s[10:11], s[10:11], s[8:9]
	s_mul_i32 s12, s11, 24
	s_mul_hi_u32 s13, s10, 24
	s_mul_i32 s14, s10, 24
	s_add_i32 s13, s13, s12
	s_waitcnt vmcnt(0)
	v_add_co_u32 v8, vcc_lo, v4, s14
	v_add_co_ci_u32_e64 v9, null, s13, v5, vcc_lo
	s_and_saveexec_b32 s12, s4
	s_cbranch_execz .LBB0_94
; %bb.93:
	v_mov_b32_e32 v10, s5
	v_mov_b32_e32 v11, v2
	v_mov_b32_e32 v12, 2
	v_mov_b32_e32 v13, 1
	global_store_dwordx4 v[8:9], v[10:13], off offset:8
.LBB0_94:
	s_or_b32 exec_lo, exec_lo, s12
	s_lshl_b64 s[10:11], s[10:11], 12
	s_mov_b32 s12, 0
	v_add_co_u32 v6, vcc_lo, v6, s10
	v_add_co_ci_u32_e64 v7, null, s11, v7, vcc_lo
	s_mov_b32 s13, s12
	s_mov_b32 s14, s12
	;; [unrolled: 1-line block ×3, first 2 shown]
	v_and_or_b32 v0, 0xffffff1f, v34, 32
	v_lshlrev_b32_e32 v14, 6, v35
	v_mov_b32_e32 v3, v2
	v_readfirstlane_b32 s10, v6
	v_readfirstlane_b32 s11, v7
	v_mov_b32_e32 v10, s12
	v_mov_b32_e32 v11, s13
	;; [unrolled: 1-line block ×4, first 2 shown]
	global_store_dwordx4 v14, v[0:3], s[10:11]
	global_store_dwordx4 v14, v[10:13], s[10:11] offset:16
	global_store_dwordx4 v14, v[10:13], s[10:11] offset:32
	;; [unrolled: 1-line block ×3, first 2 shown]
	s_and_saveexec_b32 s5, s4
	s_cbranch_execz .LBB0_102
; %bb.95:
	v_mov_b32_e32 v6, 0
	v_mov_b32_e32 v10, s8
	;; [unrolled: 1-line block ×3, first 2 shown]
	s_mov_b32 s10, exec_lo
	s_clause 0x1
	global_load_dwordx2 v[12:13], v6, s[6:7] offset:32 glc dlc
	global_load_dwordx2 v[0:1], v6, s[6:7] offset:40
	s_waitcnt vmcnt(0)
	v_and_b32_e32 v1, s9, v1
	v_and_b32_e32 v0, s8, v0
	v_mul_lo_u32 v1, v1, 24
	v_mul_hi_u32 v2, v0, 24
	v_mul_lo_u32 v0, v0, 24
	v_add_nc_u32_e32 v1, v2, v1
	v_add_co_u32 v4, vcc_lo, v4, v0
	v_add_co_ci_u32_e64 v5, null, v5, v1, vcc_lo
	global_store_dwordx2 v[4:5], v[12:13], off
	s_waitcnt_vscnt null, 0x0
	global_atomic_cmpswap_x2 v[2:3], v6, v[10:13], s[6:7] offset:32 glc
	s_waitcnt vmcnt(0)
	v_cmpx_ne_u64_e64 v[2:3], v[12:13]
	s_cbranch_execz .LBB0_98
; %bb.96:
	s_mov_b32 s11, 0
.LBB0_97:                               ; =>This Inner Loop Header: Depth=1
	v_mov_b32_e32 v0, s8
	v_mov_b32_e32 v1, s9
	s_sleep 1
	global_store_dwordx2 v[4:5], v[2:3], off
	s_waitcnt_vscnt null, 0x0
	global_atomic_cmpswap_x2 v[0:1], v6, v[0:3], s[6:7] offset:32 glc
	s_waitcnt vmcnt(0)
	v_cmp_eq_u64_e32 vcc_lo, v[0:1], v[2:3]
	v_mov_b32_e32 v3, v1
	v_mov_b32_e32 v2, v0
	s_or_b32 s11, vcc_lo, s11
	s_andn2_b32 exec_lo, exec_lo, s11
	s_cbranch_execnz .LBB0_97
.LBB0_98:
	s_or_b32 exec_lo, exec_lo, s10
	v_mov_b32_e32 v3, 0
	s_mov_b32 s11, exec_lo
	s_mov_b32 s10, exec_lo
	v_mbcnt_lo_u32_b32 v2, s11, 0
	global_load_dwordx2 v[0:1], v3, s[6:7] offset:16
	v_cmpx_eq_u32_e32 0, v2
	s_cbranch_execz .LBB0_100
; %bb.99:
	s_bcnt1_i32_b32 s11, s11
	v_mov_b32_e32 v2, s11
	s_waitcnt vmcnt(0)
	global_atomic_add_x2 v[0:1], v[2:3], off offset:8
.LBB0_100:
	s_or_b32 exec_lo, exec_lo, s10
	s_waitcnt vmcnt(0)
	global_load_dwordx2 v[2:3], v[0:1], off offset:16
	s_waitcnt vmcnt(0)
	v_cmp_eq_u64_e32 vcc_lo, 0, v[2:3]
	s_cbranch_vccnz .LBB0_102
; %bb.101:
	global_load_dword v0, v[0:1], off offset:24
	v_mov_b32_e32 v1, 0
	s_waitcnt vmcnt(0)
	v_readfirstlane_b32 s10, v0
	s_waitcnt_vscnt null, 0x0
	global_store_dwordx2 v[2:3], v[0:1], off
	s_and_b32 m0, s10, 0x7fffff
	s_sendmsg sendmsg(MSG_INTERRUPT)
.LBB0_102:
	s_or_b32 exec_lo, exec_lo, s5
	s_branch .LBB0_106
	.p2align	6
.LBB0_103:                              ;   in Loop: Header=BB0_106 Depth=1
	s_or_b32 exec_lo, exec_lo, s5
	v_readfirstlane_b32 s5, v0
	s_cmp_eq_u32 s5, 0
	s_cbranch_scc1 .LBB0_105
; %bb.104:                              ;   in Loop: Header=BB0_106 Depth=1
	s_sleep 1
	s_cbranch_execnz .LBB0_106
	s_branch .LBB0_108
	.p2align	6
.LBB0_105:
	s_branch .LBB0_108
.LBB0_106:                              ; =>This Inner Loop Header: Depth=1
	v_mov_b32_e32 v0, 1
	s_and_saveexec_b32 s5, s4
	s_cbranch_execz .LBB0_103
; %bb.107:                              ;   in Loop: Header=BB0_106 Depth=1
	global_load_dword v0, v[8:9], off offset:20 glc dlc
	s_waitcnt vmcnt(0)
	buffer_gl1_inv
	buffer_gl0_inv
	v_and_b32_e32 v0, 1, v0
	s_branch .LBB0_103
.LBB0_108:
	s_and_saveexec_b32 s10, s4
	s_cbranch_execz .LBB0_112
; %bb.109:
	v_mov_b32_e32 v6, 0
	s_clause 0x2
	global_load_dwordx2 v[0:1], v6, s[6:7] offset:40
	global_load_dwordx2 v[9:10], v6, s[6:7] offset:24 glc dlc
	global_load_dwordx2 v[2:3], v6, s[6:7]
	s_waitcnt vmcnt(2)
	v_readfirstlane_b32 s12, v0
	v_readfirstlane_b32 s13, v1
	s_add_u32 s11, s12, 1
	s_addc_u32 s14, s13, 0
	s_add_u32 s4, s11, s8
	s_addc_u32 s5, s14, s9
	s_cmp_eq_u64 s[4:5], 0
	s_cselect_b32 s5, s14, s5
	s_cselect_b32 s4, s11, s4
	v_mov_b32_e32 v8, s5
	s_and_b64 s[8:9], s[4:5], s[12:13]
	v_mov_b32_e32 v7, s4
	s_mul_i32 s9, s9, 24
	s_mul_hi_u32 s11, s8, 24
	s_mul_i32 s8, s8, 24
	s_add_i32 s11, s11, s9
	s_waitcnt vmcnt(0)
	v_add_co_u32 v4, vcc_lo, v2, s8
	v_add_co_ci_u32_e64 v5, null, s11, v3, vcc_lo
	global_store_dwordx2 v[4:5], v[9:10], off
	s_waitcnt_vscnt null, 0x0
	global_atomic_cmpswap_x2 v[2:3], v6, v[7:10], s[6:7] offset:24 glc
	s_waitcnt vmcnt(0)
	v_cmp_ne_u64_e32 vcc_lo, v[2:3], v[9:10]
	s_and_b32 exec_lo, exec_lo, vcc_lo
	s_cbranch_execz .LBB0_112
; %bb.110:
	s_mov_b32 s8, 0
.LBB0_111:                              ; =>This Inner Loop Header: Depth=1
	v_mov_b32_e32 v0, s4
	v_mov_b32_e32 v1, s5
	s_sleep 1
	global_store_dwordx2 v[4:5], v[2:3], off
	s_waitcnt_vscnt null, 0x0
	global_atomic_cmpswap_x2 v[0:1], v6, v[0:3], s[6:7] offset:24 glc
	s_waitcnt vmcnt(0)
	v_cmp_eq_u64_e32 vcc_lo, v[0:1], v[2:3]
	v_mov_b32_e32 v3, v1
	v_mov_b32_e32 v2, v0
	s_or_b32 s8, vcc_lo, s8
	s_andn2_b32 exec_lo, exec_lo, s8
	s_cbranch_execnz .LBB0_111
.LBB0_112:
	s_or_b32 exec_lo, exec_lo, s10
	s_waitcnt lgkmcnt(0)
	s_setpc_b64 s[30:31]
.LBB0_113:
	s_cbranch_execnz .LBB0_86
.LBB0_114:
	s_waitcnt vmcnt(0) lgkmcnt(0)
	s_setpc_b64 s[30:31]
.Lfunc_end0:
	.size	__ockl_fprintf_append_string_n, .Lfunc_end0-__ockl_fprintf_append_string_n
                                        ; -- End function
	.set .L__ockl_fprintf_append_string_n.num_vgpr, 39
	.set .L__ockl_fprintf_append_string_n.num_agpr, 0
	.set .L__ockl_fprintf_append_string_n.numbered_sgpr, 32
	.set .L__ockl_fprintf_append_string_n.num_named_barrier, 0
	.set .L__ockl_fprintf_append_string_n.private_seg_size, 0
	.set .L__ockl_fprintf_append_string_n.uses_vcc, 1
	.set .L__ockl_fprintf_append_string_n.uses_flat_scratch, 0
	.set .L__ockl_fprintf_append_string_n.has_dyn_sized_stack, 0
	.set .L__ockl_fprintf_append_string_n.has_recursion, 0
	.set .L__ockl_fprintf_append_string_n.has_indirect_call, 0
	.section	.AMDGPU.csdata,"",@progbits
; Function info:
; codeLenInByte = 4528
; TotalNumSgprs: 34
; NumVgprs: 39
; ScratchSize: 0
; MemoryBound: 0
	.text
	.p2align	2                               ; -- Begin function __assert_fail
	.type	__assert_fail,@function
__assert_fail:                          ; @__assert_fail
; %bb.0:
	s_waitcnt vmcnt(0) expcnt(0) lgkmcnt(0)
	s_mov_b32 s24, s33
	s_mov_b32 s33, s32
	s_xor_saveexec_b32 s4, -1
	buffer_store_dword v39, off, s[0:3], s33 offset:48 ; 4-byte Folded Spill
	s_mov_b32 exec_lo, s4
	v_writelane_b32 v39, s30, 0
	s_addk_i32 s32, 0x800
	v_writelane_b32 v39, s31, 1
	v_mov_b32_e32 v4, v0
	v_mov_b32_e32 v0, 0
	s_getpc_b64 s[4:5]
	s_add_u32 s4, s4, __const.__assert_fail.fmt@rel32@lo+35
	s_addc_u32 s5, s5, __const.__assert_fail.fmt@rel32@hi+43
	v_mbcnt_lo_u32_b32 v32, -1, 0
	v_mov_b32_e32 v6, 0
	v_mov_b32_e32 v5, v1
	global_load_dwordx4 v[8:11], v0, s[4:5]
	s_getpc_b64 s[4:5]
	s_add_u32 s4, s4, __const.__assert_fail.fmt@rel32@lo+4
	s_addc_u32 s5, s5, __const.__assert_fail.fmt@rel32@hi+12
	s_getpc_b64 s[6:7]
	s_add_u32 s6, s6, __const.__assert_fail.fmt@rel32@lo+20
	s_addc_u32 s7, s7, __const.__assert_fail.fmt@rel32@hi+28
	s_clause 0x1
	s_load_dwordx4 s[12:15], s[4:5], 0x0
	s_load_dwordx4 s[16:19], s[6:7], 0x0
	s_load_dwordx2 s[6:7], s[8:9], 0x50
	v_readfirstlane_b32 s4, v32
	v_mov_b32_e32 v7, 0
	v_cmp_eq_u32_e64 s4, s4, v32
	s_waitcnt lgkmcnt(0)
	v_mov_b32_e32 v1, s15
	v_mov_b32_e32 v2, s14
	;; [unrolled: 1-line block ×8, first 2 shown]
	buffer_store_dword v1, off, s[0:3], s33 offset:12
	buffer_store_dword v2, off, s[0:3], s33 offset:8
	;; [unrolled: 1-line block ×3, first 2 shown]
	buffer_store_dword v12, off, s[0:3], s33
	buffer_store_dword v13, off, s[0:3], s33 offset:28
	buffer_store_dword v14, off, s[0:3], s33 offset:24
	;; [unrolled: 1-line block ×4, first 2 shown]
	s_waitcnt vmcnt(0)
	buffer_store_dword v11, off, s[0:3], s33 offset:43
	buffer_store_dword v10, off, s[0:3], s33 offset:39
	;; [unrolled: 1-line block ×4, first 2 shown]
	s_and_saveexec_b32 s5, s4
	s_cbranch_execz .LBB1_6
; %bb.1:
	global_load_dwordx2 v[8:9], v0, s[6:7] offset:24 glc dlc
	s_waitcnt vmcnt(0)
	buffer_gl1_inv
	buffer_gl0_inv
	s_clause 0x1
	global_load_dwordx2 v[1:2], v0, s[6:7] offset:40
	global_load_dwordx2 v[6:7], v0, s[6:7]
	s_mov_b32 s10, exec_lo
	s_waitcnt vmcnt(1)
	v_and_b32_e32 v2, v2, v9
	v_and_b32_e32 v1, v1, v8
	v_mul_lo_u32 v2, v2, 24
	v_mul_hi_u32 v3, v1, 24
	v_mul_lo_u32 v1, v1, 24
	v_add_nc_u32_e32 v2, v3, v2
	s_waitcnt vmcnt(0)
	v_add_co_u32 v1, vcc_lo, v6, v1
	v_add_co_ci_u32_e64 v2, null, v7, v2, vcc_lo
	global_load_dwordx2 v[6:7], v[1:2], off glc dlc
	s_waitcnt vmcnt(0)
	global_atomic_cmpswap_x2 v[6:7], v0, v[6:9], s[6:7] offset:24 glc
	s_waitcnt vmcnt(0)
	buffer_gl1_inv
	buffer_gl0_inv
	v_cmpx_ne_u64_e64 v[6:7], v[8:9]
	s_cbranch_execz .LBB1_5
; %bb.2:
	v_mov_b32_e32 v1, 0
	s_mov_b32 s11, 0
	.p2align	6
.LBB1_3:                                ; =>This Inner Loop Header: Depth=1
	s_sleep 1
	s_clause 0x1
	global_load_dwordx2 v[2:3], v1, s[6:7] offset:40
	global_load_dwordx2 v[10:11], v1, s[6:7]
	v_mov_b32_e32 v9, v7
	v_mov_b32_e32 v8, v6
	s_waitcnt vmcnt(1)
	v_and_b32_e32 v2, v2, v8
	v_and_b32_e32 v3, v3, v9
	s_waitcnt vmcnt(0)
	v_mad_u64_u32 v[6:7], null, v2, 24, v[10:11]
	v_mov_b32_e32 v2, v7
	v_mad_u64_u32 v[2:3], null, v3, 24, v[2:3]
	v_mov_b32_e32 v7, v2
	global_load_dwordx2 v[6:7], v[6:7], off glc dlc
	s_waitcnt vmcnt(0)
	global_atomic_cmpswap_x2 v[6:7], v1, v[6:9], s[6:7] offset:24 glc
	s_waitcnt vmcnt(0)
	buffer_gl1_inv
	buffer_gl0_inv
	v_cmp_eq_u64_e32 vcc_lo, v[6:7], v[8:9]
	s_or_b32 s11, vcc_lo, s11
	s_andn2_b32 exec_lo, exec_lo, s11
	s_cbranch_execnz .LBB1_3
; %bb.4:
	s_or_b32 exec_lo, exec_lo, s11
.LBB1_5:
	s_or_b32 exec_lo, exec_lo, s10
.LBB1_6:
	s_or_b32 exec_lo, exec_lo, s5
	s_clause 0x1
	global_load_dwordx2 v[8:9], v0, s[6:7] offset:40
	global_load_dwordx4 v[0:3], v0, s[6:7]
	v_readfirstlane_b32 s11, v7
	v_readfirstlane_b32 s10, v6
	s_mov_b32 s5, exec_lo
	s_waitcnt vmcnt(1)
	v_readfirstlane_b32 s12, v8
	v_readfirstlane_b32 s13, v9
	s_and_b64 s[12:13], s[12:13], s[10:11]
	s_mul_i32 s14, s13, 24
	s_mul_hi_u32 s15, s12, 24
	s_mul_i32 s16, s12, 24
	s_add_i32 s15, s15, s14
	s_waitcnt vmcnt(0)
	v_add_co_u32 v10, vcc_lo, v0, s16
	v_add_co_ci_u32_e64 v11, null, s15, v1, vcc_lo
	s_and_saveexec_b32 s14, s4
	s_cbranch_execz .LBB1_8
; %bb.7:
	v_mov_b32_e32 v6, s5
	v_mov_b32_e32 v7, 0
	;; [unrolled: 1-line block ×4, first 2 shown]
	global_store_dwordx4 v[10:11], v[6:9], off offset:8
.LBB1_8:
	s_or_b32 exec_lo, exec_lo, s14
	s_lshl_b64 s[12:13], s[12:13], 12
	v_lshlrev_b32_e32 v33, 6, v32
	v_add_co_u32 v2, vcc_lo, v2, s12
	v_add_co_ci_u32_e64 v3, null, s13, v3, vcc_lo
	v_mov_b32_e32 v7, 0
	s_mov_b32 s12, 0
	v_add_co_u32 v12, vcc_lo, v2, v33
	s_mov_b32 s15, s12
	s_mov_b32 s13, s12
	;; [unrolled: 1-line block ×3, first 2 shown]
	v_mov_b32_e32 v6, 33
	v_mov_b32_e32 v8, 1
	;; [unrolled: 1-line block ×3, first 2 shown]
	v_readfirstlane_b32 s16, v2
	v_readfirstlane_b32 s17, v3
	v_mov_b32_e32 v17, s15
	v_add_co_ci_u32_e64 v13, null, 0, v3, vcc_lo
	v_mov_b32_e32 v16, s14
	v_mov_b32_e32 v15, s13
	;; [unrolled: 1-line block ×3, first 2 shown]
	global_store_dwordx4 v33, v[6:9], s[16:17]
	global_store_dwordx4 v33, v[14:17], s[16:17] offset:16
	global_store_dwordx4 v33, v[14:17], s[16:17] offset:32
	;; [unrolled: 1-line block ×3, first 2 shown]
	s_and_saveexec_b32 s5, s4
	s_cbranch_execz .LBB1_16
; %bb.9:
	s_clause 0x1
	global_load_dwordx2 v[16:17], v7, s[6:7] offset:32 glc dlc
	global_load_dwordx2 v[2:3], v7, s[6:7] offset:40
	v_mov_b32_e32 v14, s10
	v_mov_b32_e32 v15, s11
	s_mov_b32 s12, exec_lo
	s_waitcnt vmcnt(0)
	v_and_b32_e32 v3, s11, v3
	v_and_b32_e32 v2, s10, v2
	v_mul_lo_u32 v3, v3, 24
	v_mul_hi_u32 v6, v2, 24
	v_mul_lo_u32 v2, v2, 24
	v_add_nc_u32_e32 v3, v6, v3
	v_add_co_u32 v8, vcc_lo, v0, v2
	v_add_co_ci_u32_e64 v9, null, v1, v3, vcc_lo
	global_store_dwordx2 v[8:9], v[16:17], off
	s_waitcnt_vscnt null, 0x0
	global_atomic_cmpswap_x2 v[2:3], v7, v[14:17], s[6:7] offset:32 glc
	s_waitcnt vmcnt(0)
	v_cmpx_ne_u64_e64 v[2:3], v[16:17]
	s_cbranch_execz .LBB1_12
; %bb.10:
	v_mov_b32_e32 v6, 0
	s_mov_b32 s13, 0
.LBB1_11:                               ; =>This Inner Loop Header: Depth=1
	v_mov_b32_e32 v0, s10
	v_mov_b32_e32 v1, s11
	s_sleep 1
	global_store_dwordx2 v[8:9], v[2:3], off
	s_waitcnt_vscnt null, 0x0
	global_atomic_cmpswap_x2 v[0:1], v6, v[0:3], s[6:7] offset:32 glc
	s_waitcnt vmcnt(0)
	v_cmp_eq_u64_e32 vcc_lo, v[0:1], v[2:3]
	v_mov_b32_e32 v3, v1
	v_mov_b32_e32 v2, v0
	s_or_b32 s13, vcc_lo, s13
	s_andn2_b32 exec_lo, exec_lo, s13
	s_cbranch_execnz .LBB1_11
.LBB1_12:
	s_or_b32 exec_lo, exec_lo, s12
	v_mov_b32_e32 v3, 0
	s_mov_b32 s13, exec_lo
	s_mov_b32 s12, exec_lo
	v_mbcnt_lo_u32_b32 v2, s13, 0
	global_load_dwordx2 v[0:1], v3, s[6:7] offset:16
	v_cmpx_eq_u32_e32 0, v2
	s_cbranch_execz .LBB1_14
; %bb.13:
	s_bcnt1_i32_b32 s13, s13
	v_mov_b32_e32 v2, s13
	s_waitcnt vmcnt(0)
	global_atomic_add_x2 v[0:1], v[2:3], off offset:8
.LBB1_14:
	s_or_b32 exec_lo, exec_lo, s12
	s_waitcnt vmcnt(0)
	global_load_dwordx2 v[2:3], v[0:1], off offset:16
	s_waitcnt vmcnt(0)
	v_cmp_eq_u64_e32 vcc_lo, 0, v[2:3]
	s_cbranch_vccnz .LBB1_16
; %bb.15:
	global_load_dword v0, v[0:1], off offset:24
	v_mov_b32_e32 v1, 0
	s_waitcnt vmcnt(0)
	v_readfirstlane_b32 s12, v0
	s_waitcnt_vscnt null, 0x0
	global_store_dwordx2 v[2:3], v[0:1], off
	s_and_b32 m0, s12, 0x7fffff
	s_sendmsg sendmsg(MSG_INTERRUPT)
.LBB1_16:
	s_or_b32 exec_lo, exec_lo, s5
	s_branch .LBB1_20
	.p2align	6
.LBB1_17:                               ;   in Loop: Header=BB1_20 Depth=1
	s_or_b32 exec_lo, exec_lo, s5
	v_readfirstlane_b32 s5, v0
	s_cmp_eq_u32 s5, 0
	s_cbranch_scc1 .LBB1_19
; %bb.18:                               ;   in Loop: Header=BB1_20 Depth=1
	s_sleep 1
	s_cbranch_execnz .LBB1_20
	s_branch .LBB1_22
	.p2align	6
.LBB1_19:
	s_branch .LBB1_22
.LBB1_20:                               ; =>This Inner Loop Header: Depth=1
	v_mov_b32_e32 v0, 1
	s_and_saveexec_b32 s5, s4
	s_cbranch_execz .LBB1_17
; %bb.21:                               ;   in Loop: Header=BB1_20 Depth=1
	global_load_dword v0, v[10:11], off offset:20 glc dlc
	s_waitcnt vmcnt(0)
	buffer_gl1_inv
	buffer_gl0_inv
	v_and_b32_e32 v0, 1, v0
	s_branch .LBB1_17
.LBB1_22:
	global_load_dwordx2 v[6:7], v[12:13], off
	s_and_saveexec_b32 s12, s4
	s_cbranch_execz .LBB1_26
; %bb.23:
	v_mov_b32_e32 v10, 0
	s_clause 0x2
	global_load_dwordx2 v[0:1], v10, s[6:7] offset:40
	global_load_dwordx2 v[13:14], v10, s[6:7] offset:24 glc dlc
	global_load_dwordx2 v[2:3], v10, s[6:7]
	s_waitcnt vmcnt(2)
	v_readfirstlane_b32 s14, v0
	v_readfirstlane_b32 s15, v1
	s_add_u32 s13, s14, 1
	s_addc_u32 s16, s15, 0
	s_add_u32 s4, s13, s10
	s_addc_u32 s5, s16, s11
	s_cmp_eq_u64 s[4:5], 0
	s_cselect_b32 s5, s16, s5
	s_cselect_b32 s4, s13, s4
	v_mov_b32_e32 v12, s5
	s_and_b64 s[10:11], s[4:5], s[14:15]
	v_mov_b32_e32 v11, s4
	s_mul_i32 s11, s11, 24
	s_mul_hi_u32 s13, s10, 24
	s_mul_i32 s10, s10, 24
	s_add_i32 s13, s13, s11
	s_waitcnt vmcnt(0)
	v_add_co_u32 v8, vcc_lo, v2, s10
	v_add_co_ci_u32_e64 v9, null, s13, v3, vcc_lo
	global_store_dwordx2 v[8:9], v[13:14], off
	s_waitcnt_vscnt null, 0x0
	global_atomic_cmpswap_x2 v[2:3], v10, v[11:14], s[6:7] offset:24 glc
	s_waitcnt vmcnt(0)
	v_cmp_ne_u64_e32 vcc_lo, v[2:3], v[13:14]
	s_and_b32 exec_lo, exec_lo, vcc_lo
	s_cbranch_execz .LBB1_26
; %bb.24:
	s_mov_b32 s10, 0
.LBB1_25:                               ; =>This Inner Loop Header: Depth=1
	v_mov_b32_e32 v0, s4
	v_mov_b32_e32 v1, s5
	s_sleep 1
	global_store_dwordx2 v[8:9], v[2:3], off
	s_waitcnt_vscnt null, 0x0
	global_atomic_cmpswap_x2 v[0:1], v10, v[0:3], s[6:7] offset:24 glc
	s_waitcnt vmcnt(0)
	v_cmp_eq_u64_e32 vcc_lo, v[0:1], v[2:3]
	v_mov_b32_e32 v3, v1
	v_mov_b32_e32 v2, v0
	s_or_b32 s10, vcc_lo, s10
	s_andn2_b32 exec_lo, exec_lo, s10
	s_cbranch_execnz .LBB1_25
.LBB1_26:
	s_or_b32 exec_lo, exec_lo, s12
	s_lshr_b32 s5, s33, 5
	s_mov_b32 s4, 0
.LBB1_27:                               ; =>This Inner Loop Header: Depth=1
	v_mov_b32_e32 v0, s5
	s_add_i32 s5, s5, 1
	buffer_load_ubyte v0, v0, s[0:3], 0 offen
	s_waitcnt vmcnt(0)
	v_cmp_eq_u16_e32 vcc_lo, 0, v0
	v_mov_b32_e32 v0, s5
	s_or_b32 s4, vcc_lo, s4
	s_andn2_b32 exec_lo, exec_lo, s4
	s_cbranch_execnz .LBB1_27
; %bb.28:
	s_or_b32 exec_lo, exec_lo, s4
	s_lshr_b32 s4, s33, 5
	s_cmp_lg_u32 s4, -1
	s_cbranch_scc0 .LBB1_113
; %bb.29:
	v_lshrrev_b32_e64 v1, 5, s33
	v_and_b32_e32 v34, 2, v6
	v_mov_b32_e32 v9, 0
	v_lshrrev_b32_e64 v35, 5, s33
	v_mov_b32_e32 v10, 2
	v_subrev_nc_u32_e32 v28, v1, v0
	v_and_b32_e32 v0, -3, v6
	v_mov_b32_e32 v1, v7
	v_mov_b32_e32 v11, 1
	s_mov_b32 s15, 0
	v_ashrrev_i32_e32 v29, 31, v28
	s_mov_b32 s14, 0
	s_branch .LBB1_31
.LBB1_30:                               ;   in Loop: Header=BB1_31 Depth=1
	s_or_b32 exec_lo, exec_lo, s12
	v_sub_co_u32 v28, vcc_lo, v28, v36
	v_sub_co_ci_u32_e64 v29, null, v29, v26, vcc_lo
	v_add_nc_u32_e32 v35, v35, v36
	v_cmp_eq_u64_e32 vcc_lo, 0, v[28:29]
	s_or_b32 s14, vcc_lo, s14
	s_andn2_b32 exec_lo, exec_lo, s14
	s_cbranch_execz .LBB1_114
.LBB1_31:                               ; =>This Loop Header: Depth=1
                                        ;     Child Loop BB1_34 Depth 2
                                        ;     Child Loop BB1_42 Depth 2
	;; [unrolled: 1-line block ×11, first 2 shown]
	v_cmp_gt_u64_e32 vcc_lo, 56, v[28:29]
	v_add_nc_u32_e32 v14, 8, v35
	s_mov_b32 s5, exec_lo
	v_cndmask_b32_e32 v36, 56, v28, vcc_lo
	v_cmpx_gt_u64_e32 8, v[28:29]
	s_xor_b32 s5, exec_lo, s5
	s_cbranch_execz .LBB1_37
; %bb.32:                               ;   in Loop: Header=BB1_31 Depth=1
	v_mov_b32_e32 v2, 0
	v_mov_b32_e32 v3, 0
	s_mov_b32 s12, exec_lo
	v_cmpx_ne_u64_e32 0, v[28:29]
	s_cbranch_execz .LBB1_36
; %bb.33:                               ;   in Loop: Header=BB1_31 Depth=1
	v_mov_b32_e32 v2, 0
	v_mov_b32_e32 v3, 0
	s_mov_b64 s[10:11], 0
	s_mov_b32 s13, 0
	s_mov_b32 s16, 0
	.p2align	6
.LBB1_34:                               ;   Parent Loop BB1_31 Depth=1
                                        ; =>  This Inner Loop Header: Depth=2
	v_add_nc_u32_e32 v8, s16, v35
	v_mov_b32_e32 v13, s15
	s_add_i32 s16, s16, 1
	v_cmp_eq_u32_e64 s4, s16, v36
	buffer_load_ubyte v8, v8, s[0:3], 0 offen
	s_waitcnt vmcnt(0)
	v_and_b32_e32 v12, 0xffff, v8
	v_lshlrev_b64 v[12:13], s10, v[12:13]
	s_add_u32 s10, s10, 8
	s_addc_u32 s11, s11, 0
	s_or_b32 s13, s4, s13
	v_or_b32_e32 v3, v13, v3
	v_or_b32_e32 v2, v12, v2
	s_andn2_b32 exec_lo, exec_lo, s13
	s_cbranch_execnz .LBB1_34
; %bb.35:                               ;   in Loop: Header=BB1_31 Depth=1
	s_or_b32 exec_lo, exec_lo, s13
.LBB1_36:                               ;   in Loop: Header=BB1_31 Depth=1
	s_or_b32 exec_lo, exec_lo, s12
	v_mov_b32_e32 v14, v35
.LBB1_37:                               ;   in Loop: Header=BB1_31 Depth=1
	s_or_saveexec_b32 s4, s5
	v_mov_b32_e32 v15, 0
	s_xor_b32 exec_lo, exec_lo, s4
	s_cbranch_execz .LBB1_39
; %bb.38:                               ;   in Loop: Header=BB1_31 Depth=1
	s_clause 0x1
	buffer_load_dword v2, v35, s[0:3], 0 offen
	buffer_load_dword v3, v35, s[0:3], 0 offen offset:4
	v_add_nc_u32_e32 v15, -8, v36
.LBB1_39:                               ;   in Loop: Header=BB1_31 Depth=1
	s_or_b32 exec_lo, exec_lo, s4
	v_add_nc_u32_e32 v8, 8, v14
	s_mov_b32 s5, exec_lo
                                        ; implicit-def: $vgpr12_vgpr13
	v_cmpx_gt_u32_e32 8, v15
	s_xor_b32 s5, exec_lo, s5
	s_cbranch_execz .LBB1_45
; %bb.40:                               ;   in Loop: Header=BB1_31 Depth=1
	v_mov_b32_e32 v12, 0
	v_mov_b32_e32 v13, 0
	s_mov_b32 s12, exec_lo
	v_cmpx_ne_u32_e32 0, v15
	s_cbranch_execz .LBB1_44
; %bb.41:                               ;   in Loop: Header=BB1_31 Depth=1
	v_mov_b32_e32 v12, 0
	v_mov_b32_e32 v13, 0
	s_mov_b64 s[10:11], 0
	s_mov_b32 s13, 0
	s_mov_b32 s16, 0
	.p2align	6
.LBB1_42:                               ;   Parent Loop BB1_31 Depth=1
                                        ; =>  This Inner Loop Header: Depth=2
	v_add_nc_u32_e32 v8, s16, v14
	v_mov_b32_e32 v17, s15
	s_add_i32 s16, s16, 1
	v_cmp_eq_u32_e64 s4, s16, v15
	buffer_load_ubyte v8, v8, s[0:3], 0 offen
	s_waitcnt vmcnt(0)
	v_and_b32_e32 v16, 0xffff, v8
	v_lshlrev_b64 v[16:17], s10, v[16:17]
	s_add_u32 s10, s10, 8
	s_addc_u32 s11, s11, 0
	s_or_b32 s13, s4, s13
	v_or_b32_e32 v13, v17, v13
	v_or_b32_e32 v12, v16, v12
	s_andn2_b32 exec_lo, exec_lo, s13
	s_cbranch_execnz .LBB1_42
; %bb.43:                               ;   in Loop: Header=BB1_31 Depth=1
	s_or_b32 exec_lo, exec_lo, s13
.LBB1_44:                               ;   in Loop: Header=BB1_31 Depth=1
	s_or_b32 exec_lo, exec_lo, s12
	v_mov_b32_e32 v8, v14
                                        ; implicit-def: $vgpr15
.LBB1_45:                               ;   in Loop: Header=BB1_31 Depth=1
	s_or_saveexec_b32 s4, s5
	v_mov_b32_e32 v16, 0
	s_xor_b32 exec_lo, exec_lo, s4
	s_cbranch_execz .LBB1_47
; %bb.46:                               ;   in Loop: Header=BB1_31 Depth=1
	s_clause 0x1
	buffer_load_dword v12, v14, s[0:3], 0 offen
	buffer_load_dword v13, v14, s[0:3], 0 offen offset:4
	v_add_nc_u32_e32 v16, -8, v15
.LBB1_47:                               ;   in Loop: Header=BB1_31 Depth=1
	s_or_b32 exec_lo, exec_lo, s4
	v_add_nc_u32_e32 v18, 8, v8
	s_mov_b32 s5, exec_lo
	v_cmpx_gt_u32_e32 8, v16
	s_xor_b32 s5, exec_lo, s5
	s_cbranch_execz .LBB1_53
; %bb.48:                               ;   in Loop: Header=BB1_31 Depth=1
	v_mov_b32_e32 v14, 0
	v_mov_b32_e32 v15, 0
	s_mov_b32 s12, exec_lo
	v_cmpx_ne_u32_e32 0, v16
	s_cbranch_execz .LBB1_52
; %bb.49:                               ;   in Loop: Header=BB1_31 Depth=1
	v_mov_b32_e32 v14, 0
	v_mov_b32_e32 v15, 0
	s_mov_b64 s[10:11], 0
	s_mov_b32 s13, 0
	s_mov_b32 s16, 0
	.p2align	6
.LBB1_50:                               ;   Parent Loop BB1_31 Depth=1
                                        ; =>  This Inner Loop Header: Depth=2
	v_add_nc_u32_e32 v17, s16, v8
	v_mov_b32_e32 v18, s15
	s_add_i32 s16, s16, 1
	v_cmp_eq_u32_e64 s4, s16, v16
	buffer_load_ubyte v17, v17, s[0:3], 0 offen
	s_waitcnt vmcnt(0)
	v_and_b32_e32 v17, 0xffff, v17
	v_lshlrev_b64 v[17:18], s10, v[17:18]
	s_add_u32 s10, s10, 8
	s_addc_u32 s11, s11, 0
	s_or_b32 s13, s4, s13
	v_or_b32_e32 v15, v18, v15
	v_or_b32_e32 v14, v17, v14
	s_andn2_b32 exec_lo, exec_lo, s13
	s_cbranch_execnz .LBB1_50
; %bb.51:                               ;   in Loop: Header=BB1_31 Depth=1
	s_or_b32 exec_lo, exec_lo, s13
.LBB1_52:                               ;   in Loop: Header=BB1_31 Depth=1
	s_or_b32 exec_lo, exec_lo, s12
	v_mov_b32_e32 v18, v8
                                        ; implicit-def: $vgpr16
.LBB1_53:                               ;   in Loop: Header=BB1_31 Depth=1
	s_or_saveexec_b32 s4, s5
	v_mov_b32_e32 v19, 0
	s_xor_b32 exec_lo, exec_lo, s4
	s_cbranch_execz .LBB1_55
; %bb.54:                               ;   in Loop: Header=BB1_31 Depth=1
	s_clause 0x1
	buffer_load_dword v14, v8, s[0:3], 0 offen
	buffer_load_dword v15, v8, s[0:3], 0 offen offset:4
	v_add_nc_u32_e32 v19, -8, v16
.LBB1_55:                               ;   in Loop: Header=BB1_31 Depth=1
	s_or_b32 exec_lo, exec_lo, s4
	v_add_nc_u32_e32 v8, 8, v18
	s_mov_b32 s5, exec_lo
                                        ; implicit-def: $vgpr16_vgpr17
	v_cmpx_gt_u32_e32 8, v19
	s_xor_b32 s5, exec_lo, s5
	s_cbranch_execz .LBB1_61
; %bb.56:                               ;   in Loop: Header=BB1_31 Depth=1
	v_mov_b32_e32 v16, 0
	v_mov_b32_e32 v17, 0
	s_mov_b32 s12, exec_lo
	v_cmpx_ne_u32_e32 0, v19
	s_cbranch_execz .LBB1_60
; %bb.57:                               ;   in Loop: Header=BB1_31 Depth=1
	v_mov_b32_e32 v16, 0
	v_mov_b32_e32 v17, 0
	s_mov_b64 s[10:11], 0
	s_mov_b32 s13, 0
	s_mov_b32 s16, 0
	.p2align	6
.LBB1_58:                               ;   Parent Loop BB1_31 Depth=1
                                        ; =>  This Inner Loop Header: Depth=2
	v_add_nc_u32_e32 v8, s16, v18
	v_mov_b32_e32 v21, s15
	s_add_i32 s16, s16, 1
	v_cmp_eq_u32_e64 s4, s16, v19
	buffer_load_ubyte v8, v8, s[0:3], 0 offen
	s_waitcnt vmcnt(0)
	v_and_b32_e32 v20, 0xffff, v8
	v_lshlrev_b64 v[20:21], s10, v[20:21]
	s_add_u32 s10, s10, 8
	s_addc_u32 s11, s11, 0
	s_or_b32 s13, s4, s13
	v_or_b32_e32 v17, v21, v17
	v_or_b32_e32 v16, v20, v16
	s_andn2_b32 exec_lo, exec_lo, s13
	s_cbranch_execnz .LBB1_58
; %bb.59:                               ;   in Loop: Header=BB1_31 Depth=1
	s_or_b32 exec_lo, exec_lo, s13
.LBB1_60:                               ;   in Loop: Header=BB1_31 Depth=1
	s_or_b32 exec_lo, exec_lo, s12
	v_mov_b32_e32 v8, v18
                                        ; implicit-def: $vgpr19
.LBB1_61:                               ;   in Loop: Header=BB1_31 Depth=1
	s_or_saveexec_b32 s4, s5
	v_mov_b32_e32 v20, 0
	s_xor_b32 exec_lo, exec_lo, s4
	s_cbranch_execz .LBB1_63
; %bb.62:                               ;   in Loop: Header=BB1_31 Depth=1
	s_clause 0x1
	buffer_load_dword v16, v18, s[0:3], 0 offen
	buffer_load_dword v17, v18, s[0:3], 0 offen offset:4
	v_add_nc_u32_e32 v20, -8, v19
.LBB1_63:                               ;   in Loop: Header=BB1_31 Depth=1
	s_or_b32 exec_lo, exec_lo, s4
	v_add_nc_u32_e32 v22, 8, v8
	s_mov_b32 s5, exec_lo
	v_cmpx_gt_u32_e32 8, v20
	s_xor_b32 s5, exec_lo, s5
	s_cbranch_execz .LBB1_69
; %bb.64:                               ;   in Loop: Header=BB1_31 Depth=1
	v_mov_b32_e32 v18, 0
	v_mov_b32_e32 v19, 0
	s_mov_b32 s12, exec_lo
	v_cmpx_ne_u32_e32 0, v20
	s_cbranch_execz .LBB1_68
; %bb.65:                               ;   in Loop: Header=BB1_31 Depth=1
	v_mov_b32_e32 v18, 0
	v_mov_b32_e32 v19, 0
	s_mov_b64 s[10:11], 0
	s_mov_b32 s13, 0
	s_mov_b32 s16, 0
	.p2align	6
.LBB1_66:                               ;   Parent Loop BB1_31 Depth=1
                                        ; =>  This Inner Loop Header: Depth=2
	v_add_nc_u32_e32 v21, s16, v8
	v_mov_b32_e32 v22, s15
	s_add_i32 s16, s16, 1
	v_cmp_eq_u32_e64 s4, s16, v20
	buffer_load_ubyte v21, v21, s[0:3], 0 offen
	s_waitcnt vmcnt(0)
	v_and_b32_e32 v21, 0xffff, v21
	v_lshlrev_b64 v[21:22], s10, v[21:22]
	s_add_u32 s10, s10, 8
	s_addc_u32 s11, s11, 0
	s_or_b32 s13, s4, s13
	v_or_b32_e32 v19, v22, v19
	v_or_b32_e32 v18, v21, v18
	s_andn2_b32 exec_lo, exec_lo, s13
	s_cbranch_execnz .LBB1_66
; %bb.67:                               ;   in Loop: Header=BB1_31 Depth=1
	s_or_b32 exec_lo, exec_lo, s13
.LBB1_68:                               ;   in Loop: Header=BB1_31 Depth=1
	s_or_b32 exec_lo, exec_lo, s12
	v_mov_b32_e32 v22, v8
                                        ; implicit-def: $vgpr20
.LBB1_69:                               ;   in Loop: Header=BB1_31 Depth=1
	s_or_saveexec_b32 s4, s5
	v_mov_b32_e32 v23, 0
	s_xor_b32 exec_lo, exec_lo, s4
	s_cbranch_execz .LBB1_71
; %bb.70:                               ;   in Loop: Header=BB1_31 Depth=1
	s_clause 0x1
	buffer_load_dword v18, v8, s[0:3], 0 offen
	buffer_load_dword v19, v8, s[0:3], 0 offen offset:4
	v_add_nc_u32_e32 v23, -8, v20
.LBB1_71:                               ;   in Loop: Header=BB1_31 Depth=1
	s_or_b32 exec_lo, exec_lo, s4
	v_add_nc_u32_e32 v8, 8, v22
	s_mov_b32 s5, exec_lo
                                        ; implicit-def: $vgpr20_vgpr21
	v_cmpx_gt_u32_e32 8, v23
	s_xor_b32 s5, exec_lo, s5
	s_cbranch_execz .LBB1_77
; %bb.72:                               ;   in Loop: Header=BB1_31 Depth=1
	v_mov_b32_e32 v20, 0
	v_mov_b32_e32 v21, 0
	s_mov_b32 s12, exec_lo
	v_cmpx_ne_u32_e32 0, v23
	s_cbranch_execz .LBB1_76
; %bb.73:                               ;   in Loop: Header=BB1_31 Depth=1
	v_mov_b32_e32 v20, 0
	v_mov_b32_e32 v21, 0
	s_mov_b64 s[10:11], 0
	s_mov_b32 s13, 0
	s_mov_b32 s16, 0
	.p2align	6
.LBB1_74:                               ;   Parent Loop BB1_31 Depth=1
                                        ; =>  This Inner Loop Header: Depth=2
	v_add_nc_u32_e32 v8, s16, v22
	v_mov_b32_e32 v25, s15
	s_add_i32 s16, s16, 1
	v_cmp_eq_u32_e64 s4, s16, v23
	buffer_load_ubyte v8, v8, s[0:3], 0 offen
	s_waitcnt vmcnt(0)
	v_and_b32_e32 v24, 0xffff, v8
	v_lshlrev_b64 v[24:25], s10, v[24:25]
	s_add_u32 s10, s10, 8
	s_addc_u32 s11, s11, 0
	s_or_b32 s13, s4, s13
	v_or_b32_e32 v21, v25, v21
	v_or_b32_e32 v20, v24, v20
	s_andn2_b32 exec_lo, exec_lo, s13
	s_cbranch_execnz .LBB1_74
; %bb.75:                               ;   in Loop: Header=BB1_31 Depth=1
	s_or_b32 exec_lo, exec_lo, s13
.LBB1_76:                               ;   in Loop: Header=BB1_31 Depth=1
	s_or_b32 exec_lo, exec_lo, s12
	v_mov_b32_e32 v8, v22
                                        ; implicit-def: $vgpr23
.LBB1_77:                               ;   in Loop: Header=BB1_31 Depth=1
	s_or_saveexec_b32 s4, s5
	v_mov_b32_e32 v24, 0
	s_xor_b32 exec_lo, exec_lo, s4
	s_cbranch_execz .LBB1_79
; %bb.78:                               ;   in Loop: Header=BB1_31 Depth=1
	s_clause 0x1
	buffer_load_dword v20, v22, s[0:3], 0 offen
	buffer_load_dword v21, v22, s[0:3], 0 offen offset:4
	v_add_nc_u32_e32 v24, -8, v23
.LBB1_79:                               ;   in Loop: Header=BB1_31 Depth=1
	s_or_b32 exec_lo, exec_lo, s4
	s_mov_b32 s5, exec_lo
	v_cmpx_gt_u32_e32 8, v24
	s_xor_b32 s5, exec_lo, s5
	s_cbranch_execz .LBB1_85
; %bb.80:                               ;   in Loop: Header=BB1_31 Depth=1
	v_mov_b32_e32 v22, 0
	v_mov_b32_e32 v23, 0
	s_mov_b32 s12, exec_lo
	v_cmpx_ne_u32_e32 0, v24
	s_cbranch_execz .LBB1_84
; %bb.81:                               ;   in Loop: Header=BB1_31 Depth=1
	v_mov_b32_e32 v22, 0
	v_mov_b32_e32 v23, 0
	s_mov_b64 s[10:11], 0
	s_mov_b32 s13, 0
	.p2align	6
.LBB1_82:                               ;   Parent Loop BB1_31 Depth=1
                                        ; =>  This Inner Loop Header: Depth=2
	buffer_load_ubyte v25, v8, s[0:3], 0 offen
	v_mov_b32_e32 v26, s15
	v_add_nc_u32_e32 v24, -1, v24
	v_add_nc_u32_e32 v8, 1, v8
	v_cmp_eq_u32_e64 s4, 0, v24
	s_waitcnt vmcnt(0)
	v_and_b32_e32 v25, 0xffff, v25
	v_lshlrev_b64 v[25:26], s10, v[25:26]
	s_add_u32 s10, s10, 8
	s_addc_u32 s11, s11, 0
	s_or_b32 s13, s4, s13
	v_or_b32_e32 v23, v26, v23
	v_or_b32_e32 v22, v25, v22
	s_andn2_b32 exec_lo, exec_lo, s13
	s_cbranch_execnz .LBB1_82
; %bb.83:                               ;   in Loop: Header=BB1_31 Depth=1
	s_or_b32 exec_lo, exec_lo, s13
.LBB1_84:                               ;   in Loop: Header=BB1_31 Depth=1
	s_or_b32 exec_lo, exec_lo, s12
                                        ; implicit-def: $vgpr8
.LBB1_85:                               ;   in Loop: Header=BB1_31 Depth=1
	s_andn2_saveexec_b32 s4, s5
	s_cbranch_execz .LBB1_87
; %bb.86:                               ;   in Loop: Header=BB1_31 Depth=1
	s_clause 0x1
	buffer_load_dword v22, v8, s[0:3], 0 offen
	buffer_load_dword v23, v8, s[0:3], 0 offen offset:4
.LBB1_87:                               ;   in Loop: Header=BB1_31 Depth=1
	s_or_b32 exec_lo, exec_lo, s4
	v_readfirstlane_b32 s4, v32
	v_mov_b32_e32 v30, 0
	v_mov_b32_e32 v31, 0
	v_cmp_eq_u32_e64 s4, s4, v32
	s_and_saveexec_b32 s10, s4
	s_cbranch_execz .LBB1_93
; %bb.88:                               ;   in Loop: Header=BB1_31 Depth=1
	global_load_dwordx2 v[26:27], v9, s[6:7] offset:24 glc dlc
	s_waitcnt vmcnt(0)
	buffer_gl1_inv
	buffer_gl0_inv
	s_clause 0x1
	global_load_dwordx2 v[24:25], v9, s[6:7] offset:40
	global_load_dwordx2 v[30:31], v9, s[6:7]
	s_mov_b32 s11, exec_lo
	s_waitcnt vmcnt(1)
	v_and_b32_e32 v8, v25, v27
	v_and_b32_e32 v24, v24, v26
	v_mul_lo_u32 v8, v8, 24
	v_mul_hi_u32 v25, v24, 24
	v_mul_lo_u32 v24, v24, 24
	v_add_nc_u32_e32 v8, v25, v8
	s_waitcnt vmcnt(0)
	v_add_co_u32 v24, s5, v30, v24
	v_add_co_ci_u32_e64 v25, null, v31, v8, s5
	global_load_dwordx2 v[24:25], v[24:25], off glc dlc
	s_waitcnt vmcnt(0)
	global_atomic_cmpswap_x2 v[30:31], v9, v[24:27], s[6:7] offset:24 glc
	s_waitcnt vmcnt(0)
	buffer_gl1_inv
	buffer_gl0_inv
	v_cmpx_ne_u64_e64 v[30:31], v[26:27]
	s_cbranch_execz .LBB1_92
; %bb.89:                               ;   in Loop: Header=BB1_31 Depth=1
	s_mov_b32 s12, 0
	.p2align	6
.LBB1_90:                               ;   Parent Loop BB1_31 Depth=1
                                        ; =>  This Inner Loop Header: Depth=2
	s_sleep 1
	s_clause 0x1
	global_load_dwordx2 v[24:25], v9, s[6:7] offset:40
	global_load_dwordx2 v[37:38], v9, s[6:7]
	v_mov_b32_e32 v26, v30
	v_mov_b32_e32 v27, v31
	s_waitcnt vmcnt(1)
	v_and_b32_e32 v8, v24, v26
	v_and_b32_e32 v24, v25, v27
	s_waitcnt vmcnt(0)
	v_mad_u64_u32 v[30:31], null, v8, 24, v[37:38]
	v_mov_b32_e32 v8, v31
	v_mad_u64_u32 v[24:25], null, v24, 24, v[8:9]
	v_mov_b32_e32 v31, v24
	global_load_dwordx2 v[24:25], v[30:31], off glc dlc
	s_waitcnt vmcnt(0)
	global_atomic_cmpswap_x2 v[30:31], v9, v[24:27], s[6:7] offset:24 glc
	s_waitcnt vmcnt(0)
	buffer_gl1_inv
	buffer_gl0_inv
	v_cmp_eq_u64_e64 s5, v[30:31], v[26:27]
	s_or_b32 s12, s5, s12
	s_andn2_b32 exec_lo, exec_lo, s12
	s_cbranch_execnz .LBB1_90
; %bb.91:                               ;   in Loop: Header=BB1_31 Depth=1
	s_or_b32 exec_lo, exec_lo, s12
.LBB1_92:                               ;   in Loop: Header=BB1_31 Depth=1
	s_or_b32 exec_lo, exec_lo, s11
.LBB1_93:                               ;   in Loop: Header=BB1_31 Depth=1
	s_or_b32 exec_lo, exec_lo, s10
	s_clause 0x1
	global_load_dwordx2 v[37:38], v9, s[6:7] offset:40
	global_load_dwordx4 v[24:27], v9, s[6:7]
	v_readfirstlane_b32 s11, v31
	v_readfirstlane_b32 s10, v30
	s_mov_b32 s16, exec_lo
	s_waitcnt vmcnt(1)
	v_readfirstlane_b32 s12, v37
	v_readfirstlane_b32 s13, v38
	s_and_b64 s[12:13], s[12:13], s[10:11]
	s_mul_i32 s5, s13, 24
	s_mul_hi_u32 s17, s12, 24
	s_mul_i32 s18, s12, 24
	s_add_i32 s17, s17, s5
	s_waitcnt vmcnt(0)
	v_add_co_u32 v30, s5, v24, s18
	v_add_co_ci_u32_e64 v31, null, s17, v25, s5
	s_and_saveexec_b32 s5, s4
	s_cbranch_execz .LBB1_95
; %bb.94:                               ;   in Loop: Header=BB1_31 Depth=1
	v_mov_b32_e32 v8, s16
	global_store_dwordx4 v[30:31], v[8:11], off offset:8
.LBB1_95:                               ;   in Loop: Header=BB1_31 Depth=1
	s_or_b32 exec_lo, exec_lo, s5
	v_cmp_gt_u64_e64 s5, 57, v[28:29]
	v_and_b32_e32 v0, 0xffffff1f, v0
	s_lshl_b64 s[12:13], s[12:13], 12
	v_cndmask_b32_e64 v8, 0, v34, s5
	v_add_co_u32 v37, s5, v26, s12
	v_add_co_ci_u32_e64 v27, null, s13, v27, s5
	v_lshl_add_u32 v26, v36, 2, 28
	v_or_b32_e32 v0, v0, v8
	v_readfirstlane_b32 s12, v37
	v_readfirstlane_b32 s13, v27
	v_and_or_b32 v0, 0x1e0, v26, v0
	v_cndmask_b32_e32 v26, 0, v29, vcc_lo
	global_store_dwordx4 v33, v[12:15], s[12:13] offset:16
	global_store_dwordx4 v33, v[0:3], s[12:13]
	global_store_dwordx4 v33, v[16:19], s[12:13] offset:32
	global_store_dwordx4 v33, v[20:23], s[12:13] offset:48
	s_and_saveexec_b32 s5, s4
	s_cbranch_execz .LBB1_103
; %bb.96:                               ;   in Loop: Header=BB1_31 Depth=1
	s_clause 0x1
	global_load_dwordx2 v[16:17], v9, s[6:7] offset:32 glc dlc
	global_load_dwordx2 v[0:1], v9, s[6:7] offset:40
	v_mov_b32_e32 v14, s10
	v_mov_b32_e32 v15, s11
	s_waitcnt vmcnt(0)
	v_readfirstlane_b32 s12, v0
	v_readfirstlane_b32 s13, v1
	s_and_b64 s[12:13], s[12:13], s[10:11]
	s_mul_i32 s13, s13, 24
	s_mul_hi_u32 s16, s12, 24
	s_mul_i32 s12, s12, 24
	s_add_i32 s16, s16, s13
	v_add_co_u32 v12, vcc_lo, v24, s12
	v_add_co_ci_u32_e64 v13, null, s16, v25, vcc_lo
	s_mov_b32 s12, exec_lo
	global_store_dwordx2 v[12:13], v[16:17], off
	s_waitcnt_vscnt null, 0x0
	global_atomic_cmpswap_x2 v[2:3], v9, v[14:17], s[6:7] offset:32 glc
	s_waitcnt vmcnt(0)
	v_cmpx_ne_u64_e64 v[2:3], v[16:17]
	s_cbranch_execz .LBB1_99
; %bb.97:                               ;   in Loop: Header=BB1_31 Depth=1
	s_mov_b32 s13, 0
.LBB1_98:                               ;   Parent Loop BB1_31 Depth=1
                                        ; =>  This Inner Loop Header: Depth=2
	v_mov_b32_e32 v0, s10
	v_mov_b32_e32 v1, s11
	s_sleep 1
	global_store_dwordx2 v[12:13], v[2:3], off
	s_waitcnt_vscnt null, 0x0
	global_atomic_cmpswap_x2 v[0:1], v9, v[0:3], s[6:7] offset:32 glc
	s_waitcnt vmcnt(0)
	v_cmp_eq_u64_e32 vcc_lo, v[0:1], v[2:3]
	v_mov_b32_e32 v3, v1
	v_mov_b32_e32 v2, v0
	s_or_b32 s13, vcc_lo, s13
	s_andn2_b32 exec_lo, exec_lo, s13
	s_cbranch_execnz .LBB1_98
.LBB1_99:                               ;   in Loop: Header=BB1_31 Depth=1
	s_or_b32 exec_lo, exec_lo, s12
	global_load_dwordx2 v[0:1], v9, s[6:7] offset:16
	s_mov_b32 s13, exec_lo
	s_mov_b32 s12, exec_lo
	v_mbcnt_lo_u32_b32 v2, s13, 0
	v_cmpx_eq_u32_e32 0, v2
	s_cbranch_execz .LBB1_101
; %bb.100:                              ;   in Loop: Header=BB1_31 Depth=1
	s_bcnt1_i32_b32 s13, s13
	v_mov_b32_e32 v8, s13
	s_waitcnt vmcnt(0)
	global_atomic_add_x2 v[0:1], v[8:9], off offset:8
.LBB1_101:                              ;   in Loop: Header=BB1_31 Depth=1
	s_or_b32 exec_lo, exec_lo, s12
	s_waitcnt vmcnt(0)
	global_load_dwordx2 v[2:3], v[0:1], off offset:16
	s_waitcnt vmcnt(0)
	v_cmp_eq_u64_e32 vcc_lo, 0, v[2:3]
	s_cbranch_vccnz .LBB1_103
; %bb.102:                              ;   in Loop: Header=BB1_31 Depth=1
	global_load_dword v8, v[0:1], off offset:24
	s_waitcnt vmcnt(0)
	v_readfirstlane_b32 s12, v8
	s_waitcnt_vscnt null, 0x0
	global_store_dwordx2 v[2:3], v[8:9], off
	s_and_b32 m0, s12, 0x7fffff
	s_sendmsg sendmsg(MSG_INTERRUPT)
.LBB1_103:                              ;   in Loop: Header=BB1_31 Depth=1
	s_or_b32 exec_lo, exec_lo, s5
	v_add_co_u32 v0, vcc_lo, v37, v33
	v_add_co_ci_u32_e64 v1, null, 0, v27, vcc_lo
	s_branch .LBB1_107
	.p2align	6
.LBB1_104:                              ;   in Loop: Header=BB1_107 Depth=2
	s_or_b32 exec_lo, exec_lo, s5
	v_readfirstlane_b32 s5, v2
	s_cmp_eq_u32 s5, 0
	s_cbranch_scc1 .LBB1_106
; %bb.105:                              ;   in Loop: Header=BB1_107 Depth=2
	s_sleep 1
	s_cbranch_execnz .LBB1_107
	s_branch .LBB1_109
	.p2align	6
.LBB1_106:                              ;   in Loop: Header=BB1_31 Depth=1
	s_branch .LBB1_109
.LBB1_107:                              ;   Parent Loop BB1_31 Depth=1
                                        ; =>  This Inner Loop Header: Depth=2
	v_mov_b32_e32 v2, 1
	s_and_saveexec_b32 s5, s4
	s_cbranch_execz .LBB1_104
; %bb.108:                              ;   in Loop: Header=BB1_107 Depth=2
	global_load_dword v2, v[30:31], off offset:20 glc dlc
	s_waitcnt vmcnt(0)
	buffer_gl1_inv
	buffer_gl0_inv
	v_and_b32_e32 v2, 1, v2
	s_branch .LBB1_104
.LBB1_109:                              ;   in Loop: Header=BB1_31 Depth=1
	global_load_dwordx2 v[0:1], v[0:1], off
	s_and_saveexec_b32 s12, s4
	s_cbranch_execz .LBB1_30
; %bb.110:                              ;   in Loop: Header=BB1_31 Depth=1
	s_clause 0x2
	global_load_dwordx2 v[2:3], v9, s[6:7] offset:40
	global_load_dwordx2 v[16:17], v9, s[6:7] offset:24 glc dlc
	global_load_dwordx2 v[12:13], v9, s[6:7]
	s_waitcnt vmcnt(2)
	v_readfirstlane_b32 s16, v2
	v_readfirstlane_b32 s17, v3
	s_add_u32 s13, s16, 1
	s_addc_u32 s18, s17, 0
	s_add_u32 s4, s13, s10
	s_addc_u32 s5, s18, s11
	s_cmp_eq_u64 s[4:5], 0
	s_cselect_b32 s5, s18, s5
	s_cselect_b32 s4, s13, s4
	v_mov_b32_e32 v15, s5
	s_and_b64 s[10:11], s[4:5], s[16:17]
	v_mov_b32_e32 v14, s4
	s_mul_i32 s11, s11, 24
	s_mul_hi_u32 s13, s10, 24
	s_mul_i32 s10, s10, 24
	s_add_i32 s13, s13, s11
	s_waitcnt vmcnt(0)
	v_add_co_u32 v2, vcc_lo, v12, s10
	v_add_co_ci_u32_e64 v3, null, s13, v13, vcc_lo
	global_store_dwordx2 v[2:3], v[16:17], off
	s_waitcnt_vscnt null, 0x0
	global_atomic_cmpswap_x2 v[14:15], v9, v[14:17], s[6:7] offset:24 glc
	s_waitcnt vmcnt(0)
	v_cmp_ne_u64_e32 vcc_lo, v[14:15], v[16:17]
	s_and_b32 exec_lo, exec_lo, vcc_lo
	s_cbranch_execz .LBB1_30
; %bb.111:                              ;   in Loop: Header=BB1_31 Depth=1
	s_mov_b32 s10, 0
.LBB1_112:                              ;   Parent Loop BB1_31 Depth=1
                                        ; =>  This Inner Loop Header: Depth=2
	v_mov_b32_e32 v12, s4
	v_mov_b32_e32 v13, s5
	s_sleep 1
	global_store_dwordx2 v[2:3], v[14:15], off
	s_waitcnt_vscnt null, 0x0
	global_atomic_cmpswap_x2 v[12:13], v9, v[12:15], s[6:7] offset:24 glc
	s_waitcnt vmcnt(0)
	v_cmp_eq_u64_e32 vcc_lo, v[12:13], v[14:15]
	v_mov_b32_e32 v15, v13
	v_mov_b32_e32 v14, v12
	s_or_b32 s10, vcc_lo, s10
	s_andn2_b32 exec_lo, exec_lo, s10
	s_cbranch_execnz .LBB1_112
	s_branch .LBB1_30
.LBB1_113:
                                        ; implicit-def: $vgpr0_vgpr1
	s_cbranch_execnz .LBB1_115
	s_branch .LBB1_142
.LBB1_114:
	s_or_b32 exec_lo, exec_lo, s14
	s_branch .LBB1_142
.LBB1_115:
	v_readfirstlane_b32 s4, v32
	v_mov_b32_e32 v9, 0
	v_mov_b32_e32 v10, 0
	v_cmp_eq_u32_e64 s4, s4, v32
	s_and_saveexec_b32 s5, s4
	s_cbranch_execz .LBB1_121
; %bb.116:
	s_waitcnt vmcnt(0)
	v_mov_b32_e32 v0, 0
	s_mov_b32 s10, exec_lo
	global_load_dwordx2 v[11:12], v0, s[6:7] offset:24 glc dlc
	s_waitcnt vmcnt(0)
	buffer_gl1_inv
	buffer_gl0_inv
	s_clause 0x1
	global_load_dwordx2 v[1:2], v0, s[6:7] offset:40
	global_load_dwordx2 v[8:9], v0, s[6:7]
	s_waitcnt vmcnt(1)
	v_and_b32_e32 v2, v2, v12
	v_and_b32_e32 v1, v1, v11
	v_mul_lo_u32 v2, v2, 24
	v_mul_hi_u32 v3, v1, 24
	v_mul_lo_u32 v1, v1, 24
	v_add_nc_u32_e32 v2, v3, v2
	s_waitcnt vmcnt(0)
	v_add_co_u32 v1, vcc_lo, v8, v1
	v_add_co_ci_u32_e64 v2, null, v9, v2, vcc_lo
	global_load_dwordx2 v[9:10], v[1:2], off glc dlc
	s_waitcnt vmcnt(0)
	global_atomic_cmpswap_x2 v[9:10], v0, v[9:12], s[6:7] offset:24 glc
	s_waitcnt vmcnt(0)
	buffer_gl1_inv
	buffer_gl0_inv
	v_cmpx_ne_u64_e64 v[9:10], v[11:12]
	s_cbranch_execz .LBB1_120
; %bb.117:
	s_mov_b32 s11, 0
	.p2align	6
.LBB1_118:                              ; =>This Inner Loop Header: Depth=1
	s_sleep 1
	s_clause 0x1
	global_load_dwordx2 v[1:2], v0, s[6:7] offset:40
	global_load_dwordx2 v[13:14], v0, s[6:7]
	v_mov_b32_e32 v12, v10
	v_mov_b32_e32 v11, v9
	s_waitcnt vmcnt(1)
	v_and_b32_e32 v1, v1, v11
	v_and_b32_e32 v2, v2, v12
	s_waitcnt vmcnt(0)
	v_mad_u64_u32 v[8:9], null, v1, 24, v[13:14]
	v_mov_b32_e32 v1, v9
	v_mad_u64_u32 v[1:2], null, v2, 24, v[1:2]
	v_mov_b32_e32 v9, v1
	global_load_dwordx2 v[9:10], v[8:9], off glc dlc
	s_waitcnt vmcnt(0)
	global_atomic_cmpswap_x2 v[9:10], v0, v[9:12], s[6:7] offset:24 glc
	s_waitcnt vmcnt(0)
	buffer_gl1_inv
	buffer_gl0_inv
	v_cmp_eq_u64_e32 vcc_lo, v[9:10], v[11:12]
	s_or_b32 s11, vcc_lo, s11
	s_andn2_b32 exec_lo, exec_lo, s11
	s_cbranch_execnz .LBB1_118
; %bb.119:
	s_or_b32 exec_lo, exec_lo, s11
.LBB1_120:
	s_or_b32 exec_lo, exec_lo, s10
.LBB1_121:
	s_or_b32 exec_lo, exec_lo, s5
	v_mov_b32_e32 v8, 0
	v_readfirstlane_b32 s11, v10
	v_readfirstlane_b32 s10, v9
	s_mov_b32 s5, exec_lo
	s_clause 0x1
	global_load_dwordx2 v[11:12], v8, s[6:7] offset:40
	global_load_dwordx4 v[0:3], v8, s[6:7]
	s_waitcnt vmcnt(1)
	v_readfirstlane_b32 s12, v11
	v_readfirstlane_b32 s13, v12
	s_and_b64 s[12:13], s[12:13], s[10:11]
	s_mul_i32 s14, s13, 24
	s_mul_hi_u32 s15, s12, 24
	s_mul_i32 s16, s12, 24
	s_add_i32 s15, s15, s14
	s_waitcnt vmcnt(0)
	v_add_co_u32 v10, vcc_lo, v0, s16
	v_add_co_ci_u32_e64 v11, null, s15, v1, vcc_lo
	s_and_saveexec_b32 s14, s4
	s_cbranch_execz .LBB1_123
; %bb.122:
	v_mov_b32_e32 v12, s5
	v_mov_b32_e32 v13, v8
	;; [unrolled: 1-line block ×4, first 2 shown]
	global_store_dwordx4 v[10:11], v[12:15], off offset:8
.LBB1_123:
	s_or_b32 exec_lo, exec_lo, s14
	s_lshl_b64 s[12:13], s[12:13], 12
	v_and_or_b32 v6, 0xffffff1f, v6, 32
	v_add_co_u32 v2, vcc_lo, v2, s12
	v_add_co_ci_u32_e64 v3, null, s13, v3, vcc_lo
	s_mov_b32 s12, 0
	v_add_co_u32 v12, vcc_lo, v2, v33
	s_mov_b32 s15, s12
	s_mov_b32 s13, s12
	;; [unrolled: 1-line block ×3, first 2 shown]
	v_mov_b32_e32 v9, v8
	v_readfirstlane_b32 s16, v2
	v_readfirstlane_b32 s17, v3
	v_mov_b32_e32 v17, s15
	v_add_co_ci_u32_e64 v13, null, 0, v3, vcc_lo
	v_mov_b32_e32 v16, s14
	v_mov_b32_e32 v15, s13
	;; [unrolled: 1-line block ×3, first 2 shown]
	global_store_dwordx4 v33, v[6:9], s[16:17]
	global_store_dwordx4 v33, v[14:17], s[16:17] offset:16
	global_store_dwordx4 v33, v[14:17], s[16:17] offset:32
	;; [unrolled: 1-line block ×3, first 2 shown]
	s_and_saveexec_b32 s5, s4
	s_cbranch_execz .LBB1_131
; %bb.124:
	v_mov_b32_e32 v8, 0
	v_mov_b32_e32 v14, s10
	;; [unrolled: 1-line block ×3, first 2 shown]
	s_clause 0x1
	global_load_dwordx2 v[16:17], v8, s[6:7] offset:32 glc dlc
	global_load_dwordx2 v[2:3], v8, s[6:7] offset:40
	s_waitcnt vmcnt(0)
	v_readfirstlane_b32 s12, v2
	v_readfirstlane_b32 s13, v3
	s_and_b64 s[12:13], s[12:13], s[10:11]
	s_mul_i32 s13, s13, 24
	s_mul_hi_u32 s14, s12, 24
	s_mul_i32 s12, s12, 24
	s_add_i32 s14, s14, s13
	v_add_co_u32 v6, vcc_lo, v0, s12
	v_add_co_ci_u32_e64 v7, null, s14, v1, vcc_lo
	s_mov_b32 s12, exec_lo
	global_store_dwordx2 v[6:7], v[16:17], off
	s_waitcnt_vscnt null, 0x0
	global_atomic_cmpswap_x2 v[2:3], v8, v[14:17], s[6:7] offset:32 glc
	s_waitcnt vmcnt(0)
	v_cmpx_ne_u64_e64 v[2:3], v[16:17]
	s_cbranch_execz .LBB1_127
; %bb.125:
	s_mov_b32 s13, 0
.LBB1_126:                              ; =>This Inner Loop Header: Depth=1
	v_mov_b32_e32 v0, s10
	v_mov_b32_e32 v1, s11
	s_sleep 1
	global_store_dwordx2 v[6:7], v[2:3], off
	s_waitcnt_vscnt null, 0x0
	global_atomic_cmpswap_x2 v[0:1], v8, v[0:3], s[6:7] offset:32 glc
	s_waitcnt vmcnt(0)
	v_cmp_eq_u64_e32 vcc_lo, v[0:1], v[2:3]
	v_mov_b32_e32 v3, v1
	v_mov_b32_e32 v2, v0
	s_or_b32 s13, vcc_lo, s13
	s_andn2_b32 exec_lo, exec_lo, s13
	s_cbranch_execnz .LBB1_126
.LBB1_127:
	s_or_b32 exec_lo, exec_lo, s12
	v_mov_b32_e32 v3, 0
	s_mov_b32 s13, exec_lo
	s_mov_b32 s12, exec_lo
	v_mbcnt_lo_u32_b32 v2, s13, 0
	global_load_dwordx2 v[0:1], v3, s[6:7] offset:16
	v_cmpx_eq_u32_e32 0, v2
	s_cbranch_execz .LBB1_129
; %bb.128:
	s_bcnt1_i32_b32 s13, s13
	v_mov_b32_e32 v2, s13
	s_waitcnt vmcnt(0)
	global_atomic_add_x2 v[0:1], v[2:3], off offset:8
.LBB1_129:
	s_or_b32 exec_lo, exec_lo, s12
	s_waitcnt vmcnt(0)
	global_load_dwordx2 v[2:3], v[0:1], off offset:16
	s_waitcnt vmcnt(0)
	v_cmp_eq_u64_e32 vcc_lo, 0, v[2:3]
	s_cbranch_vccnz .LBB1_131
; %bb.130:
	global_load_dword v0, v[0:1], off offset:24
	v_mov_b32_e32 v1, 0
	s_waitcnt vmcnt(0)
	v_readfirstlane_b32 s12, v0
	s_waitcnt_vscnt null, 0x0
	global_store_dwordx2 v[2:3], v[0:1], off
	s_and_b32 m0, s12, 0x7fffff
	s_sendmsg sendmsg(MSG_INTERRUPT)
.LBB1_131:
	s_or_b32 exec_lo, exec_lo, s5
	s_branch .LBB1_135
	.p2align	6
.LBB1_132:                              ;   in Loop: Header=BB1_135 Depth=1
	s_or_b32 exec_lo, exec_lo, s5
	v_readfirstlane_b32 s5, v0
	s_cmp_eq_u32 s5, 0
	s_cbranch_scc1 .LBB1_134
; %bb.133:                              ;   in Loop: Header=BB1_135 Depth=1
	s_sleep 1
	s_cbranch_execnz .LBB1_135
	s_branch .LBB1_137
	.p2align	6
.LBB1_134:
	s_branch .LBB1_137
.LBB1_135:                              ; =>This Inner Loop Header: Depth=1
	v_mov_b32_e32 v0, 1
	s_and_saveexec_b32 s5, s4
	s_cbranch_execz .LBB1_132
; %bb.136:                              ;   in Loop: Header=BB1_135 Depth=1
	global_load_dword v0, v[10:11], off offset:20 glc dlc
	s_waitcnt vmcnt(0)
	buffer_gl1_inv
	buffer_gl0_inv
	v_and_b32_e32 v0, 1, v0
	s_branch .LBB1_132
.LBB1_137:
	global_load_dwordx2 v[0:1], v[12:13], off
	s_and_saveexec_b32 s12, s4
	s_cbranch_execz .LBB1_141
; %bb.138:
	v_mov_b32_e32 v10, 0
	s_clause 0x2
	global_load_dwordx2 v[2:3], v10, s[6:7] offset:40
	global_load_dwordx2 v[13:14], v10, s[6:7] offset:24 glc dlc
	global_load_dwordx2 v[6:7], v10, s[6:7]
	s_waitcnt vmcnt(2)
	v_readfirstlane_b32 s14, v2
	v_readfirstlane_b32 s15, v3
	s_add_u32 s13, s14, 1
	s_addc_u32 s16, s15, 0
	s_add_u32 s4, s13, s10
	s_addc_u32 s5, s16, s11
	s_cmp_eq_u64 s[4:5], 0
	s_cselect_b32 s5, s16, s5
	s_cselect_b32 s4, s13, s4
	v_mov_b32_e32 v12, s5
	s_and_b64 s[10:11], s[4:5], s[14:15]
	v_mov_b32_e32 v11, s4
	s_mul_i32 s11, s11, 24
	s_mul_hi_u32 s13, s10, 24
	s_mul_i32 s10, s10, 24
	s_add_i32 s13, s13, s11
	s_waitcnt vmcnt(0)
	v_add_co_u32 v2, vcc_lo, v6, s10
	v_add_co_ci_u32_e64 v3, null, s13, v7, vcc_lo
	global_store_dwordx2 v[2:3], v[13:14], off
	s_waitcnt_vscnt null, 0x0
	global_atomic_cmpswap_x2 v[8:9], v10, v[11:14], s[6:7] offset:24 glc
	s_waitcnt vmcnt(0)
	v_cmp_ne_u64_e32 vcc_lo, v[8:9], v[13:14]
	s_and_b32 exec_lo, exec_lo, vcc_lo
	s_cbranch_execz .LBB1_141
; %bb.139:
	s_mov_b32 s10, 0
.LBB1_140:                              ; =>This Inner Loop Header: Depth=1
	v_mov_b32_e32 v6, s4
	v_mov_b32_e32 v7, s5
	s_sleep 1
	global_store_dwordx2 v[2:3], v[8:9], off
	s_waitcnt_vscnt null, 0x0
	global_atomic_cmpswap_x2 v[6:7], v10, v[6:9], s[6:7] offset:24 glc
	s_waitcnt vmcnt(0)
	v_cmp_eq_u64_e32 vcc_lo, v[6:7], v[8:9]
	v_mov_b32_e32 v9, v7
	v_mov_b32_e32 v8, v6
	s_or_b32 s10, vcc_lo, s10
	s_andn2_b32 exec_lo, exec_lo, s10
	s_cbranch_execnz .LBB1_140
.LBB1_141:
	s_or_b32 exec_lo, exec_lo, s12
.LBB1_142:
	s_getpc_b64 s[10:11]
	s_add_u32 s10, s10, .str.4@rel32@lo+4
	s_addc_u32 s11, s11, .str.4@rel32@hi+12
	s_cmp_lg_u64 s[10:11], 0
	s_cbranch_scc0 .LBB1_220
; %bb.143:
	s_getpc_b64 s[4:5]
	s_add_u32 s4, s4, .str.4@rel32@lo+80
	s_addc_u32 s5, s5, .str.4@rel32@hi+88
	s_waitcnt vmcnt(0)
	v_and_b32_e32 v30, 2, v0
	v_mov_b32_e32 v11, 0
	v_and_b32_e32 v6, -3, v0
	v_mov_b32_e32 v7, v1
	v_mov_b32_e32 v12, 2
	;; [unrolled: 1-line block ×3, first 2 shown]
	s_sub_i32 s12, s4, s10
	s_ashr_i32 s13, s12, 31
	s_branch .LBB1_145
.LBB1_144:                              ;   in Loop: Header=BB1_145 Depth=1
	s_or_b32 exec_lo, exec_lo, s18
	s_sub_u32 s12, s12, s14
	s_subb_u32 s13, s13, s15
	s_add_u32 s10, s10, s14
	s_addc_u32 s11, s11, s15
	s_cmp_lg_u64 s[12:13], 0
	s_cbranch_scc0 .LBB1_221
.LBB1_145:                              ; =>This Loop Header: Depth=1
                                        ;     Child Loop BB1_148 Depth 2
                                        ;     Child Loop BB1_155 Depth 2
                                        ;     Child Loop BB1_162 Depth 2
                                        ;     Child Loop BB1_169 Depth 2
                                        ;     Child Loop BB1_176 Depth 2
                                        ;     Child Loop BB1_183 Depth 2
                                        ;     Child Loop BB1_190 Depth 2
                                        ;     Child Loop BB1_197 Depth 2
                                        ;     Child Loop BB1_205 Depth 2
                                        ;     Child Loop BB1_214 Depth 2
                                        ;     Child Loop BB1_219 Depth 2
	v_cmp_lt_u64_e64 s4, s[12:13], 56
	v_cmp_gt_u64_e64 s16, s[12:13], 7
	s_and_b32 s4, s4, exec_lo
	s_cselect_b32 s15, s13, 0
	s_cselect_b32 s14, s12, 56
	s_add_u32 s4, s10, 8
	s_addc_u32 s5, s11, 0
	s_and_b32 vcc_lo, exec_lo, s16
	s_cbranch_vccnz .LBB1_150
; %bb.146:                              ;   in Loop: Header=BB1_145 Depth=1
	v_mov_b32_e32 v8, 0
	v_mov_b32_e32 v9, 0
	s_cmp_eq_u64 s[12:13], 0
	s_cbranch_scc1 .LBB1_149
; %bb.147:                              ;   in Loop: Header=BB1_145 Depth=1
	s_lshl_b64 s[4:5], s[14:15], 3
	s_mov_b64 s[16:17], 0
	s_mov_b64 s[18:19], s[10:11]
.LBB1_148:                              ;   Parent Loop BB1_145 Depth=1
                                        ; =>  This Inner Loop Header: Depth=2
	global_load_ubyte v2, v11, s[18:19]
	s_waitcnt vmcnt(0)
	v_and_b32_e32 v10, 0xffff, v2
	v_lshlrev_b64 v[2:3], s16, v[10:11]
	s_add_u32 s16, s16, 8
	s_addc_u32 s17, s17, 0
	s_add_u32 s18, s18, 1
	s_addc_u32 s19, s19, 0
	s_cmp_lg_u32 s4, s16
	v_or_b32_e32 v8, v2, v8
	v_or_b32_e32 v9, v3, v9
	s_cbranch_scc1 .LBB1_148
.LBB1_149:                              ;   in Loop: Header=BB1_145 Depth=1
	s_mov_b64 s[4:5], s[10:11]
	s_mov_b32 s20, 0
	s_cbranch_execz .LBB1_151
	s_branch .LBB1_152
.LBB1_150:                              ;   in Loop: Header=BB1_145 Depth=1
	s_mov_b32 s20, 0
.LBB1_151:                              ;   in Loop: Header=BB1_145 Depth=1
	global_load_dwordx2 v[8:9], v11, s[10:11]
	s_add_i32 s20, s14, -8
.LBB1_152:                              ;   in Loop: Header=BB1_145 Depth=1
	s_add_u32 s16, s4, 8
	s_addc_u32 s17, s5, 0
	s_cmp_gt_u32 s20, 7
	s_cbranch_scc1 .LBB1_157
; %bb.153:                              ;   in Loop: Header=BB1_145 Depth=1
	v_mov_b32_e32 v14, 0
	v_mov_b32_e32 v15, 0
	s_cmp_eq_u32 s20, 0
	s_cbranch_scc1 .LBB1_156
; %bb.154:                              ;   in Loop: Header=BB1_145 Depth=1
	s_mov_b64 s[16:17], 0
	s_mov_b64 s[18:19], 0
.LBB1_155:                              ;   Parent Loop BB1_145 Depth=1
                                        ; =>  This Inner Loop Header: Depth=2
	s_add_u32 s22, s4, s18
	s_addc_u32 s23, s5, s19
	s_add_u32 s18, s18, 1
	global_load_ubyte v2, v11, s[22:23]
	s_addc_u32 s19, s19, 0
	s_waitcnt vmcnt(0)
	v_and_b32_e32 v10, 0xffff, v2
	v_lshlrev_b64 v[2:3], s16, v[10:11]
	s_add_u32 s16, s16, 8
	s_addc_u32 s17, s17, 0
	s_cmp_lg_u32 s20, s18
	v_or_b32_e32 v14, v2, v14
	v_or_b32_e32 v15, v3, v15
	s_cbranch_scc1 .LBB1_155
.LBB1_156:                              ;   in Loop: Header=BB1_145 Depth=1
	s_mov_b64 s[16:17], s[4:5]
	s_mov_b32 s21, 0
	s_cbranch_execz .LBB1_158
	s_branch .LBB1_159
.LBB1_157:                              ;   in Loop: Header=BB1_145 Depth=1
                                        ; implicit-def: $vgpr14_vgpr15
	s_mov_b32 s21, 0
.LBB1_158:                              ;   in Loop: Header=BB1_145 Depth=1
	global_load_dwordx2 v[14:15], v11, s[4:5]
	s_add_i32 s21, s20, -8
.LBB1_159:                              ;   in Loop: Header=BB1_145 Depth=1
	s_add_u32 s4, s16, 8
	s_addc_u32 s5, s17, 0
	s_cmp_gt_u32 s21, 7
	s_cbranch_scc1 .LBB1_164
; %bb.160:                              ;   in Loop: Header=BB1_145 Depth=1
	v_mov_b32_e32 v16, 0
	v_mov_b32_e32 v17, 0
	s_cmp_eq_u32 s21, 0
	s_cbranch_scc1 .LBB1_163
; %bb.161:                              ;   in Loop: Header=BB1_145 Depth=1
	s_mov_b64 s[4:5], 0
	s_mov_b64 s[18:19], 0
.LBB1_162:                              ;   Parent Loop BB1_145 Depth=1
                                        ; =>  This Inner Loop Header: Depth=2
	s_add_u32 s22, s16, s18
	s_addc_u32 s23, s17, s19
	s_add_u32 s18, s18, 1
	global_load_ubyte v2, v11, s[22:23]
	s_addc_u32 s19, s19, 0
	s_waitcnt vmcnt(0)
	v_and_b32_e32 v10, 0xffff, v2
	v_lshlrev_b64 v[2:3], s4, v[10:11]
	s_add_u32 s4, s4, 8
	s_addc_u32 s5, s5, 0
	s_cmp_lg_u32 s21, s18
	v_or_b32_e32 v16, v2, v16
	v_or_b32_e32 v17, v3, v17
	s_cbranch_scc1 .LBB1_162
.LBB1_163:                              ;   in Loop: Header=BB1_145 Depth=1
	s_mov_b64 s[4:5], s[16:17]
	s_mov_b32 s20, 0
	s_cbranch_execz .LBB1_165
	s_branch .LBB1_166
.LBB1_164:                              ;   in Loop: Header=BB1_145 Depth=1
	s_mov_b32 s20, 0
.LBB1_165:                              ;   in Loop: Header=BB1_145 Depth=1
	global_load_dwordx2 v[16:17], v11, s[16:17]
	s_add_i32 s20, s21, -8
.LBB1_166:                              ;   in Loop: Header=BB1_145 Depth=1
	s_add_u32 s16, s4, 8
	s_addc_u32 s17, s5, 0
	s_cmp_gt_u32 s20, 7
	s_cbranch_scc1 .LBB1_171
; %bb.167:                              ;   in Loop: Header=BB1_145 Depth=1
	v_mov_b32_e32 v18, 0
	v_mov_b32_e32 v19, 0
	s_cmp_eq_u32 s20, 0
	s_cbranch_scc1 .LBB1_170
; %bb.168:                              ;   in Loop: Header=BB1_145 Depth=1
	s_mov_b64 s[16:17], 0
	s_mov_b64 s[18:19], 0
.LBB1_169:                              ;   Parent Loop BB1_145 Depth=1
                                        ; =>  This Inner Loop Header: Depth=2
	s_add_u32 s22, s4, s18
	s_addc_u32 s23, s5, s19
	s_add_u32 s18, s18, 1
	global_load_ubyte v2, v11, s[22:23]
	s_addc_u32 s19, s19, 0
	s_waitcnt vmcnt(0)
	v_and_b32_e32 v10, 0xffff, v2
	v_lshlrev_b64 v[2:3], s16, v[10:11]
	s_add_u32 s16, s16, 8
	s_addc_u32 s17, s17, 0
	s_cmp_lg_u32 s20, s18
	v_or_b32_e32 v18, v2, v18
	v_or_b32_e32 v19, v3, v19
	s_cbranch_scc1 .LBB1_169
.LBB1_170:                              ;   in Loop: Header=BB1_145 Depth=1
	s_mov_b64 s[16:17], s[4:5]
	s_mov_b32 s21, 0
	s_cbranch_execz .LBB1_172
	s_branch .LBB1_173
.LBB1_171:                              ;   in Loop: Header=BB1_145 Depth=1
                                        ; implicit-def: $vgpr18_vgpr19
	s_mov_b32 s21, 0
.LBB1_172:                              ;   in Loop: Header=BB1_145 Depth=1
	global_load_dwordx2 v[18:19], v11, s[4:5]
	s_add_i32 s21, s20, -8
.LBB1_173:                              ;   in Loop: Header=BB1_145 Depth=1
	s_add_u32 s4, s16, 8
	s_addc_u32 s5, s17, 0
	s_cmp_gt_u32 s21, 7
	s_cbranch_scc1 .LBB1_178
; %bb.174:                              ;   in Loop: Header=BB1_145 Depth=1
	v_mov_b32_e32 v20, 0
	v_mov_b32_e32 v21, 0
	s_cmp_eq_u32 s21, 0
	s_cbranch_scc1 .LBB1_177
; %bb.175:                              ;   in Loop: Header=BB1_145 Depth=1
	s_mov_b64 s[4:5], 0
	s_mov_b64 s[18:19], 0
.LBB1_176:                              ;   Parent Loop BB1_145 Depth=1
                                        ; =>  This Inner Loop Header: Depth=2
	s_add_u32 s22, s16, s18
	s_addc_u32 s23, s17, s19
	s_add_u32 s18, s18, 1
	global_load_ubyte v2, v11, s[22:23]
	s_addc_u32 s19, s19, 0
	s_waitcnt vmcnt(0)
	v_and_b32_e32 v10, 0xffff, v2
	v_lshlrev_b64 v[2:3], s4, v[10:11]
	s_add_u32 s4, s4, 8
	s_addc_u32 s5, s5, 0
	s_cmp_lg_u32 s21, s18
	v_or_b32_e32 v20, v2, v20
	v_or_b32_e32 v21, v3, v21
	s_cbranch_scc1 .LBB1_176
.LBB1_177:                              ;   in Loop: Header=BB1_145 Depth=1
	s_mov_b64 s[4:5], s[16:17]
	s_mov_b32 s20, 0
	s_cbranch_execz .LBB1_179
	s_branch .LBB1_180
.LBB1_178:                              ;   in Loop: Header=BB1_145 Depth=1
	s_mov_b32 s20, 0
.LBB1_179:                              ;   in Loop: Header=BB1_145 Depth=1
	global_load_dwordx2 v[20:21], v11, s[16:17]
	s_add_i32 s20, s21, -8
.LBB1_180:                              ;   in Loop: Header=BB1_145 Depth=1
	s_add_u32 s16, s4, 8
	s_addc_u32 s17, s5, 0
	s_cmp_gt_u32 s20, 7
	s_cbranch_scc1 .LBB1_185
; %bb.181:                              ;   in Loop: Header=BB1_145 Depth=1
	v_mov_b32_e32 v22, 0
	v_mov_b32_e32 v23, 0
	s_cmp_eq_u32 s20, 0
	s_cbranch_scc1 .LBB1_184
; %bb.182:                              ;   in Loop: Header=BB1_145 Depth=1
	s_mov_b64 s[16:17], 0
	s_mov_b64 s[18:19], 0
.LBB1_183:                              ;   Parent Loop BB1_145 Depth=1
                                        ; =>  This Inner Loop Header: Depth=2
	s_add_u32 s22, s4, s18
	s_addc_u32 s23, s5, s19
	s_add_u32 s18, s18, 1
	global_load_ubyte v2, v11, s[22:23]
	s_addc_u32 s19, s19, 0
	s_waitcnt vmcnt(0)
	v_and_b32_e32 v10, 0xffff, v2
	v_lshlrev_b64 v[2:3], s16, v[10:11]
	s_add_u32 s16, s16, 8
	s_addc_u32 s17, s17, 0
	s_cmp_lg_u32 s20, s18
	v_or_b32_e32 v22, v2, v22
	v_or_b32_e32 v23, v3, v23
	s_cbranch_scc1 .LBB1_183
.LBB1_184:                              ;   in Loop: Header=BB1_145 Depth=1
	s_mov_b64 s[16:17], s[4:5]
	s_mov_b32 s21, 0
	s_cbranch_execz .LBB1_186
	s_branch .LBB1_187
.LBB1_185:                              ;   in Loop: Header=BB1_145 Depth=1
                                        ; implicit-def: $vgpr22_vgpr23
	s_mov_b32 s21, 0
.LBB1_186:                              ;   in Loop: Header=BB1_145 Depth=1
	global_load_dwordx2 v[22:23], v11, s[4:5]
	s_add_i32 s21, s20, -8
.LBB1_187:                              ;   in Loop: Header=BB1_145 Depth=1
	s_cmp_gt_u32 s21, 7
	s_cbranch_scc1 .LBB1_192
; %bb.188:                              ;   in Loop: Header=BB1_145 Depth=1
	v_mov_b32_e32 v24, 0
	v_mov_b32_e32 v25, 0
	s_cmp_eq_u32 s21, 0
	s_cbranch_scc1 .LBB1_191
; %bb.189:                              ;   in Loop: Header=BB1_145 Depth=1
	s_mov_b64 s[4:5], 0
	s_mov_b64 s[18:19], s[16:17]
.LBB1_190:                              ;   Parent Loop BB1_145 Depth=1
                                        ; =>  This Inner Loop Header: Depth=2
	global_load_ubyte v2, v11, s[18:19]
	s_add_i32 s21, s21, -1
	s_waitcnt vmcnt(0)
	v_and_b32_e32 v10, 0xffff, v2
	v_lshlrev_b64 v[2:3], s4, v[10:11]
	s_add_u32 s4, s4, 8
	s_addc_u32 s5, s5, 0
	s_add_u32 s18, s18, 1
	s_addc_u32 s19, s19, 0
	s_cmp_lg_u32 s21, 0
	v_or_b32_e32 v24, v2, v24
	v_or_b32_e32 v25, v3, v25
	s_cbranch_scc1 .LBB1_190
.LBB1_191:                              ;   in Loop: Header=BB1_145 Depth=1
	s_cbranch_execz .LBB1_193
	s_branch .LBB1_194
.LBB1_192:                              ;   in Loop: Header=BB1_145 Depth=1
.LBB1_193:                              ;   in Loop: Header=BB1_145 Depth=1
	global_load_dwordx2 v[24:25], v11, s[16:17]
.LBB1_194:                              ;   in Loop: Header=BB1_145 Depth=1
	v_readfirstlane_b32 s4, v32
	v_mov_b32_e32 v2, 0
	v_mov_b32_e32 v3, 0
	v_cmp_eq_u32_e64 s4, s4, v32
	s_and_saveexec_b32 s5, s4
	s_cbranch_execz .LBB1_200
; %bb.195:                              ;   in Loop: Header=BB1_145 Depth=1
	global_load_dwordx2 v[28:29], v11, s[6:7] offset:24 glc dlc
	s_waitcnt vmcnt(0)
	buffer_gl1_inv
	buffer_gl0_inv
	s_clause 0x1
	global_load_dwordx2 v[2:3], v11, s[6:7] offset:40
	global_load_dwordx2 v[26:27], v11, s[6:7]
	s_mov_b32 s16, exec_lo
	s_waitcnt vmcnt(1)
	v_and_b32_e32 v3, v3, v29
	v_and_b32_e32 v2, v2, v28
	v_mul_lo_u32 v3, v3, 24
	v_mul_hi_u32 v10, v2, 24
	v_mul_lo_u32 v2, v2, 24
	v_add_nc_u32_e32 v3, v10, v3
	s_waitcnt vmcnt(0)
	v_add_co_u32 v2, vcc_lo, v26, v2
	v_add_co_ci_u32_e64 v3, null, v27, v3, vcc_lo
	global_load_dwordx2 v[26:27], v[2:3], off glc dlc
	s_waitcnt vmcnt(0)
	global_atomic_cmpswap_x2 v[2:3], v11, v[26:29], s[6:7] offset:24 glc
	s_waitcnt vmcnt(0)
	buffer_gl1_inv
	buffer_gl0_inv
	v_cmpx_ne_u64_e64 v[2:3], v[28:29]
	s_cbranch_execz .LBB1_199
; %bb.196:                              ;   in Loop: Header=BB1_145 Depth=1
	s_mov_b32 s17, 0
	.p2align	6
.LBB1_197:                              ;   Parent Loop BB1_145 Depth=1
                                        ; =>  This Inner Loop Header: Depth=2
	s_sleep 1
	s_clause 0x1
	global_load_dwordx2 v[26:27], v11, s[6:7] offset:40
	global_load_dwordx2 v[34:35], v11, s[6:7]
	v_mov_b32_e32 v29, v3
	v_mov_b32_e32 v28, v2
	s_waitcnt vmcnt(1)
	v_and_b32_e32 v2, v26, v28
	v_and_b32_e32 v10, v27, v29
	s_waitcnt vmcnt(0)
	v_mad_u64_u32 v[2:3], null, v2, 24, v[34:35]
	v_mad_u64_u32 v[26:27], null, v10, 24, v[3:4]
	v_mov_b32_e32 v3, v26
	global_load_dwordx2 v[26:27], v[2:3], off glc dlc
	s_waitcnt vmcnt(0)
	global_atomic_cmpswap_x2 v[2:3], v11, v[26:29], s[6:7] offset:24 glc
	s_waitcnt vmcnt(0)
	buffer_gl1_inv
	buffer_gl0_inv
	v_cmp_eq_u64_e32 vcc_lo, v[2:3], v[28:29]
	s_or_b32 s17, vcc_lo, s17
	s_andn2_b32 exec_lo, exec_lo, s17
	s_cbranch_execnz .LBB1_197
; %bb.198:                              ;   in Loop: Header=BB1_145 Depth=1
	s_or_b32 exec_lo, exec_lo, s17
.LBB1_199:                              ;   in Loop: Header=BB1_145 Depth=1
	s_or_b32 exec_lo, exec_lo, s16
.LBB1_200:                              ;   in Loop: Header=BB1_145 Depth=1
	s_or_b32 exec_lo, exec_lo, s5
	s_clause 0x1
	global_load_dwordx2 v[34:35], v11, s[6:7] offset:40
	global_load_dwordx4 v[26:29], v11, s[6:7]
	v_readfirstlane_b32 s17, v3
	v_readfirstlane_b32 s16, v2
	s_mov_b32 s5, exec_lo
	s_waitcnt vmcnt(1)
	v_readfirstlane_b32 s18, v34
	v_readfirstlane_b32 s19, v35
	s_and_b64 s[18:19], s[18:19], s[16:17]
	s_mul_i32 s20, s19, 24
	s_mul_hi_u32 s21, s18, 24
	s_mul_i32 s22, s18, 24
	s_add_i32 s21, s21, s20
	s_waitcnt vmcnt(0)
	v_add_co_u32 v2, vcc_lo, v26, s22
	v_add_co_ci_u32_e64 v3, null, s21, v27, vcc_lo
	s_and_saveexec_b32 s20, s4
	s_cbranch_execz .LBB1_202
; %bb.201:                              ;   in Loop: Header=BB1_145 Depth=1
	v_mov_b32_e32 v10, s5
	global_store_dwordx4 v[2:3], v[10:13], off offset:8
.LBB1_202:                              ;   in Loop: Header=BB1_145 Depth=1
	s_or_b32 exec_lo, exec_lo, s20
	v_cmp_lt_u64_e64 vcc_lo, s[12:13], 57
	s_lshl_b64 s[18:19], s[18:19], 12
	v_and_b32_e32 v6, 0xffffff1f, v6
	s_lshl_b32 s5, s14, 2
	s_add_i32 s5, s5, 28
	v_cndmask_b32_e32 v10, 0, v30, vcc_lo
	v_add_co_u32 v28, vcc_lo, v28, s18
	v_add_co_ci_u32_e64 v29, null, s19, v29, vcc_lo
	v_or_b32_e32 v6, v6, v10
	v_readfirstlane_b32 s18, v28
	v_readfirstlane_b32 s19, v29
	v_and_or_b32 v6, 0x1e0, s5, v6
	global_store_dwordx4 v33, v[14:17], s[18:19] offset:16
	global_store_dwordx4 v33, v[6:9], s[18:19]
	global_store_dwordx4 v33, v[18:21], s[18:19] offset:32
	global_store_dwordx4 v33, v[22:25], s[18:19] offset:48
	s_and_saveexec_b32 s5, s4
	s_cbranch_execz .LBB1_210
; %bb.203:                              ;   in Loop: Header=BB1_145 Depth=1
	s_clause 0x1
	global_load_dwordx2 v[18:19], v11, s[6:7] offset:32 glc dlc
	global_load_dwordx2 v[6:7], v11, s[6:7] offset:40
	v_mov_b32_e32 v16, s16
	v_mov_b32_e32 v17, s17
	s_waitcnt vmcnt(0)
	v_readfirstlane_b32 s18, v6
	v_readfirstlane_b32 s19, v7
	s_and_b64 s[18:19], s[18:19], s[16:17]
	s_mul_i32 s19, s19, 24
	s_mul_hi_u32 s20, s18, 24
	s_mul_i32 s18, s18, 24
	s_add_i32 s20, s20, s19
	v_add_co_u32 v14, vcc_lo, v26, s18
	v_add_co_ci_u32_e64 v15, null, s20, v27, vcc_lo
	s_mov_b32 s18, exec_lo
	global_store_dwordx2 v[14:15], v[18:19], off
	s_waitcnt_vscnt null, 0x0
	global_atomic_cmpswap_x2 v[8:9], v11, v[16:19], s[6:7] offset:32 glc
	s_waitcnt vmcnt(0)
	v_cmpx_ne_u64_e64 v[8:9], v[18:19]
	s_cbranch_execz .LBB1_206
; %bb.204:                              ;   in Loop: Header=BB1_145 Depth=1
	s_mov_b32 s19, 0
.LBB1_205:                              ;   Parent Loop BB1_145 Depth=1
                                        ; =>  This Inner Loop Header: Depth=2
	v_mov_b32_e32 v6, s16
	v_mov_b32_e32 v7, s17
	s_sleep 1
	global_store_dwordx2 v[14:15], v[8:9], off
	s_waitcnt_vscnt null, 0x0
	global_atomic_cmpswap_x2 v[6:7], v11, v[6:9], s[6:7] offset:32 glc
	s_waitcnt vmcnt(0)
	v_cmp_eq_u64_e32 vcc_lo, v[6:7], v[8:9]
	v_mov_b32_e32 v9, v7
	v_mov_b32_e32 v8, v6
	s_or_b32 s19, vcc_lo, s19
	s_andn2_b32 exec_lo, exec_lo, s19
	s_cbranch_execnz .LBB1_205
.LBB1_206:                              ;   in Loop: Header=BB1_145 Depth=1
	s_or_b32 exec_lo, exec_lo, s18
	global_load_dwordx2 v[6:7], v11, s[6:7] offset:16
	s_mov_b32 s19, exec_lo
	s_mov_b32 s18, exec_lo
	v_mbcnt_lo_u32_b32 v8, s19, 0
	v_cmpx_eq_u32_e32 0, v8
	s_cbranch_execz .LBB1_208
; %bb.207:                              ;   in Loop: Header=BB1_145 Depth=1
	s_bcnt1_i32_b32 s19, s19
	v_mov_b32_e32 v10, s19
	s_waitcnt vmcnt(0)
	global_atomic_add_x2 v[6:7], v[10:11], off offset:8
.LBB1_208:                              ;   in Loop: Header=BB1_145 Depth=1
	s_or_b32 exec_lo, exec_lo, s18
	s_waitcnt vmcnt(0)
	global_load_dwordx2 v[8:9], v[6:7], off offset:16
	s_waitcnt vmcnt(0)
	v_cmp_eq_u64_e32 vcc_lo, 0, v[8:9]
	s_cbranch_vccnz .LBB1_210
; %bb.209:                              ;   in Loop: Header=BB1_145 Depth=1
	global_load_dword v10, v[6:7], off offset:24
	s_waitcnt vmcnt(0)
	v_readfirstlane_b32 s18, v10
	s_waitcnt_vscnt null, 0x0
	global_store_dwordx2 v[8:9], v[10:11], off
	s_and_b32 m0, s18, 0x7fffff
	s_sendmsg sendmsg(MSG_INTERRUPT)
.LBB1_210:                              ;   in Loop: Header=BB1_145 Depth=1
	s_or_b32 exec_lo, exec_lo, s5
	v_add_co_u32 v6, vcc_lo, v28, v33
	v_add_co_ci_u32_e64 v7, null, 0, v29, vcc_lo
	s_branch .LBB1_214
	.p2align	6
.LBB1_211:                              ;   in Loop: Header=BB1_214 Depth=2
	s_or_b32 exec_lo, exec_lo, s5
	v_readfirstlane_b32 s5, v8
	s_cmp_eq_u32 s5, 0
	s_cbranch_scc1 .LBB1_213
; %bb.212:                              ;   in Loop: Header=BB1_214 Depth=2
	s_sleep 1
	s_cbranch_execnz .LBB1_214
	s_branch .LBB1_216
	.p2align	6
.LBB1_213:                              ;   in Loop: Header=BB1_145 Depth=1
	s_branch .LBB1_216
.LBB1_214:                              ;   Parent Loop BB1_145 Depth=1
                                        ; =>  This Inner Loop Header: Depth=2
	v_mov_b32_e32 v8, 1
	s_and_saveexec_b32 s5, s4
	s_cbranch_execz .LBB1_211
; %bb.215:                              ;   in Loop: Header=BB1_214 Depth=2
	global_load_dword v8, v[2:3], off offset:20 glc dlc
	s_waitcnt vmcnt(0)
	buffer_gl1_inv
	buffer_gl0_inv
	v_and_b32_e32 v8, 1, v8
	s_branch .LBB1_211
.LBB1_216:                              ;   in Loop: Header=BB1_145 Depth=1
	global_load_dwordx2 v[6:7], v[6:7], off
	s_and_saveexec_b32 s18, s4
	s_cbranch_execz .LBB1_144
; %bb.217:                              ;   in Loop: Header=BB1_145 Depth=1
	s_clause 0x2
	global_load_dwordx2 v[2:3], v11, s[6:7] offset:40
	global_load_dwordx2 v[18:19], v11, s[6:7] offset:24 glc dlc
	global_load_dwordx2 v[8:9], v11, s[6:7]
	s_waitcnt vmcnt(2)
	v_readfirstlane_b32 s20, v2
	v_readfirstlane_b32 s21, v3
	s_add_u32 s19, s20, 1
	s_addc_u32 s22, s21, 0
	s_add_u32 s4, s19, s16
	s_addc_u32 s5, s22, s17
	s_cmp_eq_u64 s[4:5], 0
	s_cselect_b32 s5, s22, s5
	s_cselect_b32 s4, s19, s4
	v_mov_b32_e32 v17, s5
	s_and_b64 s[16:17], s[4:5], s[20:21]
	v_mov_b32_e32 v16, s4
	s_mul_i32 s17, s17, 24
	s_mul_hi_u32 s19, s16, 24
	s_mul_i32 s16, s16, 24
	s_add_i32 s19, s19, s17
	s_waitcnt vmcnt(0)
	v_add_co_u32 v2, vcc_lo, v8, s16
	v_add_co_ci_u32_e64 v3, null, s19, v9, vcc_lo
	global_store_dwordx2 v[2:3], v[18:19], off
	s_waitcnt_vscnt null, 0x0
	global_atomic_cmpswap_x2 v[16:17], v11, v[16:19], s[6:7] offset:24 glc
	s_waitcnt vmcnt(0)
	v_cmp_ne_u64_e32 vcc_lo, v[16:17], v[18:19]
	s_and_b32 exec_lo, exec_lo, vcc_lo
	s_cbranch_execz .LBB1_144
; %bb.218:                              ;   in Loop: Header=BB1_145 Depth=1
	s_mov_b32 s16, 0
.LBB1_219:                              ;   Parent Loop BB1_145 Depth=1
                                        ; =>  This Inner Loop Header: Depth=2
	v_mov_b32_e32 v14, s4
	v_mov_b32_e32 v15, s5
	s_sleep 1
	global_store_dwordx2 v[2:3], v[16:17], off
	s_waitcnt_vscnt null, 0x0
	global_atomic_cmpswap_x2 v[8:9], v11, v[14:17], s[6:7] offset:24 glc
	s_waitcnt vmcnt(0)
	v_cmp_eq_u64_e32 vcc_lo, v[8:9], v[16:17]
	v_mov_b32_e32 v17, v9
	v_mov_b32_e32 v16, v8
	s_or_b32 s16, vcc_lo, s16
	s_andn2_b32 exec_lo, exec_lo, s16
	s_cbranch_execnz .LBB1_219
	s_branch .LBB1_144
.LBB1_220:
                                        ; implicit-def: $vgpr6_vgpr7
	s_cbranch_execnz .LBB1_222
	s_branch .LBB1_249
.LBB1_221:
	s_branch .LBB1_249
.LBB1_222:
	v_readfirstlane_b32 s4, v32
	v_mov_b32_e32 v10, 0
	v_mov_b32_e32 v11, 0
	v_cmp_eq_u32_e64 s4, s4, v32
	s_and_saveexec_b32 s5, s4
	s_cbranch_execz .LBB1_228
; %bb.223:
	v_mov_b32_e32 v2, 0
	s_mov_b32 s10, exec_lo
	global_load_dwordx2 v[8:9], v2, s[6:7] offset:24 glc dlc
	s_waitcnt vmcnt(0)
	buffer_gl1_inv
	buffer_gl0_inv
	s_clause 0x1
	global_load_dwordx2 v[6:7], v2, s[6:7] offset:40
	global_load_dwordx2 v[10:11], v2, s[6:7]
	s_waitcnt vmcnt(1)
	v_and_b32_e32 v3, v7, v9
	v_and_b32_e32 v6, v6, v8
	v_mul_lo_u32 v3, v3, 24
	v_mul_hi_u32 v7, v6, 24
	v_mul_lo_u32 v6, v6, 24
	v_add_nc_u32_e32 v3, v7, v3
	s_waitcnt vmcnt(0)
	v_add_co_u32 v6, vcc_lo, v10, v6
	v_add_co_ci_u32_e64 v7, null, v11, v3, vcc_lo
	global_load_dwordx2 v[6:7], v[6:7], off glc dlc
	s_waitcnt vmcnt(0)
	global_atomic_cmpswap_x2 v[10:11], v2, v[6:9], s[6:7] offset:24 glc
	s_waitcnt vmcnt(0)
	buffer_gl1_inv
	buffer_gl0_inv
	v_cmpx_ne_u64_e64 v[10:11], v[8:9]
	s_cbranch_execz .LBB1_227
; %bb.224:
	s_mov_b32 s11, 0
	.p2align	6
.LBB1_225:                              ; =>This Inner Loop Header: Depth=1
	s_sleep 1
	s_clause 0x1
	global_load_dwordx2 v[6:7], v2, s[6:7] offset:40
	global_load_dwordx2 v[12:13], v2, s[6:7]
	v_mov_b32_e32 v8, v10
	v_mov_b32_e32 v9, v11
	s_waitcnt vmcnt(1)
	v_and_b32_e32 v3, v6, v8
	v_and_b32_e32 v6, v7, v9
	s_waitcnt vmcnt(0)
	v_mad_u64_u32 v[10:11], null, v3, 24, v[12:13]
	v_mov_b32_e32 v3, v11
	v_mad_u64_u32 v[6:7], null, v6, 24, v[3:4]
	v_mov_b32_e32 v11, v6
	global_load_dwordx2 v[6:7], v[10:11], off glc dlc
	s_waitcnt vmcnt(0)
	global_atomic_cmpswap_x2 v[10:11], v2, v[6:9], s[6:7] offset:24 glc
	s_waitcnt vmcnt(0)
	buffer_gl1_inv
	buffer_gl0_inv
	v_cmp_eq_u64_e32 vcc_lo, v[10:11], v[8:9]
	s_or_b32 s11, vcc_lo, s11
	s_andn2_b32 exec_lo, exec_lo, s11
	s_cbranch_execnz .LBB1_225
; %bb.226:
	s_or_b32 exec_lo, exec_lo, s11
.LBB1_227:
	s_or_b32 exec_lo, exec_lo, s10
.LBB1_228:
	s_or_b32 exec_lo, exec_lo, s5
	v_mov_b32_e32 v2, 0
	v_readfirstlane_b32 s11, v11
	v_readfirstlane_b32 s10, v10
	s_mov_b32 s5, exec_lo
	s_clause 0x1
	global_load_dwordx2 v[12:13], v2, s[6:7] offset:40
	global_load_dwordx4 v[6:9], v2, s[6:7]
	s_waitcnt vmcnt(1)
	v_readfirstlane_b32 s12, v12
	v_readfirstlane_b32 s13, v13
	s_and_b64 s[12:13], s[12:13], s[10:11]
	s_mul_i32 s14, s13, 24
	s_mul_hi_u32 s15, s12, 24
	s_mul_i32 s16, s12, 24
	s_add_i32 s15, s15, s14
	s_waitcnt vmcnt(0)
	v_add_co_u32 v10, vcc_lo, v6, s16
	v_add_co_ci_u32_e64 v11, null, s15, v7, vcc_lo
	s_and_saveexec_b32 s14, s4
	s_cbranch_execz .LBB1_230
; %bb.229:
	v_mov_b32_e32 v12, s5
	v_mov_b32_e32 v13, v2
	;; [unrolled: 1-line block ×4, first 2 shown]
	global_store_dwordx4 v[10:11], v[12:15], off offset:8
.LBB1_230:
	s_or_b32 exec_lo, exec_lo, s14
	s_lshl_b64 s[12:13], s[12:13], 12
	v_and_or_b32 v0, 0xffffff1f, v0, 32
	v_add_co_u32 v8, vcc_lo, v8, s12
	v_add_co_ci_u32_e64 v9, null, s13, v9, vcc_lo
	s_mov_b32 s12, 0
	v_readfirstlane_b32 s16, v8
	v_add_co_u32 v8, vcc_lo, v8, v33
	s_mov_b32 s13, s12
	s_mov_b32 s14, s12
	;; [unrolled: 1-line block ×3, first 2 shown]
	v_mov_b32_e32 v3, v2
	v_readfirstlane_b32 s17, v9
	v_mov_b32_e32 v12, s12
	v_add_co_ci_u32_e64 v9, null, 0, v9, vcc_lo
	v_mov_b32_e32 v13, s13
	v_mov_b32_e32 v14, s14
	;; [unrolled: 1-line block ×3, first 2 shown]
	global_store_dwordx4 v33, v[0:3], s[16:17]
	global_store_dwordx4 v33, v[12:15], s[16:17] offset:16
	global_store_dwordx4 v33, v[12:15], s[16:17] offset:32
	;; [unrolled: 1-line block ×3, first 2 shown]
	s_and_saveexec_b32 s5, s4
	s_cbranch_execz .LBB1_238
; %bb.231:
	v_mov_b32_e32 v12, 0
	v_mov_b32_e32 v13, s10
	;; [unrolled: 1-line block ×3, first 2 shown]
	s_clause 0x1
	global_load_dwordx2 v[15:16], v12, s[6:7] offset:32 glc dlc
	global_load_dwordx2 v[0:1], v12, s[6:7] offset:40
	s_waitcnt vmcnt(0)
	v_readfirstlane_b32 s12, v0
	v_readfirstlane_b32 s13, v1
	s_and_b64 s[12:13], s[12:13], s[10:11]
	s_mul_i32 s13, s13, 24
	s_mul_hi_u32 s14, s12, 24
	s_mul_i32 s12, s12, 24
	s_add_i32 s14, s14, s13
	v_add_co_u32 v6, vcc_lo, v6, s12
	v_add_co_ci_u32_e64 v7, null, s14, v7, vcc_lo
	s_mov_b32 s12, exec_lo
	global_store_dwordx2 v[6:7], v[15:16], off
	s_waitcnt_vscnt null, 0x0
	global_atomic_cmpswap_x2 v[2:3], v12, v[13:16], s[6:7] offset:32 glc
	s_waitcnt vmcnt(0)
	v_cmpx_ne_u64_e64 v[2:3], v[15:16]
	s_cbranch_execz .LBB1_234
; %bb.232:
	s_mov_b32 s13, 0
.LBB1_233:                              ; =>This Inner Loop Header: Depth=1
	v_mov_b32_e32 v0, s10
	v_mov_b32_e32 v1, s11
	s_sleep 1
	global_store_dwordx2 v[6:7], v[2:3], off
	s_waitcnt_vscnt null, 0x0
	global_atomic_cmpswap_x2 v[0:1], v12, v[0:3], s[6:7] offset:32 glc
	s_waitcnt vmcnt(0)
	v_cmp_eq_u64_e32 vcc_lo, v[0:1], v[2:3]
	v_mov_b32_e32 v3, v1
	v_mov_b32_e32 v2, v0
	s_or_b32 s13, vcc_lo, s13
	s_andn2_b32 exec_lo, exec_lo, s13
	s_cbranch_execnz .LBB1_233
.LBB1_234:
	s_or_b32 exec_lo, exec_lo, s12
	v_mov_b32_e32 v3, 0
	s_mov_b32 s13, exec_lo
	s_mov_b32 s12, exec_lo
	v_mbcnt_lo_u32_b32 v2, s13, 0
	global_load_dwordx2 v[0:1], v3, s[6:7] offset:16
	v_cmpx_eq_u32_e32 0, v2
	s_cbranch_execz .LBB1_236
; %bb.235:
	s_bcnt1_i32_b32 s13, s13
	v_mov_b32_e32 v2, s13
	s_waitcnt vmcnt(0)
	global_atomic_add_x2 v[0:1], v[2:3], off offset:8
.LBB1_236:
	s_or_b32 exec_lo, exec_lo, s12
	s_waitcnt vmcnt(0)
	global_load_dwordx2 v[2:3], v[0:1], off offset:16
	s_waitcnt vmcnt(0)
	v_cmp_eq_u64_e32 vcc_lo, 0, v[2:3]
	s_cbranch_vccnz .LBB1_238
; %bb.237:
	global_load_dword v0, v[0:1], off offset:24
	v_mov_b32_e32 v1, 0
	s_waitcnt vmcnt(0)
	v_readfirstlane_b32 s12, v0
	s_waitcnt_vscnt null, 0x0
	global_store_dwordx2 v[2:3], v[0:1], off
	s_and_b32 m0, s12, 0x7fffff
	s_sendmsg sendmsg(MSG_INTERRUPT)
.LBB1_238:
	s_or_b32 exec_lo, exec_lo, s5
	s_branch .LBB1_242
	.p2align	6
.LBB1_239:                              ;   in Loop: Header=BB1_242 Depth=1
	s_or_b32 exec_lo, exec_lo, s5
	v_readfirstlane_b32 s5, v0
	s_cmp_eq_u32 s5, 0
	s_cbranch_scc1 .LBB1_241
; %bb.240:                              ;   in Loop: Header=BB1_242 Depth=1
	s_sleep 1
	s_cbranch_execnz .LBB1_242
	s_branch .LBB1_244
	.p2align	6
.LBB1_241:
	s_branch .LBB1_244
.LBB1_242:                              ; =>This Inner Loop Header: Depth=1
	v_mov_b32_e32 v0, 1
	s_and_saveexec_b32 s5, s4
	s_cbranch_execz .LBB1_239
; %bb.243:                              ;   in Loop: Header=BB1_242 Depth=1
	global_load_dword v0, v[10:11], off offset:20 glc dlc
	s_waitcnt vmcnt(0)
	buffer_gl1_inv
	buffer_gl0_inv
	v_and_b32_e32 v0, 1, v0
	s_branch .LBB1_239
.LBB1_244:
	global_load_dwordx2 v[6:7], v[8:9], off
	s_and_saveexec_b32 s12, s4
	s_cbranch_execz .LBB1_248
; %bb.245:
	v_mov_b32_e32 v10, 0
	s_clause 0x2
	global_load_dwordx2 v[0:1], v10, s[6:7] offset:40
	global_load_dwordx2 v[13:14], v10, s[6:7] offset:24 glc dlc
	global_load_dwordx2 v[2:3], v10, s[6:7]
	s_waitcnt vmcnt(2)
	v_readfirstlane_b32 s14, v0
	v_readfirstlane_b32 s15, v1
	s_add_u32 s13, s14, 1
	s_addc_u32 s16, s15, 0
	s_add_u32 s4, s13, s10
	s_addc_u32 s5, s16, s11
	s_cmp_eq_u64 s[4:5], 0
	s_cselect_b32 s5, s16, s5
	s_cselect_b32 s4, s13, s4
	v_mov_b32_e32 v12, s5
	s_and_b64 s[10:11], s[4:5], s[14:15]
	v_mov_b32_e32 v11, s4
	s_mul_i32 s11, s11, 24
	s_mul_hi_u32 s13, s10, 24
	s_mul_i32 s10, s10, 24
	s_add_i32 s13, s13, s11
	s_waitcnt vmcnt(0)
	v_add_co_u32 v8, vcc_lo, v2, s10
	v_add_co_ci_u32_e64 v9, null, s13, v3, vcc_lo
	global_store_dwordx2 v[8:9], v[13:14], off
	s_waitcnt_vscnt null, 0x0
	global_atomic_cmpswap_x2 v[2:3], v10, v[11:14], s[6:7] offset:24 glc
	s_waitcnt vmcnt(0)
	v_cmp_ne_u64_e32 vcc_lo, v[2:3], v[13:14]
	s_and_b32 exec_lo, exec_lo, vcc_lo
	s_cbranch_execz .LBB1_248
; %bb.246:
	s_mov_b32 s10, 0
.LBB1_247:                              ; =>This Inner Loop Header: Depth=1
	v_mov_b32_e32 v0, s4
	v_mov_b32_e32 v1, s5
	s_sleep 1
	global_store_dwordx2 v[8:9], v[2:3], off
	s_waitcnt_vscnt null, 0x0
	global_atomic_cmpswap_x2 v[0:1], v10, v[0:3], s[6:7] offset:24 glc
	s_waitcnt vmcnt(0)
	v_cmp_eq_u64_e32 vcc_lo, v[0:1], v[2:3]
	v_mov_b32_e32 v3, v1
	v_mov_b32_e32 v2, v0
	s_or_b32 s10, vcc_lo, s10
	s_andn2_b32 exec_lo, exec_lo, s10
	s_cbranch_execnz .LBB1_247
.LBB1_248:
	s_or_b32 exec_lo, exec_lo, s12
.LBB1_249:
	v_readfirstlane_b32 s4, v32
	v_mov_b32_e32 v10, 0
	v_mov_b32_e32 v11, 0
	v_cmp_eq_u32_e64 s4, s4, v32
	s_and_saveexec_b32 s5, s4
	s_cbranch_execz .LBB1_255
; %bb.250:
	s_waitcnt vmcnt(0)
	v_mov_b32_e32 v0, 0
	s_mov_b32 s10, exec_lo
	global_load_dwordx2 v[12:13], v0, s[6:7] offset:24 glc dlc
	s_waitcnt vmcnt(0)
	buffer_gl1_inv
	buffer_gl0_inv
	s_clause 0x1
	global_load_dwordx2 v[1:2], v0, s[6:7] offset:40
	global_load_dwordx2 v[8:9], v0, s[6:7]
	s_waitcnt vmcnt(1)
	v_and_b32_e32 v2, v2, v13
	v_and_b32_e32 v1, v1, v12
	v_mul_lo_u32 v2, v2, 24
	v_mul_hi_u32 v3, v1, 24
	v_mul_lo_u32 v1, v1, 24
	v_add_nc_u32_e32 v2, v3, v2
	s_waitcnt vmcnt(0)
	v_add_co_u32 v1, vcc_lo, v8, v1
	v_add_co_ci_u32_e64 v2, null, v9, v2, vcc_lo
	global_load_dwordx2 v[10:11], v[1:2], off glc dlc
	s_waitcnt vmcnt(0)
	global_atomic_cmpswap_x2 v[10:11], v0, v[10:13], s[6:7] offset:24 glc
	s_waitcnt vmcnt(0)
	buffer_gl1_inv
	buffer_gl0_inv
	v_cmpx_ne_u64_e64 v[10:11], v[12:13]
	s_cbranch_execz .LBB1_254
; %bb.251:
	s_mov_b32 s11, 0
	.p2align	6
.LBB1_252:                              ; =>This Inner Loop Header: Depth=1
	s_sleep 1
	s_clause 0x1
	global_load_dwordx2 v[1:2], v0, s[6:7] offset:40
	global_load_dwordx2 v[8:9], v0, s[6:7]
	v_mov_b32_e32 v13, v11
	v_mov_b32_e32 v12, v10
	s_waitcnt vmcnt(1)
	v_and_b32_e32 v1, v1, v12
	v_and_b32_e32 v2, v2, v13
	s_waitcnt vmcnt(0)
	v_mad_u64_u32 v[8:9], null, v1, 24, v[8:9]
	v_mov_b32_e32 v1, v9
	v_mad_u64_u32 v[1:2], null, v2, 24, v[1:2]
	v_mov_b32_e32 v9, v1
	global_load_dwordx2 v[10:11], v[8:9], off glc dlc
	s_waitcnt vmcnt(0)
	global_atomic_cmpswap_x2 v[10:11], v0, v[10:13], s[6:7] offset:24 glc
	s_waitcnt vmcnt(0)
	buffer_gl1_inv
	buffer_gl0_inv
	v_cmp_eq_u64_e32 vcc_lo, v[10:11], v[12:13]
	s_or_b32 s11, vcc_lo, s11
	s_andn2_b32 exec_lo, exec_lo, s11
	s_cbranch_execnz .LBB1_252
; %bb.253:
	s_or_b32 exec_lo, exec_lo, s11
.LBB1_254:
	s_or_b32 exec_lo, exec_lo, s10
.LBB1_255:
	s_or_b32 exec_lo, exec_lo, s5
	v_mov_b32_e32 v9, 0
	v_readfirstlane_b32 s11, v11
	v_readfirstlane_b32 s10, v10
	s_mov_b32 s5, exec_lo
	s_clause 0x1
	global_load_dwordx2 v[12:13], v9, s[6:7] offset:40
	global_load_dwordx4 v[0:3], v9, s[6:7]
	s_waitcnt vmcnt(1)
	v_readfirstlane_b32 s12, v12
	v_readfirstlane_b32 s13, v13
	s_and_b64 s[12:13], s[12:13], s[10:11]
	s_mul_i32 s14, s13, 24
	s_mul_hi_u32 s15, s12, 24
	s_mul_i32 s16, s12, 24
	s_add_i32 s15, s15, s14
	s_waitcnt vmcnt(0)
	v_add_co_u32 v10, vcc_lo, v0, s16
	v_add_co_ci_u32_e64 v11, null, s15, v1, vcc_lo
	s_and_saveexec_b32 s14, s4
	s_cbranch_execz .LBB1_257
; %bb.256:
	v_mov_b32_e32 v8, s5
	v_mov_b32_e32 v13, v9
	;; [unrolled: 1-line block ×5, first 2 shown]
	global_store_dwordx4 v[10:11], v[12:15], off offset:8
.LBB1_257:
	s_or_b32 exec_lo, exec_lo, s14
	s_lshl_b64 s[12:13], s[12:13], 12
	v_and_or_b32 v6, 0xffffff1f, v6, 32
	v_add_co_u32 v2, vcc_lo, v2, s12
	v_add_co_ci_u32_e64 v3, null, s13, v3, vcc_lo
	s_mov_b32 s12, 0
	v_add_co_u32 v12, vcc_lo, v2, v33
	s_mov_b32 s15, s12
	s_mov_b32 s13, s12
	;; [unrolled: 1-line block ×3, first 2 shown]
	v_mov_b32_e32 v8, 0x331
	v_readfirstlane_b32 s16, v2
	v_readfirstlane_b32 s17, v3
	v_mov_b32_e32 v17, s15
	v_add_co_ci_u32_e64 v13, null, 0, v3, vcc_lo
	v_mov_b32_e32 v16, s14
	v_mov_b32_e32 v15, s13
	;; [unrolled: 1-line block ×3, first 2 shown]
	global_store_dwordx4 v33, v[6:9], s[16:17]
	global_store_dwordx4 v33, v[14:17], s[16:17] offset:16
	global_store_dwordx4 v33, v[14:17], s[16:17] offset:32
	;; [unrolled: 1-line block ×3, first 2 shown]
	s_and_saveexec_b32 s5, s4
	s_cbranch_execz .LBB1_265
; %bb.258:
	v_mov_b32_e32 v8, 0
	v_mov_b32_e32 v14, s10
	;; [unrolled: 1-line block ×3, first 2 shown]
	s_clause 0x1
	global_load_dwordx2 v[16:17], v8, s[6:7] offset:32 glc dlc
	global_load_dwordx2 v[2:3], v8, s[6:7] offset:40
	s_waitcnt vmcnt(0)
	v_readfirstlane_b32 s12, v2
	v_readfirstlane_b32 s13, v3
	s_and_b64 s[12:13], s[12:13], s[10:11]
	s_mul_i32 s13, s13, 24
	s_mul_hi_u32 s14, s12, 24
	s_mul_i32 s12, s12, 24
	s_add_i32 s14, s14, s13
	v_add_co_u32 v6, vcc_lo, v0, s12
	v_add_co_ci_u32_e64 v7, null, s14, v1, vcc_lo
	s_mov_b32 s12, exec_lo
	global_store_dwordx2 v[6:7], v[16:17], off
	s_waitcnt_vscnt null, 0x0
	global_atomic_cmpswap_x2 v[2:3], v8, v[14:17], s[6:7] offset:32 glc
	s_waitcnt vmcnt(0)
	v_cmpx_ne_u64_e64 v[2:3], v[16:17]
	s_cbranch_execz .LBB1_261
; %bb.259:
	s_mov_b32 s13, 0
.LBB1_260:                              ; =>This Inner Loop Header: Depth=1
	v_mov_b32_e32 v0, s10
	v_mov_b32_e32 v1, s11
	s_sleep 1
	global_store_dwordx2 v[6:7], v[2:3], off
	s_waitcnt_vscnt null, 0x0
	global_atomic_cmpswap_x2 v[0:1], v8, v[0:3], s[6:7] offset:32 glc
	s_waitcnt vmcnt(0)
	v_cmp_eq_u64_e32 vcc_lo, v[0:1], v[2:3]
	v_mov_b32_e32 v3, v1
	v_mov_b32_e32 v2, v0
	s_or_b32 s13, vcc_lo, s13
	s_andn2_b32 exec_lo, exec_lo, s13
	s_cbranch_execnz .LBB1_260
.LBB1_261:
	s_or_b32 exec_lo, exec_lo, s12
	v_mov_b32_e32 v3, 0
	s_mov_b32 s13, exec_lo
	s_mov_b32 s12, exec_lo
	v_mbcnt_lo_u32_b32 v2, s13, 0
	global_load_dwordx2 v[0:1], v3, s[6:7] offset:16
	v_cmpx_eq_u32_e32 0, v2
	s_cbranch_execz .LBB1_263
; %bb.262:
	s_bcnt1_i32_b32 s13, s13
	v_mov_b32_e32 v2, s13
	s_waitcnt vmcnt(0)
	global_atomic_add_x2 v[0:1], v[2:3], off offset:8
.LBB1_263:
	s_or_b32 exec_lo, exec_lo, s12
	s_waitcnt vmcnt(0)
	global_load_dwordx2 v[2:3], v[0:1], off offset:16
	s_waitcnt vmcnt(0)
	v_cmp_eq_u64_e32 vcc_lo, 0, v[2:3]
	s_cbranch_vccnz .LBB1_265
; %bb.264:
	global_load_dword v0, v[0:1], off offset:24
	v_mov_b32_e32 v1, 0
	s_waitcnt vmcnt(0)
	v_readfirstlane_b32 s12, v0
	s_waitcnt_vscnt null, 0x0
	global_store_dwordx2 v[2:3], v[0:1], off
	s_and_b32 m0, s12, 0x7fffff
	s_sendmsg sendmsg(MSG_INTERRUPT)
.LBB1_265:
	s_or_b32 exec_lo, exec_lo, s5
	s_branch .LBB1_269
	.p2align	6
.LBB1_266:                              ;   in Loop: Header=BB1_269 Depth=1
	s_or_b32 exec_lo, exec_lo, s5
	v_readfirstlane_b32 s5, v0
	s_cmp_eq_u32 s5, 0
	s_cbranch_scc1 .LBB1_268
; %bb.267:                              ;   in Loop: Header=BB1_269 Depth=1
	s_sleep 1
	s_cbranch_execnz .LBB1_269
	s_branch .LBB1_271
	.p2align	6
.LBB1_268:
	s_branch .LBB1_271
.LBB1_269:                              ; =>This Inner Loop Header: Depth=1
	v_mov_b32_e32 v0, 1
	s_and_saveexec_b32 s5, s4
	s_cbranch_execz .LBB1_266
; %bb.270:                              ;   in Loop: Header=BB1_269 Depth=1
	global_load_dword v0, v[10:11], off offset:20 glc dlc
	s_waitcnt vmcnt(0)
	buffer_gl1_inv
	buffer_gl0_inv
	v_and_b32_e32 v0, 1, v0
	s_branch .LBB1_266
.LBB1_271:
	global_load_dwordx2 v[0:1], v[12:13], off
	s_and_saveexec_b32 s12, s4
	s_cbranch_execz .LBB1_275
; %bb.272:
	v_mov_b32_e32 v10, 0
	s_clause 0x2
	global_load_dwordx2 v[2:3], v10, s[6:7] offset:40
	global_load_dwordx2 v[13:14], v10, s[6:7] offset:24 glc dlc
	global_load_dwordx2 v[6:7], v10, s[6:7]
	s_waitcnt vmcnt(2)
	v_readfirstlane_b32 s14, v2
	v_readfirstlane_b32 s15, v3
	s_add_u32 s13, s14, 1
	s_addc_u32 s16, s15, 0
	s_add_u32 s4, s13, s10
	s_addc_u32 s5, s16, s11
	s_cmp_eq_u64 s[4:5], 0
	s_cselect_b32 s5, s16, s5
	s_cselect_b32 s4, s13, s4
	v_mov_b32_e32 v12, s5
	s_and_b64 s[10:11], s[4:5], s[14:15]
	v_mov_b32_e32 v11, s4
	s_mul_i32 s11, s11, 24
	s_mul_hi_u32 s13, s10, 24
	s_mul_i32 s10, s10, 24
	s_add_i32 s13, s13, s11
	s_waitcnt vmcnt(0)
	v_add_co_u32 v2, vcc_lo, v6, s10
	v_add_co_ci_u32_e64 v3, null, s13, v7, vcc_lo
	global_store_dwordx2 v[2:3], v[13:14], off
	s_waitcnt_vscnt null, 0x0
	global_atomic_cmpswap_x2 v[8:9], v10, v[11:14], s[6:7] offset:24 glc
	s_waitcnt vmcnt(0)
	v_cmp_ne_u64_e32 vcc_lo, v[8:9], v[13:14]
	s_and_b32 exec_lo, exec_lo, vcc_lo
	s_cbranch_execz .LBB1_275
; %bb.273:
	s_mov_b32 s10, 0
.LBB1_274:                              ; =>This Inner Loop Header: Depth=1
	v_mov_b32_e32 v6, s4
	v_mov_b32_e32 v7, s5
	s_sleep 1
	global_store_dwordx2 v[2:3], v[8:9], off
	s_waitcnt_vscnt null, 0x0
	global_atomic_cmpswap_x2 v[6:7], v10, v[6:9], s[6:7] offset:24 glc
	s_waitcnt vmcnt(0)
	v_cmp_eq_u64_e32 vcc_lo, v[6:7], v[8:9]
	v_mov_b32_e32 v9, v7
	v_mov_b32_e32 v8, v6
	s_or_b32 s10, vcc_lo, s10
	s_andn2_b32 exec_lo, exec_lo, s10
	s_cbranch_execnz .LBB1_274
.LBB1_275:
	s_or_b32 exec_lo, exec_lo, s12
	v_mov_b32_e32 v7, v5
	v_mov_b32_e32 v6, v4
	s_mov_b32 s4, 0
.LBB1_276:                              ; =>This Inner Loop Header: Depth=1
	global_load_ubyte v8, v[6:7], off
	v_add_co_u32 v2, vcc_lo, v6, 1
	v_add_co_ci_u32_e64 v3, null, 0, v7, vcc_lo
	v_mov_b32_e32 v7, v3
	v_mov_b32_e32 v6, v2
	s_waitcnt vmcnt(0)
	v_cmp_eq_u16_e32 vcc_lo, 0, v8
	s_or_b32 s4, vcc_lo, s4
	s_andn2_b32 exec_lo, exec_lo, s4
	s_cbranch_execnz .LBB1_276
; %bb.277:
	s_or_b32 exec_lo, exec_lo, s4
	s_mov_b32 s4, exec_lo
	v_cmpx_ne_u64_e32 0, v[4:5]
	s_xor_b32 s14, exec_lo, s4
	s_cbranch_execz .LBB1_363
; %bb.278:
	v_sub_nc_u32_e32 v26, v2, v4
	v_and_b32_e32 v34, 2, v0
	v_mov_b32_e32 v7, 0
	v_and_b32_e32 v0, -3, v0
	v_mov_b32_e32 v8, 2
	v_ashrrev_i32_e32 v27, 31, v26
	v_mov_b32_e32 v9, 1
	s_mov_b32 s16, 0
	s_mov_b32 s15, 0
	s_branch .LBB1_280
.LBB1_279:                              ;   in Loop: Header=BB1_280 Depth=1
	s_or_b32 exec_lo, exec_lo, s12
	v_sub_co_u32 v26, vcc_lo, v26, v28
	v_sub_co_ci_u32_e64 v27, null, v27, v29, vcc_lo
	v_add_co_u32 v4, s4, v4, v28
	v_add_co_ci_u32_e64 v5, null, v5, v29, s4
	v_cmp_eq_u64_e32 vcc_lo, 0, v[26:27]
	s_or_b32 s15, vcc_lo, s15
	s_andn2_b32 exec_lo, exec_lo, s15
	s_cbranch_execz .LBB1_362
.LBB1_280:                              ; =>This Loop Header: Depth=1
                                        ;     Child Loop BB1_283 Depth 2
                                        ;     Child Loop BB1_291 Depth 2
	;; [unrolled: 1-line block ×11, first 2 shown]
	v_cmp_gt_u64_e32 vcc_lo, 56, v[26:27]
	s_mov_b32 s5, exec_lo
	v_cndmask_b32_e32 v29, 0, v27, vcc_lo
	v_cndmask_b32_e32 v28, 56, v26, vcc_lo
	v_add_co_u32 v12, vcc_lo, v4, 8
	v_add_co_ci_u32_e64 v13, null, 0, v5, vcc_lo
	v_cmpx_gt_u64_e32 8, v[26:27]
	s_xor_b32 s5, exec_lo, s5
	s_cbranch_execz .LBB1_286
; %bb.281:                              ;   in Loop: Header=BB1_280 Depth=1
	v_mov_b32_e32 v2, 0
	v_mov_b32_e32 v3, 0
	s_mov_b32 s12, exec_lo
	v_cmpx_ne_u64_e32 0, v[26:27]
	s_cbranch_execz .LBB1_285
; %bb.282:                              ;   in Loop: Header=BB1_280 Depth=1
	v_lshlrev_b64 v[10:11], 3, v[28:29]
	v_mov_b32_e32 v2, 0
	v_mov_b32_e32 v12, v5
	;; [unrolled: 1-line block ×4, first 2 shown]
	s_mov_b64 s[10:11], 0
	s_mov_b32 s13, 0
	.p2align	6
.LBB1_283:                              ;   Parent Loop BB1_280 Depth=1
                                        ; =>  This Inner Loop Header: Depth=2
	global_load_ubyte v6, v[11:12], off
	v_mov_b32_e32 v14, s16
	v_add_co_u32 v11, vcc_lo, v11, 1
	v_add_co_ci_u32_e64 v12, null, 0, v12, vcc_lo
	s_waitcnt vmcnt(0)
	v_and_b32_e32 v13, 0xffff, v6
	v_lshlrev_b64 v[13:14], s10, v[13:14]
	s_add_u32 s10, s10, 8
	s_addc_u32 s11, s11, 0
	v_cmp_eq_u32_e64 s4, s10, v10
	v_or_b32_e32 v3, v14, v3
	v_or_b32_e32 v2, v13, v2
	s_or_b32 s13, s4, s13
	s_andn2_b32 exec_lo, exec_lo, s13
	s_cbranch_execnz .LBB1_283
; %bb.284:                              ;   in Loop: Header=BB1_280 Depth=1
	s_or_b32 exec_lo, exec_lo, s13
.LBB1_285:                              ;   in Loop: Header=BB1_280 Depth=1
	s_or_b32 exec_lo, exec_lo, s12
	v_mov_b32_e32 v13, v5
	v_mov_b32_e32 v12, v4
.LBB1_286:                              ;   in Loop: Header=BB1_280 Depth=1
	s_or_saveexec_b32 s4, s5
	v_mov_b32_e32 v6, 0
	s_xor_b32 exec_lo, exec_lo, s4
	s_cbranch_execz .LBB1_288
; %bb.287:                              ;   in Loop: Header=BB1_280 Depth=1
	global_load_dwordx2 v[2:3], v[4:5], off
	v_add_nc_u32_e32 v6, -8, v28
.LBB1_288:                              ;   in Loop: Header=BB1_280 Depth=1
	s_or_b32 exec_lo, exec_lo, s4
	v_add_co_u32 v14, s4, v12, 8
	v_add_co_ci_u32_e64 v15, null, 0, v13, s4
                                        ; implicit-def: $vgpr10_vgpr11
	s_mov_b32 s4, exec_lo
	v_cmpx_gt_u32_e32 8, v6
	s_xor_b32 s12, exec_lo, s4
	s_cbranch_execz .LBB1_294
; %bb.289:                              ;   in Loop: Header=BB1_280 Depth=1
	v_mov_b32_e32 v10, 0
	v_mov_b32_e32 v11, 0
	s_mov_b32 s13, exec_lo
	v_cmpx_ne_u32_e32 0, v6
	s_cbranch_execz .LBB1_293
; %bb.290:                              ;   in Loop: Header=BB1_280 Depth=1
	v_mov_b32_e32 v10, 0
	v_mov_b32_e32 v11, 0
	s_mov_b64 s[4:5], 0
	s_mov_b32 s17, 0
	s_mov_b64 s[10:11], 0
	.p2align	6
.LBB1_291:                              ;   Parent Loop BB1_280 Depth=1
                                        ; =>  This Inner Loop Header: Depth=2
	v_add_co_u32 v14, vcc_lo, v12, s10
	v_add_co_ci_u32_e64 v15, null, s11, v13, vcc_lo
	s_add_u32 s10, s10, 1
	s_addc_u32 s11, s11, 0
	v_cmp_eq_u32_e32 vcc_lo, s10, v6
	global_load_ubyte v14, v[14:15], off
	v_mov_b32_e32 v15, s16
	s_waitcnt vmcnt(0)
	v_and_b32_e32 v14, 0xffff, v14
	v_lshlrev_b64 v[14:15], s4, v[14:15]
	s_add_u32 s4, s4, 8
	s_addc_u32 s5, s5, 0
	s_or_b32 s17, vcc_lo, s17
	v_or_b32_e32 v11, v15, v11
	v_or_b32_e32 v10, v14, v10
	s_andn2_b32 exec_lo, exec_lo, s17
	s_cbranch_execnz .LBB1_291
; %bb.292:                              ;   in Loop: Header=BB1_280 Depth=1
	s_or_b32 exec_lo, exec_lo, s17
.LBB1_293:                              ;   in Loop: Header=BB1_280 Depth=1
	s_or_b32 exec_lo, exec_lo, s13
	v_mov_b32_e32 v15, v13
	v_mov_b32_e32 v14, v12
                                        ; implicit-def: $vgpr6
.LBB1_294:                              ;   in Loop: Header=BB1_280 Depth=1
	s_or_saveexec_b32 s4, s12
	v_mov_b32_e32 v18, 0
	s_xor_b32 exec_lo, exec_lo, s4
	s_cbranch_execz .LBB1_296
; %bb.295:                              ;   in Loop: Header=BB1_280 Depth=1
	global_load_dwordx2 v[10:11], v[12:13], off
	v_add_nc_u32_e32 v18, -8, v6
.LBB1_296:                              ;   in Loop: Header=BB1_280 Depth=1
	s_or_b32 exec_lo, exec_lo, s4
	v_add_co_u32 v16, s4, v14, 8
	v_add_co_ci_u32_e64 v17, null, 0, v15, s4
	s_mov_b32 s4, exec_lo
	v_cmpx_gt_u32_e32 8, v18
	s_xor_b32 s12, exec_lo, s4
	s_cbranch_execz .LBB1_302
; %bb.297:                              ;   in Loop: Header=BB1_280 Depth=1
	v_mov_b32_e32 v12, 0
	v_mov_b32_e32 v13, 0
	s_mov_b32 s13, exec_lo
	v_cmpx_ne_u32_e32 0, v18
	s_cbranch_execz .LBB1_301
; %bb.298:                              ;   in Loop: Header=BB1_280 Depth=1
	v_mov_b32_e32 v12, 0
	v_mov_b32_e32 v13, 0
	s_mov_b64 s[4:5], 0
	s_mov_b32 s17, 0
	s_mov_b64 s[10:11], 0
	.p2align	6
.LBB1_299:                              ;   Parent Loop BB1_280 Depth=1
                                        ; =>  This Inner Loop Header: Depth=2
	v_add_co_u32 v16, vcc_lo, v14, s10
	v_add_co_ci_u32_e64 v17, null, s11, v15, vcc_lo
	s_add_u32 s10, s10, 1
	s_addc_u32 s11, s11, 0
	v_cmp_eq_u32_e32 vcc_lo, s10, v18
	global_load_ubyte v6, v[16:17], off
	v_mov_b32_e32 v17, s16
	s_waitcnt vmcnt(0)
	v_and_b32_e32 v16, 0xffff, v6
	v_lshlrev_b64 v[16:17], s4, v[16:17]
	s_add_u32 s4, s4, 8
	s_addc_u32 s5, s5, 0
	s_or_b32 s17, vcc_lo, s17
	v_or_b32_e32 v13, v17, v13
	v_or_b32_e32 v12, v16, v12
	s_andn2_b32 exec_lo, exec_lo, s17
	s_cbranch_execnz .LBB1_299
; %bb.300:                              ;   in Loop: Header=BB1_280 Depth=1
	s_or_b32 exec_lo, exec_lo, s17
.LBB1_301:                              ;   in Loop: Header=BB1_280 Depth=1
	s_or_b32 exec_lo, exec_lo, s13
	v_mov_b32_e32 v17, v15
	v_mov_b32_e32 v16, v14
                                        ; implicit-def: $vgpr18
.LBB1_302:                              ;   in Loop: Header=BB1_280 Depth=1
	s_or_saveexec_b32 s4, s12
	v_mov_b32_e32 v6, 0
	s_xor_b32 exec_lo, exec_lo, s4
	s_cbranch_execz .LBB1_304
; %bb.303:                              ;   in Loop: Header=BB1_280 Depth=1
	global_load_dwordx2 v[12:13], v[14:15], off
	v_add_nc_u32_e32 v6, -8, v18
.LBB1_304:                              ;   in Loop: Header=BB1_280 Depth=1
	s_or_b32 exec_lo, exec_lo, s4
	v_add_co_u32 v18, s4, v16, 8
	v_add_co_ci_u32_e64 v19, null, 0, v17, s4
                                        ; implicit-def: $vgpr14_vgpr15
	s_mov_b32 s4, exec_lo
	v_cmpx_gt_u32_e32 8, v6
	s_xor_b32 s12, exec_lo, s4
	s_cbranch_execz .LBB1_310
; %bb.305:                              ;   in Loop: Header=BB1_280 Depth=1
	v_mov_b32_e32 v14, 0
	v_mov_b32_e32 v15, 0
	s_mov_b32 s13, exec_lo
	v_cmpx_ne_u32_e32 0, v6
	s_cbranch_execz .LBB1_309
; %bb.306:                              ;   in Loop: Header=BB1_280 Depth=1
	v_mov_b32_e32 v14, 0
	v_mov_b32_e32 v15, 0
	s_mov_b64 s[4:5], 0
	s_mov_b32 s17, 0
	s_mov_b64 s[10:11], 0
	.p2align	6
.LBB1_307:                              ;   Parent Loop BB1_280 Depth=1
                                        ; =>  This Inner Loop Header: Depth=2
	v_add_co_u32 v18, vcc_lo, v16, s10
	v_add_co_ci_u32_e64 v19, null, s11, v17, vcc_lo
	s_add_u32 s10, s10, 1
	s_addc_u32 s11, s11, 0
	v_cmp_eq_u32_e32 vcc_lo, s10, v6
	global_load_ubyte v18, v[18:19], off
	v_mov_b32_e32 v19, s16
	s_waitcnt vmcnt(0)
	v_and_b32_e32 v18, 0xffff, v18
	v_lshlrev_b64 v[18:19], s4, v[18:19]
	s_add_u32 s4, s4, 8
	s_addc_u32 s5, s5, 0
	s_or_b32 s17, vcc_lo, s17
	v_or_b32_e32 v15, v19, v15
	v_or_b32_e32 v14, v18, v14
	s_andn2_b32 exec_lo, exec_lo, s17
	s_cbranch_execnz .LBB1_307
; %bb.308:                              ;   in Loop: Header=BB1_280 Depth=1
	s_or_b32 exec_lo, exec_lo, s17
.LBB1_309:                              ;   in Loop: Header=BB1_280 Depth=1
	s_or_b32 exec_lo, exec_lo, s13
	v_mov_b32_e32 v19, v17
	v_mov_b32_e32 v18, v16
                                        ; implicit-def: $vgpr6
.LBB1_310:                              ;   in Loop: Header=BB1_280 Depth=1
	s_or_saveexec_b32 s4, s12
	v_mov_b32_e32 v22, 0
	s_xor_b32 exec_lo, exec_lo, s4
	s_cbranch_execz .LBB1_312
; %bb.311:                              ;   in Loop: Header=BB1_280 Depth=1
	global_load_dwordx2 v[14:15], v[16:17], off
	v_add_nc_u32_e32 v22, -8, v6
.LBB1_312:                              ;   in Loop: Header=BB1_280 Depth=1
	s_or_b32 exec_lo, exec_lo, s4
	v_add_co_u32 v20, s4, v18, 8
	v_add_co_ci_u32_e64 v21, null, 0, v19, s4
	s_mov_b32 s4, exec_lo
	v_cmpx_gt_u32_e32 8, v22
	s_xor_b32 s12, exec_lo, s4
	s_cbranch_execz .LBB1_318
; %bb.313:                              ;   in Loop: Header=BB1_280 Depth=1
	v_mov_b32_e32 v16, 0
	v_mov_b32_e32 v17, 0
	s_mov_b32 s13, exec_lo
	v_cmpx_ne_u32_e32 0, v22
	s_cbranch_execz .LBB1_317
; %bb.314:                              ;   in Loop: Header=BB1_280 Depth=1
	v_mov_b32_e32 v16, 0
	v_mov_b32_e32 v17, 0
	s_mov_b64 s[4:5], 0
	s_mov_b32 s17, 0
	s_mov_b64 s[10:11], 0
	.p2align	6
.LBB1_315:                              ;   Parent Loop BB1_280 Depth=1
                                        ; =>  This Inner Loop Header: Depth=2
	v_add_co_u32 v20, vcc_lo, v18, s10
	v_add_co_ci_u32_e64 v21, null, s11, v19, vcc_lo
	s_add_u32 s10, s10, 1
	s_addc_u32 s11, s11, 0
	v_cmp_eq_u32_e32 vcc_lo, s10, v22
	global_load_ubyte v6, v[20:21], off
	v_mov_b32_e32 v21, s16
	s_waitcnt vmcnt(0)
	v_and_b32_e32 v20, 0xffff, v6
	v_lshlrev_b64 v[20:21], s4, v[20:21]
	s_add_u32 s4, s4, 8
	s_addc_u32 s5, s5, 0
	s_or_b32 s17, vcc_lo, s17
	v_or_b32_e32 v17, v21, v17
	v_or_b32_e32 v16, v20, v16
	s_andn2_b32 exec_lo, exec_lo, s17
	s_cbranch_execnz .LBB1_315
; %bb.316:                              ;   in Loop: Header=BB1_280 Depth=1
	s_or_b32 exec_lo, exec_lo, s17
.LBB1_317:                              ;   in Loop: Header=BB1_280 Depth=1
	s_or_b32 exec_lo, exec_lo, s13
	v_mov_b32_e32 v21, v19
	v_mov_b32_e32 v20, v18
                                        ; implicit-def: $vgpr22
.LBB1_318:                              ;   in Loop: Header=BB1_280 Depth=1
	s_or_saveexec_b32 s4, s12
	v_mov_b32_e32 v6, 0
	s_xor_b32 exec_lo, exec_lo, s4
	s_cbranch_execz .LBB1_320
; %bb.319:                              ;   in Loop: Header=BB1_280 Depth=1
	global_load_dwordx2 v[16:17], v[18:19], off
	v_add_nc_u32_e32 v6, -8, v22
.LBB1_320:                              ;   in Loop: Header=BB1_280 Depth=1
	s_or_b32 exec_lo, exec_lo, s4
	v_add_co_u32 v22, s4, v20, 8
	v_add_co_ci_u32_e64 v23, null, 0, v21, s4
                                        ; implicit-def: $vgpr18_vgpr19
	s_mov_b32 s4, exec_lo
	v_cmpx_gt_u32_e32 8, v6
	s_xor_b32 s12, exec_lo, s4
	s_cbranch_execz .LBB1_326
; %bb.321:                              ;   in Loop: Header=BB1_280 Depth=1
	v_mov_b32_e32 v18, 0
	v_mov_b32_e32 v19, 0
	s_mov_b32 s13, exec_lo
	v_cmpx_ne_u32_e32 0, v6
	s_cbranch_execz .LBB1_325
; %bb.322:                              ;   in Loop: Header=BB1_280 Depth=1
	v_mov_b32_e32 v18, 0
	v_mov_b32_e32 v19, 0
	s_mov_b64 s[4:5], 0
	s_mov_b32 s17, 0
	s_mov_b64 s[10:11], 0
	.p2align	6
.LBB1_323:                              ;   Parent Loop BB1_280 Depth=1
                                        ; =>  This Inner Loop Header: Depth=2
	v_add_co_u32 v22, vcc_lo, v20, s10
	v_add_co_ci_u32_e64 v23, null, s11, v21, vcc_lo
	s_add_u32 s10, s10, 1
	s_addc_u32 s11, s11, 0
	v_cmp_eq_u32_e32 vcc_lo, s10, v6
	global_load_ubyte v22, v[22:23], off
	v_mov_b32_e32 v23, s16
	s_waitcnt vmcnt(0)
	v_and_b32_e32 v22, 0xffff, v22
	v_lshlrev_b64 v[22:23], s4, v[22:23]
	s_add_u32 s4, s4, 8
	s_addc_u32 s5, s5, 0
	s_or_b32 s17, vcc_lo, s17
	v_or_b32_e32 v19, v23, v19
	v_or_b32_e32 v18, v22, v18
	s_andn2_b32 exec_lo, exec_lo, s17
	s_cbranch_execnz .LBB1_323
; %bb.324:                              ;   in Loop: Header=BB1_280 Depth=1
	s_or_b32 exec_lo, exec_lo, s17
.LBB1_325:                              ;   in Loop: Header=BB1_280 Depth=1
	s_or_b32 exec_lo, exec_lo, s13
	v_mov_b32_e32 v23, v21
	v_mov_b32_e32 v22, v20
                                        ; implicit-def: $vgpr6
.LBB1_326:                              ;   in Loop: Header=BB1_280 Depth=1
	s_or_saveexec_b32 s4, s12
	v_mov_b32_e32 v24, 0
	s_xor_b32 exec_lo, exec_lo, s4
	s_cbranch_execz .LBB1_328
; %bb.327:                              ;   in Loop: Header=BB1_280 Depth=1
	global_load_dwordx2 v[18:19], v[20:21], off
	v_add_nc_u32_e32 v24, -8, v6
.LBB1_328:                              ;   in Loop: Header=BB1_280 Depth=1
	s_or_b32 exec_lo, exec_lo, s4
	s_mov_b32 s4, exec_lo
	v_cmpx_gt_u32_e32 8, v24
	s_xor_b32 s10, exec_lo, s4
	s_cbranch_execz .LBB1_334
; %bb.329:                              ;   in Loop: Header=BB1_280 Depth=1
	v_mov_b32_e32 v20, 0
	v_mov_b32_e32 v21, 0
	s_mov_b32 s11, exec_lo
	v_cmpx_ne_u32_e32 0, v24
	s_cbranch_execz .LBB1_333
; %bb.330:                              ;   in Loop: Header=BB1_280 Depth=1
	v_mov_b32_e32 v20, 0
	v_mov_b32_e32 v21, 0
	s_mov_b64 s[4:5], 0
	s_mov_b32 s12, 0
	.p2align	6
.LBB1_331:                              ;   Parent Loop BB1_280 Depth=1
                                        ; =>  This Inner Loop Header: Depth=2
	global_load_ubyte v6, v[22:23], off
	v_mov_b32_e32 v31, s16
	v_add_nc_u32_e32 v24, -1, v24
	v_add_co_u32 v22, vcc_lo, v22, 1
	v_add_co_ci_u32_e64 v23, null, 0, v23, vcc_lo
	v_cmp_eq_u32_e32 vcc_lo, 0, v24
	s_waitcnt vmcnt(0)
	v_and_b32_e32 v30, 0xffff, v6
	v_lshlrev_b64 v[30:31], s4, v[30:31]
	s_add_u32 s4, s4, 8
	s_addc_u32 s5, s5, 0
	s_or_b32 s12, vcc_lo, s12
	v_or_b32_e32 v21, v31, v21
	v_or_b32_e32 v20, v30, v20
	s_andn2_b32 exec_lo, exec_lo, s12
	s_cbranch_execnz .LBB1_331
; %bb.332:                              ;   in Loop: Header=BB1_280 Depth=1
	s_or_b32 exec_lo, exec_lo, s12
.LBB1_333:                              ;   in Loop: Header=BB1_280 Depth=1
	s_or_b32 exec_lo, exec_lo, s11
                                        ; implicit-def: $vgpr22_vgpr23
.LBB1_334:                              ;   in Loop: Header=BB1_280 Depth=1
	s_andn2_saveexec_b32 s4, s10
	s_cbranch_execz .LBB1_336
; %bb.335:                              ;   in Loop: Header=BB1_280 Depth=1
	global_load_dwordx2 v[20:21], v[22:23], off
.LBB1_336:                              ;   in Loop: Header=BB1_280 Depth=1
	s_or_b32 exec_lo, exec_lo, s4
	v_readfirstlane_b32 s4, v32
	v_mov_b32_e32 v30, 0
	v_mov_b32_e32 v31, 0
	v_cmp_eq_u32_e64 s4, s4, v32
	s_and_saveexec_b32 s5, s4
	s_cbranch_execz .LBB1_342
; %bb.337:                              ;   in Loop: Header=BB1_280 Depth=1
	global_load_dwordx2 v[24:25], v7, s[6:7] offset:24 glc dlc
	s_waitcnt vmcnt(0)
	buffer_gl1_inv
	buffer_gl0_inv
	s_clause 0x1
	global_load_dwordx2 v[22:23], v7, s[6:7] offset:40
	global_load_dwordx2 v[30:31], v7, s[6:7]
	s_mov_b32 s10, exec_lo
	s_waitcnt vmcnt(1)
	v_and_b32_e32 v6, v23, v25
	v_and_b32_e32 v22, v22, v24
	v_mul_lo_u32 v6, v6, 24
	v_mul_hi_u32 v23, v22, 24
	v_mul_lo_u32 v22, v22, 24
	v_add_nc_u32_e32 v6, v23, v6
	s_waitcnt vmcnt(0)
	v_add_co_u32 v22, vcc_lo, v30, v22
	v_add_co_ci_u32_e64 v23, null, v31, v6, vcc_lo
	global_load_dwordx2 v[22:23], v[22:23], off glc dlc
	s_waitcnt vmcnt(0)
	global_atomic_cmpswap_x2 v[30:31], v7, v[22:25], s[6:7] offset:24 glc
	s_waitcnt vmcnt(0)
	buffer_gl1_inv
	buffer_gl0_inv
	v_cmpx_ne_u64_e64 v[30:31], v[24:25]
	s_cbranch_execz .LBB1_341
; %bb.338:                              ;   in Loop: Header=BB1_280 Depth=1
	s_mov_b32 s11, 0
	.p2align	6
.LBB1_339:                              ;   Parent Loop BB1_280 Depth=1
                                        ; =>  This Inner Loop Header: Depth=2
	s_sleep 1
	s_clause 0x1
	global_load_dwordx2 v[22:23], v7, s[6:7] offset:40
	global_load_dwordx2 v[35:36], v7, s[6:7]
	v_mov_b32_e32 v24, v30
	v_mov_b32_e32 v25, v31
	s_waitcnt vmcnt(1)
	v_and_b32_e32 v6, v22, v24
	v_and_b32_e32 v22, v23, v25
	s_waitcnt vmcnt(0)
	v_mad_u64_u32 v[30:31], null, v6, 24, v[35:36]
	v_mov_b32_e32 v6, v31
	v_mad_u64_u32 v[22:23], null, v22, 24, v[6:7]
	v_mov_b32_e32 v31, v22
	global_load_dwordx2 v[22:23], v[30:31], off glc dlc
	s_waitcnt vmcnt(0)
	global_atomic_cmpswap_x2 v[30:31], v7, v[22:25], s[6:7] offset:24 glc
	s_waitcnt vmcnt(0)
	buffer_gl1_inv
	buffer_gl0_inv
	v_cmp_eq_u64_e32 vcc_lo, v[30:31], v[24:25]
	s_or_b32 s11, vcc_lo, s11
	s_andn2_b32 exec_lo, exec_lo, s11
	s_cbranch_execnz .LBB1_339
; %bb.340:                              ;   in Loop: Header=BB1_280 Depth=1
	s_or_b32 exec_lo, exec_lo, s11
.LBB1_341:                              ;   in Loop: Header=BB1_280 Depth=1
	s_or_b32 exec_lo, exec_lo, s10
.LBB1_342:                              ;   in Loop: Header=BB1_280 Depth=1
	s_or_b32 exec_lo, exec_lo, s5
	s_clause 0x1
	global_load_dwordx2 v[35:36], v7, s[6:7] offset:40
	global_load_dwordx4 v[22:25], v7, s[6:7]
	v_readfirstlane_b32 s11, v31
	v_readfirstlane_b32 s10, v30
	s_mov_b32 s5, exec_lo
	s_waitcnt vmcnt(1)
	v_readfirstlane_b32 s12, v35
	v_readfirstlane_b32 s13, v36
	s_and_b64 s[12:13], s[12:13], s[10:11]
	s_mul_i32 s17, s13, 24
	s_mul_hi_u32 s18, s12, 24
	s_mul_i32 s19, s12, 24
	s_add_i32 s18, s18, s17
	s_waitcnt vmcnt(0)
	v_add_co_u32 v30, vcc_lo, v22, s19
	v_add_co_ci_u32_e64 v31, null, s18, v23, vcc_lo
	s_and_saveexec_b32 s17, s4
	s_cbranch_execz .LBB1_344
; %bb.343:                              ;   in Loop: Header=BB1_280 Depth=1
	v_mov_b32_e32 v6, s5
	global_store_dwordx4 v[30:31], v[6:9], off offset:8
.LBB1_344:                              ;   in Loop: Header=BB1_280 Depth=1
	s_or_b32 exec_lo, exec_lo, s17
	v_cmp_gt_u64_e32 vcc_lo, 57, v[26:27]
	s_lshl_b64 s[12:13], s[12:13], 12
	v_and_b32_e32 v0, 0xffffff1f, v0
	v_lshl_add_u32 v35, v28, 2, 28
	v_cndmask_b32_e32 v6, 0, v34, vcc_lo
	v_add_co_u32 v24, vcc_lo, v24, s12
	v_add_co_ci_u32_e64 v25, null, s13, v25, vcc_lo
	v_or_b32_e32 v0, v0, v6
	v_readfirstlane_b32 s12, v24
	v_readfirstlane_b32 s13, v25
	v_and_or_b32 v0, 0x1e0, v35, v0
	global_store_dwordx4 v33, v[10:13], s[12:13] offset:16
	global_store_dwordx4 v33, v[14:17], s[12:13] offset:32
	global_store_dwordx4 v33, v[0:3], s[12:13]
	global_store_dwordx4 v33, v[18:21], s[12:13] offset:48
	s_and_saveexec_b32 s5, s4
	s_cbranch_execz .LBB1_352
; %bb.345:                              ;   in Loop: Header=BB1_280 Depth=1
	s_clause 0x1
	global_load_dwordx2 v[14:15], v7, s[6:7] offset:32 glc dlc
	global_load_dwordx2 v[0:1], v7, s[6:7] offset:40
	v_mov_b32_e32 v12, s10
	v_mov_b32_e32 v13, s11
	s_waitcnt vmcnt(0)
	v_readfirstlane_b32 s12, v0
	v_readfirstlane_b32 s13, v1
	s_and_b64 s[12:13], s[12:13], s[10:11]
	s_mul_i32 s13, s13, 24
	s_mul_hi_u32 s17, s12, 24
	s_mul_i32 s12, s12, 24
	s_add_i32 s17, s17, s13
	v_add_co_u32 v10, vcc_lo, v22, s12
	v_add_co_ci_u32_e64 v11, null, s17, v23, vcc_lo
	s_mov_b32 s12, exec_lo
	global_store_dwordx2 v[10:11], v[14:15], off
	s_waitcnt_vscnt null, 0x0
	global_atomic_cmpswap_x2 v[2:3], v7, v[12:15], s[6:7] offset:32 glc
	s_waitcnt vmcnt(0)
	v_cmpx_ne_u64_e64 v[2:3], v[14:15]
	s_cbranch_execz .LBB1_348
; %bb.346:                              ;   in Loop: Header=BB1_280 Depth=1
	s_mov_b32 s13, 0
.LBB1_347:                              ;   Parent Loop BB1_280 Depth=1
                                        ; =>  This Inner Loop Header: Depth=2
	v_mov_b32_e32 v0, s10
	v_mov_b32_e32 v1, s11
	s_sleep 1
	global_store_dwordx2 v[10:11], v[2:3], off
	s_waitcnt_vscnt null, 0x0
	global_atomic_cmpswap_x2 v[0:1], v7, v[0:3], s[6:7] offset:32 glc
	s_waitcnt vmcnt(0)
	v_cmp_eq_u64_e32 vcc_lo, v[0:1], v[2:3]
	v_mov_b32_e32 v3, v1
	v_mov_b32_e32 v2, v0
	s_or_b32 s13, vcc_lo, s13
	s_andn2_b32 exec_lo, exec_lo, s13
	s_cbranch_execnz .LBB1_347
.LBB1_348:                              ;   in Loop: Header=BB1_280 Depth=1
	s_or_b32 exec_lo, exec_lo, s12
	global_load_dwordx2 v[0:1], v7, s[6:7] offset:16
	s_mov_b32 s13, exec_lo
	s_mov_b32 s12, exec_lo
	v_mbcnt_lo_u32_b32 v2, s13, 0
	v_cmpx_eq_u32_e32 0, v2
	s_cbranch_execz .LBB1_350
; %bb.349:                              ;   in Loop: Header=BB1_280 Depth=1
	s_bcnt1_i32_b32 s13, s13
	v_mov_b32_e32 v6, s13
	s_waitcnt vmcnt(0)
	global_atomic_add_x2 v[0:1], v[6:7], off offset:8
.LBB1_350:                              ;   in Loop: Header=BB1_280 Depth=1
	s_or_b32 exec_lo, exec_lo, s12
	s_waitcnt vmcnt(0)
	global_load_dwordx2 v[2:3], v[0:1], off offset:16
	s_waitcnt vmcnt(0)
	v_cmp_eq_u64_e32 vcc_lo, 0, v[2:3]
	s_cbranch_vccnz .LBB1_352
; %bb.351:                              ;   in Loop: Header=BB1_280 Depth=1
	global_load_dword v6, v[0:1], off offset:24
	s_waitcnt vmcnt(0)
	v_readfirstlane_b32 s12, v6
	s_waitcnt_vscnt null, 0x0
	global_store_dwordx2 v[2:3], v[6:7], off
	s_and_b32 m0, s12, 0x7fffff
	s_sendmsg sendmsg(MSG_INTERRUPT)
.LBB1_352:                              ;   in Loop: Header=BB1_280 Depth=1
	s_or_b32 exec_lo, exec_lo, s5
	v_add_co_u32 v0, vcc_lo, v24, v33
	v_add_co_ci_u32_e64 v1, null, 0, v25, vcc_lo
	s_branch .LBB1_356
	.p2align	6
.LBB1_353:                              ;   in Loop: Header=BB1_356 Depth=2
	s_or_b32 exec_lo, exec_lo, s5
	v_readfirstlane_b32 s5, v2
	s_cmp_eq_u32 s5, 0
	s_cbranch_scc1 .LBB1_355
; %bb.354:                              ;   in Loop: Header=BB1_356 Depth=2
	s_sleep 1
	s_cbranch_execnz .LBB1_356
	s_branch .LBB1_358
	.p2align	6
.LBB1_355:                              ;   in Loop: Header=BB1_280 Depth=1
	s_branch .LBB1_358
.LBB1_356:                              ;   Parent Loop BB1_280 Depth=1
                                        ; =>  This Inner Loop Header: Depth=2
	v_mov_b32_e32 v2, 1
	s_and_saveexec_b32 s5, s4
	s_cbranch_execz .LBB1_353
; %bb.357:                              ;   in Loop: Header=BB1_356 Depth=2
	global_load_dword v2, v[30:31], off offset:20 glc dlc
	s_waitcnt vmcnt(0)
	buffer_gl1_inv
	buffer_gl0_inv
	v_and_b32_e32 v2, 1, v2
	s_branch .LBB1_353
.LBB1_358:                              ;   in Loop: Header=BB1_280 Depth=1
	global_load_dwordx2 v[0:1], v[0:1], off
	s_and_saveexec_b32 s12, s4
	s_cbranch_execz .LBB1_279
; %bb.359:                              ;   in Loop: Header=BB1_280 Depth=1
	s_clause 0x2
	global_load_dwordx2 v[2:3], v7, s[6:7] offset:40
	global_load_dwordx2 v[14:15], v7, s[6:7] offset:24 glc dlc
	global_load_dwordx2 v[10:11], v7, s[6:7]
	s_waitcnt vmcnt(2)
	v_readfirstlane_b32 s18, v2
	v_readfirstlane_b32 s19, v3
	s_add_u32 s13, s18, 1
	s_addc_u32 s17, s19, 0
	s_add_u32 s4, s13, s10
	s_addc_u32 s5, s17, s11
	s_cmp_eq_u64 s[4:5], 0
	s_cselect_b32 s5, s17, s5
	s_cselect_b32 s4, s13, s4
	v_mov_b32_e32 v13, s5
	s_and_b64 s[10:11], s[4:5], s[18:19]
	v_mov_b32_e32 v12, s4
	s_mul_i32 s11, s11, 24
	s_mul_hi_u32 s13, s10, 24
	s_mul_i32 s10, s10, 24
	s_add_i32 s13, s13, s11
	s_waitcnt vmcnt(0)
	v_add_co_u32 v2, vcc_lo, v10, s10
	v_add_co_ci_u32_e64 v3, null, s13, v11, vcc_lo
	global_store_dwordx2 v[2:3], v[14:15], off
	s_waitcnt_vscnt null, 0x0
	global_atomic_cmpswap_x2 v[12:13], v7, v[12:15], s[6:7] offset:24 glc
	s_waitcnt vmcnt(0)
	v_cmp_ne_u64_e32 vcc_lo, v[12:13], v[14:15]
	s_and_b32 exec_lo, exec_lo, vcc_lo
	s_cbranch_execz .LBB1_279
; %bb.360:                              ;   in Loop: Header=BB1_280 Depth=1
	s_mov_b32 s10, 0
.LBB1_361:                              ;   Parent Loop BB1_280 Depth=1
                                        ; =>  This Inner Loop Header: Depth=2
	v_mov_b32_e32 v10, s4
	v_mov_b32_e32 v11, s5
	s_sleep 1
	global_store_dwordx2 v[2:3], v[12:13], off
	s_waitcnt_vscnt null, 0x0
	global_atomic_cmpswap_x2 v[10:11], v7, v[10:13], s[6:7] offset:24 glc
	s_waitcnt vmcnt(0)
	v_cmp_eq_u64_e32 vcc_lo, v[10:11], v[12:13]
	v_mov_b32_e32 v13, v11
	v_mov_b32_e32 v12, v10
	s_or_b32 s10, vcc_lo, s10
	s_andn2_b32 exec_lo, exec_lo, s10
	s_cbranch_execnz .LBB1_361
	s_branch .LBB1_279
.LBB1_362:
	s_or_b32 exec_lo, exec_lo, s15
                                        ; implicit-def: $vgpr33
                                        ; implicit-def: $vgpr32
.LBB1_363:
	s_andn2_saveexec_b32 s14, s14
	s_cbranch_execz .LBB1_391
; %bb.364:
	v_readfirstlane_b32 s4, v32
	v_mov_b32_e32 v8, 0
	v_mov_b32_e32 v9, 0
	v_cmp_eq_u32_e64 s4, s4, v32
	s_and_saveexec_b32 s5, s4
	s_cbranch_execz .LBB1_370
; %bb.365:
	v_mov_b32_e32 v2, 0
	s_mov_b32 s10, exec_lo
	global_load_dwordx2 v[5:6], v2, s[6:7] offset:24 glc dlc
	s_waitcnt vmcnt(0)
	buffer_gl1_inv
	buffer_gl0_inv
	s_clause 0x1
	global_load_dwordx2 v[3:4], v2, s[6:7] offset:40
	global_load_dwordx2 v[7:8], v2, s[6:7]
	s_waitcnt vmcnt(1)
	v_and_b32_e32 v4, v4, v6
	v_and_b32_e32 v3, v3, v5
	v_mul_lo_u32 v4, v4, 24
	v_mul_hi_u32 v9, v3, 24
	v_mul_lo_u32 v3, v3, 24
	v_add_nc_u32_e32 v4, v9, v4
	s_waitcnt vmcnt(0)
	v_add_co_u32 v3, vcc_lo, v7, v3
	v_add_co_ci_u32_e64 v4, null, v8, v4, vcc_lo
	global_load_dwordx2 v[3:4], v[3:4], off glc dlc
	s_waitcnt vmcnt(0)
	global_atomic_cmpswap_x2 v[8:9], v2, v[3:6], s[6:7] offset:24 glc
	s_waitcnt vmcnt(0)
	buffer_gl1_inv
	buffer_gl0_inv
	v_cmpx_ne_u64_e64 v[8:9], v[5:6]
	s_cbranch_execz .LBB1_369
; %bb.366:
	s_mov_b32 s11, 0
	.p2align	6
.LBB1_367:                              ; =>This Inner Loop Header: Depth=1
	s_sleep 1
	s_clause 0x1
	global_load_dwordx2 v[3:4], v2, s[6:7] offset:40
	global_load_dwordx2 v[10:11], v2, s[6:7]
	v_mov_b32_e32 v5, v8
	v_mov_b32_e32 v6, v9
	s_waitcnt vmcnt(1)
	v_and_b32_e32 v3, v3, v5
	v_and_b32_e32 v4, v4, v6
	s_waitcnt vmcnt(0)
	v_mad_u64_u32 v[7:8], null, v3, 24, v[10:11]
	v_mov_b32_e32 v3, v8
	v_mad_u64_u32 v[3:4], null, v4, 24, v[3:4]
	v_mov_b32_e32 v8, v3
	global_load_dwordx2 v[3:4], v[7:8], off glc dlc
	s_waitcnt vmcnt(0)
	global_atomic_cmpswap_x2 v[8:9], v2, v[3:6], s[6:7] offset:24 glc
	s_waitcnt vmcnt(0)
	buffer_gl1_inv
	buffer_gl0_inv
	v_cmp_eq_u64_e32 vcc_lo, v[8:9], v[5:6]
	s_or_b32 s11, vcc_lo, s11
	s_andn2_b32 exec_lo, exec_lo, s11
	s_cbranch_execnz .LBB1_367
; %bb.368:
	s_or_b32 exec_lo, exec_lo, s11
.LBB1_369:
	s_or_b32 exec_lo, exec_lo, s10
.LBB1_370:
	s_or_b32 exec_lo, exec_lo, s5
	v_mov_b32_e32 v2, 0
	v_readfirstlane_b32 s11, v9
	v_readfirstlane_b32 s10, v8
	s_mov_b32 s5, exec_lo
	s_clause 0x1
	global_load_dwordx2 v[10:11], v2, s[6:7] offset:40
	global_load_dwordx4 v[4:7], v2, s[6:7]
	s_waitcnt vmcnt(1)
	v_readfirstlane_b32 s12, v10
	v_readfirstlane_b32 s13, v11
	s_and_b64 s[12:13], s[12:13], s[10:11]
	s_mul_i32 s15, s13, 24
	s_mul_hi_u32 s16, s12, 24
	s_mul_i32 s17, s12, 24
	s_add_i32 s16, s16, s15
	s_waitcnt vmcnt(0)
	v_add_co_u32 v8, vcc_lo, v4, s17
	v_add_co_ci_u32_e64 v9, null, s16, v5, vcc_lo
	s_and_saveexec_b32 s15, s4
	s_cbranch_execz .LBB1_372
; %bb.371:
	v_mov_b32_e32 v10, s5
	v_mov_b32_e32 v11, v2
	;; [unrolled: 1-line block ×4, first 2 shown]
	global_store_dwordx4 v[8:9], v[10:13], off offset:8
.LBB1_372:
	s_or_b32 exec_lo, exec_lo, s15
	s_lshl_b64 s[12:13], s[12:13], 12
	s_mov_b32 s16, 0
	v_add_co_u32 v6, vcc_lo, v6, s12
	v_add_co_ci_u32_e64 v7, null, s13, v7, vcc_lo
	s_mov_b32 s17, s16
	v_readfirstlane_b32 s12, v6
	v_add_co_u32 v6, vcc_lo, v6, v33
	s_mov_b32 s18, s16
	s_mov_b32 s19, s16
	v_and_or_b32 v0, 0xffffff1f, v0, 32
	v_mov_b32_e32 v3, v2
	v_readfirstlane_b32 s13, v7
	v_mov_b32_e32 v10, s16
	v_add_co_ci_u32_e64 v7, null, 0, v7, vcc_lo
	v_mov_b32_e32 v11, s17
	v_mov_b32_e32 v12, s18
	;; [unrolled: 1-line block ×3, first 2 shown]
	global_store_dwordx4 v33, v[0:3], s[12:13]
	global_store_dwordx4 v33, v[10:13], s[12:13] offset:16
	global_store_dwordx4 v33, v[10:13], s[12:13] offset:32
	;; [unrolled: 1-line block ×3, first 2 shown]
	s_and_saveexec_b32 s5, s4
	s_cbranch_execz .LBB1_380
; %bb.373:
	v_mov_b32_e32 v10, 0
	v_mov_b32_e32 v11, s10
	;; [unrolled: 1-line block ×3, first 2 shown]
	s_clause 0x1
	global_load_dwordx2 v[13:14], v10, s[6:7] offset:32 glc dlc
	global_load_dwordx2 v[0:1], v10, s[6:7] offset:40
	s_waitcnt vmcnt(0)
	v_readfirstlane_b32 s12, v0
	v_readfirstlane_b32 s13, v1
	s_and_b64 s[12:13], s[12:13], s[10:11]
	s_mul_i32 s13, s13, 24
	s_mul_hi_u32 s15, s12, 24
	s_mul_i32 s12, s12, 24
	s_add_i32 s15, s15, s13
	v_add_co_u32 v4, vcc_lo, v4, s12
	v_add_co_ci_u32_e64 v5, null, s15, v5, vcc_lo
	s_mov_b32 s12, exec_lo
	global_store_dwordx2 v[4:5], v[13:14], off
	s_waitcnt_vscnt null, 0x0
	global_atomic_cmpswap_x2 v[2:3], v10, v[11:14], s[6:7] offset:32 glc
	s_waitcnt vmcnt(0)
	v_cmpx_ne_u64_e64 v[2:3], v[13:14]
	s_cbranch_execz .LBB1_376
; %bb.374:
	s_mov_b32 s13, 0
.LBB1_375:                              ; =>This Inner Loop Header: Depth=1
	v_mov_b32_e32 v0, s10
	v_mov_b32_e32 v1, s11
	s_sleep 1
	global_store_dwordx2 v[4:5], v[2:3], off
	s_waitcnt_vscnt null, 0x0
	global_atomic_cmpswap_x2 v[0:1], v10, v[0:3], s[6:7] offset:32 glc
	s_waitcnt vmcnt(0)
	v_cmp_eq_u64_e32 vcc_lo, v[0:1], v[2:3]
	v_mov_b32_e32 v3, v1
	v_mov_b32_e32 v2, v0
	s_or_b32 s13, vcc_lo, s13
	s_andn2_b32 exec_lo, exec_lo, s13
	s_cbranch_execnz .LBB1_375
.LBB1_376:
	s_or_b32 exec_lo, exec_lo, s12
	v_mov_b32_e32 v3, 0
	s_mov_b32 s13, exec_lo
	s_mov_b32 s12, exec_lo
	v_mbcnt_lo_u32_b32 v2, s13, 0
	global_load_dwordx2 v[0:1], v3, s[6:7] offset:16
	v_cmpx_eq_u32_e32 0, v2
	s_cbranch_execz .LBB1_378
; %bb.377:
	s_bcnt1_i32_b32 s13, s13
	v_mov_b32_e32 v2, s13
	s_waitcnt vmcnt(0)
	global_atomic_add_x2 v[0:1], v[2:3], off offset:8
.LBB1_378:
	s_or_b32 exec_lo, exec_lo, s12
	s_waitcnt vmcnt(0)
	global_load_dwordx2 v[2:3], v[0:1], off offset:16
	s_waitcnt vmcnt(0)
	v_cmp_eq_u64_e32 vcc_lo, 0, v[2:3]
	s_cbranch_vccnz .LBB1_380
; %bb.379:
	global_load_dword v0, v[0:1], off offset:24
	v_mov_b32_e32 v1, 0
	s_waitcnt vmcnt(0)
	v_readfirstlane_b32 s12, v0
	s_waitcnt_vscnt null, 0x0
	global_store_dwordx2 v[2:3], v[0:1], off
	s_and_b32 m0, s12, 0x7fffff
	s_sendmsg sendmsg(MSG_INTERRUPT)
.LBB1_380:
	s_or_b32 exec_lo, exec_lo, s5
	s_branch .LBB1_384
	.p2align	6
.LBB1_381:                              ;   in Loop: Header=BB1_384 Depth=1
	s_or_b32 exec_lo, exec_lo, s5
	v_readfirstlane_b32 s5, v0
	s_cmp_eq_u32 s5, 0
	s_cbranch_scc1 .LBB1_383
; %bb.382:                              ;   in Loop: Header=BB1_384 Depth=1
	s_sleep 1
	s_cbranch_execnz .LBB1_384
	s_branch .LBB1_386
	.p2align	6
.LBB1_383:
	s_branch .LBB1_386
.LBB1_384:                              ; =>This Inner Loop Header: Depth=1
	v_mov_b32_e32 v0, 1
	s_and_saveexec_b32 s5, s4
	s_cbranch_execz .LBB1_381
; %bb.385:                              ;   in Loop: Header=BB1_384 Depth=1
	global_load_dword v0, v[8:9], off offset:20 glc dlc
	s_waitcnt vmcnt(0)
	buffer_gl1_inv
	buffer_gl0_inv
	v_and_b32_e32 v0, 1, v0
	s_branch .LBB1_381
.LBB1_386:
	global_load_dwordx2 v[0:1], v[6:7], off
	s_and_saveexec_b32 s12, s4
	s_cbranch_execz .LBB1_390
; %bb.387:
	v_mov_b32_e32 v8, 0
	s_clause 0x2
	global_load_dwordx2 v[2:3], v8, s[6:7] offset:40
	global_load_dwordx2 v[11:12], v8, s[6:7] offset:24 glc dlc
	global_load_dwordx2 v[4:5], v8, s[6:7]
	s_waitcnt vmcnt(2)
	v_readfirstlane_b32 s16, v2
	v_readfirstlane_b32 s17, v3
	s_add_u32 s13, s16, 1
	s_addc_u32 s15, s17, 0
	s_add_u32 s4, s13, s10
	s_addc_u32 s5, s15, s11
	s_cmp_eq_u64 s[4:5], 0
	s_cselect_b32 s5, s15, s5
	s_cselect_b32 s4, s13, s4
	v_mov_b32_e32 v10, s5
	s_and_b64 s[10:11], s[4:5], s[16:17]
	v_mov_b32_e32 v9, s4
	s_mul_i32 s11, s11, 24
	s_mul_hi_u32 s13, s10, 24
	s_mul_i32 s10, s10, 24
	s_add_i32 s13, s13, s11
	s_waitcnt vmcnt(0)
	v_add_co_u32 v6, vcc_lo, v4, s10
	v_add_co_ci_u32_e64 v7, null, s13, v5, vcc_lo
	global_store_dwordx2 v[6:7], v[11:12], off
	s_waitcnt_vscnt null, 0x0
	global_atomic_cmpswap_x2 v[4:5], v8, v[9:12], s[6:7] offset:24 glc
	s_waitcnt vmcnt(0)
	v_cmp_ne_u64_e32 vcc_lo, v[4:5], v[11:12]
	s_and_b32 exec_lo, exec_lo, vcc_lo
	s_cbranch_execz .LBB1_390
; %bb.388:
	s_mov_b32 s10, 0
.LBB1_389:                              ; =>This Inner Loop Header: Depth=1
	v_mov_b32_e32 v2, s4
	v_mov_b32_e32 v3, s5
	s_sleep 1
	global_store_dwordx2 v[6:7], v[4:5], off
	s_waitcnt_vscnt null, 0x0
	global_atomic_cmpswap_x2 v[2:3], v8, v[2:5], s[6:7] offset:24 glc
	s_waitcnt vmcnt(0)
	v_cmp_eq_u64_e32 vcc_lo, v[2:3], v[4:5]
	v_mov_b32_e32 v5, v3
	v_mov_b32_e32 v4, v2
	s_or_b32 s10, vcc_lo, s10
	s_andn2_b32 exec_lo, exec_lo, s10
	s_cbranch_execnz .LBB1_389
.LBB1_390:
	s_or_b32 exec_lo, exec_lo, s12
.LBB1_391:
	s_or_b32 exec_lo, exec_lo, s14
	s_getpc_b64 s[4:5]
	s_add_u32 s4, s4, .str.3@rel32@lo+4
	s_addc_u32 s5, s5, .str.3@rel32@hi+12
	s_getpc_b64 s[6:7]
	s_add_u32 s6, s6, .str.3@rel32@lo+32
	s_addc_u32 s7, s7, .str.3@rel32@hi+40
	s_sub_i32 s10, s6, s4
	s_getpc_b64 s[6:7]
	s_add_u32 s6, s6, __ockl_fprintf_append_string_n@rel32@lo+4
	s_addc_u32 s7, s7, __ockl_fprintf_append_string_n@rel32@hi+12
	s_ashr_i32 s11, s10, 31
	v_mov_b32_e32 v2, s4
	v_mov_b32_e32 v3, s5
	;; [unrolled: 1-line block ×5, first 2 shown]
	s_swappc_b64 s[30:31], s[6:7]
	s_trap 2
.Lfunc_end1:
	.size	__assert_fail, .Lfunc_end1-__assert_fail
                                        ; -- End function
	.set .L__assert_fail.num_vgpr, max(40, .L__ockl_fprintf_append_string_n.num_vgpr)
	.set .L__assert_fail.num_agpr, max(0, .L__ockl_fprintf_append_string_n.num_agpr)
	.set .L__assert_fail.numbered_sgpr, max(34, .L__ockl_fprintf_append_string_n.numbered_sgpr)
	.set .L__assert_fail.num_named_barrier, max(0, .L__ockl_fprintf_append_string_n.num_named_barrier)
	.set .L__assert_fail.private_seg_size, 64+max(.L__ockl_fprintf_append_string_n.private_seg_size)
	.set .L__assert_fail.uses_vcc, or(1, .L__ockl_fprintf_append_string_n.uses_vcc)
	.set .L__assert_fail.uses_flat_scratch, or(0, .L__ockl_fprintf_append_string_n.uses_flat_scratch)
	.set .L__assert_fail.has_dyn_sized_stack, or(0, .L__ockl_fprintf_append_string_n.has_dyn_sized_stack)
	.set .L__assert_fail.has_recursion, or(0, .L__ockl_fprintf_append_string_n.has_recursion)
	.set .L__assert_fail.has_indirect_call, or(0, .L__ockl_fprintf_append_string_n.has_indirect_call)
	.section	.AMDGPU.csdata,"",@progbits
; Function info:
; codeLenInByte = 15432
; TotalNumSgprs: 36
; NumVgprs: 40
; ScratchSize: 64
; MemoryBound: 0
	.text
	.p2align	2                               ; -- Begin function _ZN12_GLOBAL__N_17runRingI12rccl_bfloat810FuncMinMaxIS1_E11ProtoSimpleILi1ELi1ELi0ELi1ELi0ELi0EELi0ELi1ELi0EEEviiP15ncclDevWorkColl
	.type	_ZN12_GLOBAL__N_17runRingI12rccl_bfloat810FuncMinMaxIS1_E11ProtoSimpleILi1ELi1ELi0ELi1ELi0ELi0EELi0ELi1ELi0EEEviiP15ncclDevWorkColl,@function
_ZN12_GLOBAL__N_17runRingI12rccl_bfloat810FuncMinMaxIS1_E11ProtoSimpleILi1ELi1ELi0ELi1ELi0ELi0EELi0ELi1ELi0EEEviiP15ncclDevWorkColl: ; @_ZN12_GLOBAL__N_17runRingI12rccl_bfloat810FuncMinMaxIS1_E11ProtoSimpleILi1ELi1ELi0ELi1ELi0ELi0EELi0ELi1ELi0EEEviiP15ncclDevWorkColl
; %bb.0:
	s_waitcnt vmcnt(0) expcnt(0) lgkmcnt(0)
	s_mov_b32 s47, s33
	s_mov_b32 s33, s32
	s_or_saveexec_b32 s4, -1
	buffer_store_dword v58, off, s[0:3], s33 offset:40 ; 4-byte Folded Spill
	s_mov_b32 exec_lo, s4
	s_addk_i32 s32, 0x600
	buffer_store_dword v40, off, s[0:3], s33 offset:36 ; 4-byte Folded Spill
	buffer_store_dword v41, off, s[0:3], s33 offset:32 ; 4-byte Folded Spill
	;; [unrolled: 1-line block ×9, first 2 shown]
	buffer_store_dword v57, off, s[0:3], s33 ; 4-byte Folded Spill
	v_writelane_b32 v58, s30, 0
	v_writelane_b32 v58, s31, 1
	s_trap 2
	ds_read_b64 v[14:15], v0
	ds_read_b32 v6, v0
	flat_load_dwordx2 v[8:9], v[2:3]
                                        ; implicit-def: $vgpr26_vgpr27
                                        ; implicit-def: $vgpr18_vgpr19
	s_waitcnt lgkmcnt(2)
	v_ashrrev_i32_e32 v5, 31, v15
	v_mov_b32_e32 v4, v15
	v_lshlrev_b64 v[4:5], 2, v[4:5]
	v_add_co_u32 v4, vcc_lo, v14, v4
	v_add_co_ci_u32_e64 v5, null, v15, v5, vcc_lo
	v_add_co_u32 v4, vcc_lo, -4, v4
	v_add_co_ci_u32_e64 v5, null, -1, v5, vcc_lo
	flat_load_ushort v16, v[2:3] offset:8
	flat_load_dword v39, v[4:5]
                                        ; implicit-def: $vgpr4_vgpr5
	s_waitcnt vmcnt(2) lgkmcnt(2)
	v_mov_b32_e32 v15, v9
	v_cmp_ne_u32_sdwa s4, v6, v8 src0_sel:DWORD src1_sel:BYTE_0
	s_and_saveexec_b32 s5, s4
	s_xor_b32 s4, exec_lo, s5
	s_cbranch_execz .LBB2_6
; %bb.1:
	v_not_b32_sdwa v9, v8 dst_sel:DWORD dst_unused:UNUSED_PAD src0_sel:BYTE_0
	v_cmp_ne_u32_sdwa s5, v6, v8 src0_sel:DWORD src1_sel:BYTE_1
                                        ; implicit-def: $vgpr26_vgpr27
                                        ; implicit-def: $vgpr4_vgpr5
                                        ; implicit-def: $vgpr18_vgpr19
	s_and_saveexec_b32 s6, s5
	s_xor_b32 s5, exec_lo, s6
	s_cbranch_execz .LBB2_3
; %bb.2:
	s_clause 0x1
	flat_load_dwordx4 v[10:13], v[2:3] offset:72
	flat_load_dwordx2 v[4:5], v[2:3] offset:96
	v_add_nc_u32_e32 v6, v6, v9
                                        ; implicit-def: $vgpr8
                                        ; implicit-def: $vgpr9
	v_ashrrev_i32_e32 v7, 31, v6
	s_waitcnt vmcnt(1) lgkmcnt(1)
	v_mul_lo_u32 v7, v12, v7
	v_mad_u64_u32 v[18:19], null, v12, v6, v[10:11]
	v_mul_lo_u32 v6, v13, v6
	s_waitcnt vmcnt(0) lgkmcnt(0)
	v_lshrrev_b64 v[26:27], 12, v[4:5]
	v_mov_b32_e32 v4, v12
	v_mov_b32_e32 v5, v13
	v_add3_u32 v19, v6, v19, v7
.LBB2_3:
	s_andn2_saveexec_b32 s5, s5
	s_cbranch_execz .LBB2_5
; %bb.4:
	s_clause 0x1
	flat_load_dwordx4 v[10:13], v[2:3] offset:72
	flat_load_dwordx4 v[4:7], v[2:3] offset:88
	s_waitcnt vmcnt(0) lgkmcnt(0)
	v_add_nc_u32_sdwa v6, v8, v9 dst_sel:DWORD dst_unused:UNUSED_PAD src0_sel:BYTE_1 src1_sel:DWORD
	v_ashrrev_i32_e32 v8, 31, v6
	v_mul_lo_u32 v8, v12, v8
	v_mad_u64_u32 v[18:19], null, v12, v6, v[10:11]
	v_mul_lo_u32 v6, v13, v6
	v_lshrrev_b32_e32 v26, 1, v7
	v_add3_u32 v19, v6, v19, v8
.LBB2_5:
	s_or_b32 exec_lo, exec_lo, s5
.LBB2_6:
	s_andn2_saveexec_b32 s4, s4
	s_cbranch_execz .LBB2_8
; %bb.7:
	s_clause 0x1
	flat_load_dwordx2 v[6:7], v[2:3] offset:96
	flat_load_dwordx2 v[4:5], v[2:3] offset:72
	v_mov_b32_e32 v18, 0
	v_mov_b32_e32 v19, 0
	s_waitcnt vmcnt(1) lgkmcnt(1)
	v_lshlrev_b64 v[26:27], 9, v[6:7]
.LBB2_8:
	s_or_b32 exec_lo, exec_lo, s4
	s_trap 2
	ds_read_b64 v[6:7], v0
	s_mov_b32 s5, exec_lo
	s_waitcnt lgkmcnt(0)
	v_cmp_ne_u32_e32 vcc_lo, -1, v6
	v_cndmask_b32_e64 v38, 0, 1, vcc_lo
	v_cmp_ne_u32_e32 vcc_lo, -1, v7
	v_add_co_ci_u32_e64 v6, null, 0, v38, vcc_lo
	v_lshlrev_b32_e32 v7, 1, v6
	v_cmpx_le_u32_e64 v7, v1
	s_xor_b32 s15, exec_lo, s5
	s_cbranch_execz .LBB2_4207
; %bb.9:
	s_clause 0x1
	flat_load_dwordx4 v[10:13], v[2:3] offset:16
	flat_load_dwordx2 v[32:33], v[2:3] offset:104
	s_trap 2
	s_load_dword s4, s[8:9], 0x0
	v_mov_b32_e32 v2, 0
	v_mov_b32_e32 v68, 4
	s_waitcnt lgkmcnt(0)
	s_cmp_lt_u32 s12, s4
	s_cselect_b32 s4, 12, 18
	s_add_u32 s4, s8, s4
	s_addc_u32 s5, s9, 0
	global_load_ushort v30, v2, s[4:5]
	ds_read_b32 v2, v0
	s_mov_b32 s5, exec_lo
	s_waitcnt lgkmcnt(0)
	v_readfirstlane_b32 s16, v2
	v_cmpx_ge_u32_e64 v0, v38
	s_cbranch_execz .LBB2_19
; %bb.10:
	v_cmp_ge_u32_e64 s4, v0, v6
                                        ; implicit-def: $vgpr68
	s_and_saveexec_b32 s6, s4
	s_xor_b32 s4, exec_lo, s6
	s_cbranch_execz .LBB2_16
; %bb.11:
	v_cndmask_b32_e64 v2, 0, 1, vcc_lo
	s_mov_b32 s6, exec_lo
	v_sub_nc_u32_e32 v2, v1, v2
	v_cmpx_ge_u32_e64 v0, v2
	s_xor_b32 s6, exec_lo, s6
; %bb.12:
                                        ; implicit-def: $vgpr6
; %bb.13:
	s_or_saveexec_b32 s6, s6
	v_mov_b32_e32 v68, 16
	s_xor_b32 exec_lo, exec_lo, s6
; %bb.14:
	v_sub_nc_u32_e32 v2, v1, v6
	v_cmp_lt_i32_e32 vcc_lo, v0, v2
	v_cndmask_b32_e64 v68, 32, 0, vcc_lo
; %bb.15:
	s_or_b32 exec_lo, exec_lo, s6
.LBB2_16:
	s_andn2_saveexec_b32 s4, s4
; %bb.17:
	v_mov_b32_e32 v68, 8
; %bb.18:
	s_or_b32 exec_lo, exec_lo, s4
.LBB2_19:
	s_or_b32 exec_lo, exec_lo, s5
	v_and_b32_e32 v2, 36, v68
	v_mov_b32_e32 v36, -1
	v_cmp_ne_u32_e32 vcc_lo, 0, v2
	s_and_saveexec_b32 s4, vcc_lo
	s_cbranch_execz .LBB2_21
; %bb.20:
	s_trap 2
	ds_read_b32 v36, v0
.LBB2_21:
	s_or_b32 exec_lo, exec_lo, s4
	v_and_b32_e32 v2, 24, v68
	s_mov_b32 s5, exec_lo
	v_cmpx_ne_u32_e32 0, v2
	s_cbranch_execz .LBB2_23
; %bb.22:
	s_trap 2
	s_waitcnt lgkmcnt(0)
	ds_read_b32 v36, v0
.LBB2_23:
	s_or_b32 exec_lo, exec_lo, s5
	s_waitcnt vmcnt(4)
	v_lshrrev_b64 v[2:3], 31, v[15:16]
	v_mov_b32_e32 v20, 0
	v_mov_b32_e32 v6, 0
	v_mov_b32_e32 v21, 0
	s_waitcnt lgkmcnt(0)
	v_ashrrev_i32_e32 v37, 31, v36
	v_mov_b32_e32 v7, 0
	v_and_b32_e32 v2, 3, v2
                                        ; implicit-def: $vgpr69
                                        ; implicit-def: $vgpr28_vgpr29
                                        ; implicit-def: $vgpr24_vgpr25
                                        ; implicit-def: $vgpr22_vgpr23
	v_and_b32_e32 v27, 0xffff, v2
                                        ; implicit-def: $vgpr2_vgpr3
	s_and_saveexec_b32 s4, vcc_lo
	s_cbranch_execz .LBB2_33
; %bb.24:
	s_trap 2
	ds_read_b64 v[2:3], v0
	v_lshlrev_b64 v[6:7], 3, v[36:37]
	s_waitcnt lgkmcnt(0)
	v_add_co_u32 v2, vcc_lo, v2, v6
	v_add_co_ci_u32_e64 v3, null, v3, v7, vcc_lo
	flat_load_dwordx2 v[2:3], v[2:3]
	s_waitcnt vmcnt(0) lgkmcnt(0)
	v_mad_u64_u32 v[16:17], null, 0xa8, v27, v[2:3]
	flat_load_dword v2, v[16:17] offset:640
	s_waitcnt vmcnt(0) lgkmcnt(0)
	v_cmp_eq_u32_e32 vcc_lo, 1, v2
                                        ; implicit-def: $vgpr2_vgpr3
	s_and_saveexec_b32 s5, vcc_lo
	s_cbranch_execz .LBB2_26
; %bb.25:
	flat_load_dwordx2 v[2:3], v[16:17] offset:648
	v_or_b32_e32 v68, 0x2000, v68
	s_waitcnt vmcnt(0) lgkmcnt(0)
	flat_load_dwordx2 v[6:7], v[2:3]
	s_trap 2
	s_waitcnt vmcnt(0) lgkmcnt(0)
	ds_write_b64 v0, v[6:7]
	flat_load_dwordx2 v[6:7], v[2:3] offset:8
	s_waitcnt vmcnt(0) lgkmcnt(0)
	ds_write_b64 v0, v[6:7]
	flat_load_dwordx2 v[6:7], v[2:3] offset:16
	s_waitcnt vmcnt(0) lgkmcnt(0)
	ds_write_b64 v0, v[6:7]
.LBB2_26:
	s_or_b32 exec_lo, exec_lo, s5
	flat_load_dwordx2 v[8:9], v[16:17] offset:608
	v_and_b32_e32 v6, 32, v68
	s_mov_b32 s5, exec_lo
                                        ; implicit-def: $vgpr22_vgpr23
	v_cmpx_ne_u32_e32 0, v6
	s_cbranch_execz .LBB2_28
; %bb.27:
	flat_load_dwordx2 v[22:23], v[16:17] offset:560
	s_waitcnt vmcnt(0) lgkmcnt(0)
	s_waitcnt_vscnt null, 0x0
	flat_store_dwordx2 v[22:23], v[8:9]
.LBB2_28:
	s_or_b32 exec_lo, exec_lo, s5
	v_and_b32_e32 v24, 4, v68
	v_add_co_u32 v20, vcc_lo, 0x1f8, v16
	v_mov_b32_e32 v6, 0
	v_add_co_ci_u32_e64 v21, null, 0, v17, vcc_lo
	v_mov_b32_e32 v7, 0
	v_cmp_ne_u32_e32 vcc_lo, 0, v24
                                        ; implicit-def: $vgpr69
                                        ; implicit-def: $vgpr28_vgpr29
                                        ; implicit-def: $vgpr24_vgpr25
	s_and_saveexec_b32 s5, vcc_lo
	s_cbranch_execz .LBB2_32
; %bb.29:
	v_and_b32_e32 v6, 0x800, v68
	s_mov_b32 s6, exec_lo
	v_cmpx_eq_u32_e32 0, v6
	s_cbranch_execz .LBB2_31
; %bb.30:
	s_trap 2
	ds_write_b64 v0, v[20:21]
.LBB2_31:
	s_or_b32 exec_lo, exec_lo, s6
	flat_load_dwordx2 v[22:23], v[16:17] offset:552
	s_waitcnt vmcnt(0) lgkmcnt(0)
	flat_load_dwordx2 v[28:29], v[22:23] glc dlc
	s_clause 0x2
	flat_load_dwordx2 v[6:7], v[16:17] offset:600
	flat_load_dword v69, v[16:17] offset:576
	flat_load_dwordx2 v[24:25], v[16:17] offset:520
	v_or_b32_e32 v16, 0x100, v68
	s_waitcnt vmcnt(2) lgkmcnt(2)
	v_cmp_eq_u64_e32 vcc_lo, 0, v[6:7]
	v_cndmask_b32_e32 v68, v16, v68, vcc_lo
.LBB2_32:
	s_or_b32 exec_lo, exec_lo, s5
.LBB2_33:
	s_or_b32 exec_lo, exec_lo, s4
	v_and_b32_e32 v16, 24, v68
	s_mov_b32 s4, exec_lo
                                        ; implicit-def: $vgpr34_vgpr35
	v_cmpx_ne_u32_e32 0, v16
	s_cbranch_execz .LBB2_41
; %bb.34:
	s_trap 2
	ds_read_b64 v[6:7], v0
	s_waitcnt vmcnt(0) lgkmcnt(1)
	v_lshlrev_b64 v[8:9], 3, v[36:37]
	v_or_b32_e32 v16, 0x100, v68
	s_mov_b32 s5, exec_lo
                                        ; implicit-def: $vgpr34_vgpr35
	s_waitcnt lgkmcnt(0)
	v_add_co_u32 v6, vcc_lo, v6, v8
	v_add_co_ci_u32_e64 v7, null, v7, v9, vcc_lo
	flat_load_dwordx2 v[6:7], v[6:7]
	s_waitcnt vmcnt(0) lgkmcnt(0)
	v_mad_u64_u32 v[20:21], null, 0xa8, v27, v[6:7]
	flat_load_dwordx4 v[6:9], v[20:21] offset:96
	s_waitcnt vmcnt(0) lgkmcnt(0)
	v_cmp_eq_u64_e32 vcc_lo, 0, v[6:7]
	v_cndmask_b32_e32 v68, v16, v68, vcc_lo
	v_and_b32_e32 v16, 16, v68
	v_cmpx_ne_u32_e32 0, v16
	s_cbranch_execz .LBB2_36
; %bb.35:
	s_clause 0x2
	flat_load_dwordx2 v[22:23], v[20:21] offset:48
	flat_load_dwordx2 v[34:35], v[20:21] offset:120
	;; [unrolled: 1-line block ×3, first 2 shown]
.LBB2_36:
	s_or_b32 exec_lo, exec_lo, s5
	v_and_b32_e32 v16, 8, v68
	s_mov_b32 s5, exec_lo
	v_cmpx_ne_u32_e32 0, v16
	s_cbranch_execz .LBB2_40
; %bb.37:
	v_and_b32_e32 v16, 0x800, v68
	s_mov_b32 s6, exec_lo
	v_cmpx_eq_u32_e32 0, v16
	s_cbranch_execz .LBB2_39
; %bb.38:
	s_trap 2
	ds_write_b64 v0, v[20:21]
.LBB2_39:
	s_or_b32 exec_lo, exec_lo, s6
	s_waitcnt vmcnt(2) lgkmcnt(2)
	flat_load_dwordx2 v[22:23], v[20:21] offset:56
	s_waitcnt vmcnt(0) lgkmcnt(0)
	flat_load_dwordx2 v[28:29], v[22:23] glc dlc
	s_clause 0x1
	flat_load_dword v69, v[20:21] offset:72
	flat_load_dwordx2 v[24:25], v[20:21] offset:16
.LBB2_40:
	s_or_b32 exec_lo, exec_lo, s5
.LBB2_41:
	s_or_b32 exec_lo, exec_lo, s4
	v_cmp_eq_u32_e64 s4, 0, v0
	s_and_saveexec_b32 s5, s4
	s_cbranch_execz .LBB2_43
; %bb.42:
	v_mov_b32_e32 v16, 0
	s_waitcnt vmcnt(2)
	ds_write2_b64 v0, v[12:13], v[10:11] offset1:1
	s_trap 2
	v_mov_b32_e32 v17, v16
	ds_write_b64 v0, v[16:17]
	s_waitcnt vmcnt(1)
	ds_write_b64 v0, v[32:33]
.LBB2_43:
	s_or_b32 exec_lo, exec_lo, s5
	s_waitcnt vmcnt(2)
	v_bfe_u32 v10, v15, 1, 30
	s_waitcnt vmcnt(1)
	v_and_b32_e32 v32, 0x3ffffe00, v26
	v_mov_b32_e32 v33, 0
                                        ; implicit-def: $vgpr26_vgpr27
	s_mov_b32 s5, exec_lo
	v_cmpx_ne_u32_e64 v39, v10
	s_xor_b32 s17, exec_lo, s5
	s_cbranch_execz .LBB2_4001
; %bb.44:
                                        ; implicit-def: $vgpr26_vgpr27
	s_mov_b32 s5, exec_lo
	v_cmpx_ne_u32_e64 v14, v10
	s_xor_b32 s18, exec_lo, s5
	s_cbranch_execz .LBB2_2028
; %bb.45:
	v_mov_b32_e32 v26, 0
	v_mov_b32_e32 v27, 0
	s_mov_b32 s19, exec_lo
	v_cmpx_ne_u64_e32 0, v[4:5]
	s_cbranch_execz .LBB2_2027
; %bb.46:
	v_and_b32_e32 v71, 31, v0
	v_and_b32_e32 v10, 31, v31
	v_lshrrev_b32_e32 v80, 5, v1
	s_ashr_i32 s6, s16, 31
	v_cmp_eq_u32_e32 vcc_lo, 32, v1
	s_lshr_b32 s6, s6, 24
	v_cmp_le_u32_e64 s10, v71, v38
	v_cmp_lt_u32_e64 s11, v71, v38
	v_mov_b32_e32 v38, 0
	s_waitcnt lgkmcnt(1)
	v_cmp_eq_u64_e64 s12, 0, v[34:35]
	v_mov_b32_e32 v26, 0
	v_cmp_ge_u32_e64 s5, v0, v1
	v_ashrrev_i32_e32 v70, 31, v69
	s_add_i32 s13, s16, s6
	v_cmp_ne_u32_e64 s6, 32, v1
	s_waitcnt vmcnt(0)
	v_cmp_ne_u32_sdwa s20, v1, v30 src0_sel:DWORD src1_sel:WORD_0
	v_cmp_eq_u32_e64 s7, 0, v10
	v_mov_b32_e32 v36, 0
	v_lshrrev_b32_e32 v81, 5, v0
	v_lshlrev_b32_e32 v82, 4, v0
	v_lshlrev_b32_e32 v83, 9, v80
	;; [unrolled: 1-line block ×3, first 2 shown]
	v_and_b32_e32 v85, 0x1fe0, v1
	v_mov_b32_e32 v39, 0
	v_mov_b32_e32 v86, 1
	;; [unrolled: 1-line block ×9, first 2 shown]
	s_ashr_i32 s22, s13, 8
	s_mov_b32 s21, 0
	s_xor_b32 s23, vcc_lo, -1
	s_trap 2
	s_branch .LBB2_49
.LBB2_47:                               ;   in Loop: Header=BB2_49 Depth=1
	s_or_b32 exec_lo, exec_lo, s13
.LBB2_48:                               ;   in Loop: Header=BB2_49 Depth=1
	s_or_b32 exec_lo, exec_lo, s14
	v_add_co_u32 v38, vcc_lo, v38, v32
	v_add_co_ci_u32_e64 v39, null, 0, v39, vcc_lo
	v_cmp_ge_u64_e32 vcc_lo, v[38:39], v[4:5]
	s_or_b32 s21, vcc_lo, s21
	s_andn2_b32 exec_lo, exec_lo, s21
	s_cbranch_execz .LBB2_2026
.LBB2_49:                               ; =>This Loop Header: Depth=1
                                        ;     Child Loop BB2_58 Depth 2
                                        ;     Child Loop BB2_86 Depth 2
	;; [unrolled: 1-line block ×10, first 2 shown]
	v_sub_co_u32 v10, vcc_lo, v4, v38
	v_sub_co_ci_u32_e64 v11, null, v5, v39, vcc_lo
	v_cmp_lt_u64_e32 vcc_lo, v[32:33], v[10:11]
	v_cndmask_b32_e32 v48, v10, v32, vcc_lo
	v_cndmask_b32_e64 v49, v11, 0, vcc_lo
	v_add_nc_u32_e32 v10, 15, v48
	v_cmp_eq_u64_e32 vcc_lo, 0, v[48:49]
	v_and_b32_e32 v10, 0x7ffffff0, v10
	s_or_b32 s24, s5, vcc_lo
	s_xor_b32 s13, s24, -1
	v_max_i32_e32 v49, s22, v10
	v_mov_b32_e32 v10, 0
	s_and_saveexec_b32 s25, s13
	s_cbranch_execz .LBB2_1974
; %bb.50:                               ;   in Loop: Header=BB2_49 Depth=1
	s_and_saveexec_b32 s13, s4
	s_cbranch_execz .LBB2_52
; %bb.51:                               ;   in Loop: Header=BB2_49 Depth=1
	s_trap 2
	ds_read_b64 v[10:11], v0
	v_mov_b32_e32 v37, v36
	s_waitcnt lgkmcnt(0)
	v_add_co_u32 v10, vcc_lo, v10, v18
	v_add_co_ci_u32_e64 v11, null, v11, v19, vcc_lo
	v_add_co_u32 v10, vcc_lo, v10, v38
	v_add_co_ci_u32_e64 v11, null, v11, v39, vcc_lo
	ds_write_b64 v0, v[10:11]
	ds_write_b64 v0, v[36:37]
.LBB2_52:                               ;   in Loop: Header=BB2_49 Depth=1
	s_or_b32 exec_lo, exec_lo, s13
	v_and_b32_e32 v10, 12, v68
	v_min_u32_e32 v49, v49, v48
	s_mov_b32 s14, exec_lo
	v_cmpx_ne_u32_e32 0, v10
	s_cbranch_execz .LBB2_78
; %bb.53:                               ;   in Loop: Header=BB2_49 Depth=1
	v_and_b32_e32 v14, 8, v68
	s_mov_b32 s26, exec_lo
	s_waitcnt vmcnt(0)
	v_add_co_u32 v12, vcc_lo, v28, v14
	v_add_co_ci_u32_e64 v13, null, 0, v29, vcc_lo
	s_waitcnt lgkmcnt(0)
	v_add_co_u32 v10, vcc_lo, v8, 1
	v_add_co_ci_u32_e64 v11, null, 0, v9, vcc_lo
	v_cmpx_lt_u64_e64 v[12:13], v[10:11]
	s_cbranch_execz .LBB2_65
; %bb.54:                               ;   in Loop: Header=BB2_49 Depth=1
	v_and_b32_e32 v9, 64, v68
	s_mov_b32 s27, 0
	s_mov_b32 s41, 0
                                        ; implicit-def: $sgpr28
                                        ; implicit-def: $sgpr29
                                        ; implicit-def: $sgpr40
	v_cmp_eq_u32_e32 vcc_lo, 0, v9
	s_branch .LBB2_58
.LBB2_55:                               ;   in Loop: Header=BB2_58 Depth=2
	s_waitcnt vmcnt(0) lgkmcnt(0)
	v_add_co_u32 v12, s13, v28, v14
	v_add_co_ci_u32_e64 v13, null, 0, v29, s13
	s_or_b32 s44, s44, exec_lo
	v_cmp_ge_u64_e64 s13, v[12:13], v[10:11]
	s_orn2_b32 s43, s13, exec_lo
.LBB2_56:                               ;   in Loop: Header=BB2_58 Depth=2
	s_or_b32 exec_lo, exec_lo, s46
	s_andn2_b32 s13, s40, exec_lo
	s_and_b32 s40, s44, exec_lo
	s_andn2_b32 s29, s29, exec_lo
	s_and_b32 s43, s43, exec_lo
	s_or_b32 s40, s13, s40
	s_or_b32 s29, s29, s43
.LBB2_57:                               ;   in Loop: Header=BB2_58 Depth=2
	s_or_b32 exec_lo, exec_lo, s42
	s_and_b32 s13, exec_lo, s29
	s_or_b32 s27, s13, s27
	s_andn2_b32 s13, s28, exec_lo
	s_and_b32 s28, s40, exec_lo
	s_or_b32 s28, s13, s28
	s_andn2_b32 exec_lo, exec_lo, s27
	s_cbranch_execz .LBB2_62
.LBB2_58:                               ;   Parent Loop BB2_49 Depth=1
                                        ; =>  This Inner Loop Header: Depth=2
	s_sleep 1
	s_waitcnt vmcnt(0) lgkmcnt(0)
	flat_load_dwordx2 v[28:29], v[22:23] glc dlc
	s_or_b32 s40, s40, exec_lo
	s_or_b32 s29, s29, exec_lo
                                        ; implicit-def: $vgpr9
	s_and_saveexec_b32 s42, vcc_lo
	s_cbranch_execz .LBB2_57
; %bb.59:                               ;   in Loop: Header=BB2_58 Depth=2
	s_cmpk_lt_i32 s41, 0x270f
	s_mov_b32 s43, -1
	s_cselect_b32 s45, -1, 0
	s_cmpk_gt_i32 s41, 0x270e
	s_cbranch_scc0 .LBB2_61
; %bb.60:                               ;   in Loop: Header=BB2_58 Depth=2
	s_trap 2
	ds_read_b64 v[12:13], v0
	s_andn2_b32 s41, s45, exec_lo
	s_mov_b32 s44, 0
	s_waitcnt vmcnt(0) lgkmcnt(0)
	s_waitcnt_vscnt null, 0x0
	flat_load_dword v9, v[12:13] glc dlc
	s_waitcnt vmcnt(0) lgkmcnt(0)
	buffer_gl1_inv
	buffer_gl0_inv
	v_cmp_eq_u32_e64 s13, 0, v9
	s_and_b32 s13, s13, exec_lo
	s_or_b32 s45, s41, s13
	s_mov_b32 s41, 0
	s_and_saveexec_b32 s46, s45
	s_cbranch_execz .LBB2_56
	s_branch .LBB2_55
.LBB2_61:                               ;   in Loop: Header=BB2_58 Depth=2
	s_add_i32 s41, s41, 1
	s_mov_b32 s44, -1
                                        ; implicit-def: $vgpr9
	s_and_saveexec_b32 s46, s45
	s_cbranch_execz .LBB2_56
	s_branch .LBB2_55
.LBB2_62:                               ;   in Loop: Header=BB2_49 Depth=1
	s_or_b32 exec_lo, exec_lo, s27
	s_xor_b32 s13, s28, -1
	s_and_saveexec_b32 s27, s13
	s_xor_b32 s13, exec_lo, s27
	s_cbranch_execz .LBB2_64
; %bb.63:                               ;   in Loop: Header=BB2_49 Depth=1
	v_or_b32_e32 v68, 64, v68
	s_waitcnt vmcnt(0) lgkmcnt(0)
	s_waitcnt_vscnt null, 0x0
	ds_write_b32 v0, v9
	s_trap 2
.LBB2_64:                               ;   in Loop: Header=BB2_49 Depth=1
	s_or_b32 exec_lo, exec_lo, s13
.LBB2_65:                               ;   in Loop: Header=BB2_49 Depth=1
	s_or_b32 exec_lo, exec_lo, s26
	v_and_b32_e32 v9, 0x108, v68
	v_and_b32_e32 v15, 7, v8
	s_mov_b32 s13, exec_lo
	;;#ASMSTART
	s_wakeup
	;;#ASMEND
	v_cmpx_ne_u32_e32 0x108, v9
	s_xor_b32 s13, exec_lo, s13
                                        ; implicit-def: $vgpr16
; %bb.66:                               ;   in Loop: Header=BB2_49 Depth=1
	v_mov_b32_e32 v16, v36
; %bb.67:                               ;   in Loop: Header=BB2_49 Depth=1
	s_andn2_saveexec_b32 s13, s13
	s_cbranch_execz .LBB2_69
; %bb.68:                               ;   in Loop: Header=BB2_49 Depth=1
	v_mad_u64_u32 v[8:9], null, v15, 24, v[6:7]
	v_mov_b32_e32 v50, v36
	v_mov_b32_e32 v16, v36
	flat_store_dwordx2 v[8:9], v[49:50] offset:8
.LBB2_69:                               ;   in Loop: Header=BB2_49 Depth=1
	s_or_b32 exec_lo, exec_lo, s13
	v_and_b32_e32 v8, 0x100, v68
	s_mov_b32 s13, -1
	v_cmp_ne_u32_e32 vcc_lo, 0, v8
                                        ; implicit-def: $vgpr8_vgpr9
	s_and_saveexec_b32 s26, vcc_lo
	s_cbranch_execz .LBB2_73
; %bb.70:                               ;   in Loop: Header=BB2_49 Depth=1
	v_mad_u64_u32 v[12:13], null, v15, 24, v[6:7]
	v_mov_b32_e32 v8, v13
	v_mad_u64_u32 v[8:9], null, v16, 24, v[8:9]
	v_mov_b32_e32 v13, v8
	flat_load_dword v8, v[12:13]
	s_waitcnt vmcnt(0) lgkmcnt(0)
	v_cmp_eq_u32_e64 s13, 1, v8
	v_cmp_ne_u32_e32 vcc_lo, 1, v8
                                        ; implicit-def: $vgpr8_vgpr9
	s_and_saveexec_b32 s27, s13
	s_cbranch_execz .LBB2_72
; %bb.71:                               ;   in Loop: Header=BB2_49 Depth=1
	flat_load_dword v8, v[12:13] offset:4 glc dlc
	s_waitcnt vmcnt(0) lgkmcnt(0)
	v_ashrrev_i32_e32 v9, 31, v8
.LBB2_72:                               ;   in Loop: Header=BB2_49 Depth=1
	s_or_b32 exec_lo, exec_lo, s27
	s_orn2_b32 s13, vcc_lo, exec_lo
.LBB2_73:                               ;   in Loop: Header=BB2_49 Depth=1
	s_or_b32 exec_lo, exec_lo, s26
	s_and_saveexec_b32 s26, s13
; %bb.74:                               ;   in Loop: Header=BB2_49 Depth=1
	v_mul_lo_u32 v12, v16, v69
	v_mul_lo_u32 v13, v15, v70
	v_mad_u64_u32 v[8:9], null, v15, v69, 0
	v_add3_u32 v9, v9, v13, v12
; %bb.75:                               ;   in Loop: Header=BB2_49 Depth=1
	s_or_b32 exec_lo, exec_lo, s26
	v_cmp_eq_u32_e32 vcc_lo, 0, v14
	v_and_b32_e32 v13, 0x2000, v68
	s_mov_b32 s13, exec_lo
	v_cndmask_b32_e32 v12, 0xc8, v87, vcc_lo
	v_add_co_u32 v8, vcc_lo, v24, v8
	v_add_co_ci_u32_e64 v9, null, v25, v9, vcc_lo
	v_add_nc_u32_e32 v12, v0, v12
	ds_write_b64 v12, v[8:9] offset:584
	v_cmpx_ne_u32_e32 0, v13
	s_cbranch_execz .LBB2_77
; %bb.76:                               ;   in Loop: Header=BB2_49 Depth=1
	ds_read_b64 v[8:9], v0 offset:872
	s_waitcnt lgkmcnt(0)
	v_add_co_u32 v8, vcc_lo, v8, 1
	v_add_co_ci_u32_e64 v9, null, 0, v9, vcc_lo
	ds_write_b64 v0, v[8:9] offset:872
.LBB2_77:                               ;   in Loop: Header=BB2_49 Depth=1
	s_or_b32 exec_lo, exec_lo, s13
	v_mov_b32_e32 v8, v10
	v_mov_b32_e32 v9, v11
.LBB2_78:                               ;   in Loop: Header=BB2_49 Depth=1
	s_or_b32 exec_lo, exec_lo, s14
	s_and_saveexec_b32 s13, s6
	s_cbranch_execz .LBB2_97
; %bb.79:                               ;   in Loop: Header=BB2_49 Depth=1
	s_and_saveexec_b32 s14, s20
	s_xor_b32 s14, exec_lo, s14
	s_cbranch_execz .LBB2_94
; %bb.80:                               ;   in Loop: Header=BB2_49 Depth=1
	s_and_saveexec_b32 s26, s7
	s_cbranch_execz .LBB2_93
; %bb.81:                               ;   in Loop: Header=BB2_49 Depth=1
	s_mov_b32 s28, exec_lo
	s_mov_b32 s27, exec_lo
	v_mbcnt_lo_u32_b32 v10, s28, 0
	s_waitcnt vmcnt(0) lgkmcnt(0)
	s_waitcnt_vscnt null, 0x0
	buffer_gl1_inv
	buffer_gl0_inv
	v_cmpx_eq_u32_e32 0, v10
	s_cbranch_execz .LBB2_83
; %bb.82:                               ;   in Loop: Header=BB2_49 Depth=1
	s_bcnt1_i32_b32 s28, s28
	v_mov_b32_e32 v11, v36
	v_mov_b32_e32 v10, s28
	ds_add_u64 v0, v[10:11]
	s_trap 2
.LBB2_83:                               ;   in Loop: Header=BB2_49 Depth=1
	s_or_b32 exec_lo, exec_lo, s27
	s_trap 2
	ds_read_b64 v[10:11], v0
	s_waitcnt lgkmcnt(0)
	buffer_gl0_inv
	v_add_co_u32 v26, vcc_lo, v26, v80
	v_add_co_ci_u32_e64 v27, null, 0, v27, vcc_lo
	s_mov_b32 s27, exec_lo
	v_cmpx_lt_u64_e64 v[10:11], v[26:27]
	s_cbranch_execz .LBB2_92
; %bb.84:                               ;   in Loop: Header=BB2_49 Depth=1
	s_mov_b32 s28, 0
	s_mov_b32 s41, 0
                                        ; implicit-def: $sgpr29
                                        ; implicit-def: $sgpr40
	s_inst_prefetch 0x1
	s_branch .LBB2_86
	.p2align	6
.LBB2_85:                               ;   in Loop: Header=BB2_86 Depth=2
	s_or_b32 exec_lo, exec_lo, s43
	s_and_b32 s42, exec_lo, s44
	s_or_b32 s28, s42, s28
	s_andn2_b32 s29, s29, exec_lo
	s_and_b32 s42, s40, exec_lo
	s_or_b32 s29, s29, s42
	s_andn2_b32 exec_lo, exec_lo, s28
	s_cbranch_execz .LBB2_90
.LBB2_86:                               ;   Parent Loop BB2_49 Depth=1
                                        ; =>  This Inner Loop Header: Depth=2
	s_add_i32 s41, s41, 1
	s_cmpk_lg_i32 s41, 0x2710
	s_cselect_b32 s42, -1, 0
	s_and_b32 vcc_lo, exec_lo, s42
	s_cbranch_vccz .LBB2_88
; %bb.87:                               ;   in Loop: Header=BB2_86 Depth=2
	s_mov_b32 s44, -1
	s_or_b32 s40, s40, exec_lo
	s_and_saveexec_b32 s43, s42
	s_cbranch_execz .LBB2_85
	s_branch .LBB2_89
	.p2align	6
.LBB2_88:                               ;   in Loop: Header=BB2_86 Depth=2
	s_trap 2
	ds_read_b64 v[10:11], v0
	s_andn2_b32 s42, s42, exec_lo
	s_mov_b32 s41, 0
	s_waitcnt lgkmcnt(0)
	flat_load_dword v10, v[10:11] glc dlc
	s_waitcnt vmcnt(0) lgkmcnt(0)
	buffer_gl1_inv
	buffer_gl0_inv
	v_cmp_eq_u32_e32 vcc_lo, 0, v10
	s_and_b32 s43, vcc_lo, exec_lo
	s_or_b32 s42, s42, s43
	s_mov_b32 s44, -1
	s_or_b32 s40, s40, exec_lo
	s_and_saveexec_b32 s43, s42
	s_cbranch_execz .LBB2_85
.LBB2_89:                               ;   in Loop: Header=BB2_86 Depth=2
	s_sleep 1
	s_trap 2
	ds_read_b64 v[10:11], v0
	s_waitcnt lgkmcnt(0)
	buffer_gl0_inv
	s_andn2_b32 s40, s40, exec_lo
	v_cmp_ge_u64_e32 vcc_lo, v[10:11], v[26:27]
	s_orn2_b32 s44, vcc_lo, exec_lo
	s_branch .LBB2_85
.LBB2_90:                               ;   in Loop: Header=BB2_49 Depth=1
	s_inst_prefetch 0x2
	s_or_b32 exec_lo, exec_lo, s28
	s_and_saveexec_b32 s28, s29
	s_xor_b32 s28, exec_lo, s28
	s_cbranch_execz .LBB2_92
; %bb.91:                               ;   in Loop: Header=BB2_49 Depth=1
	ds_write_b32 v0, v86
	s_trap 2
.LBB2_92:                               ;   in Loop: Header=BB2_49 Depth=1
	s_or_b32 exec_lo, exec_lo, s27
	;;#ASMSTART
	s_wakeup
	;;#ASMEND
.LBB2_93:                               ;   in Loop: Header=BB2_49 Depth=1
	s_or_b32 exec_lo, exec_lo, s26
.LBB2_94:                               ;   in Loop: Header=BB2_49 Depth=1
	s_andn2_saveexec_b32 s14, s14
	s_cbranch_execz .LBB2_96
; %bb.95:                               ;   in Loop: Header=BB2_49 Depth=1
	s_waitcnt vmcnt(0) lgkmcnt(0)
	s_waitcnt_vscnt null, 0x0
	buffer_gl1_inv
	buffer_gl0_inv
	s_barrier
.LBB2_96:                               ;   in Loop: Header=BB2_49 Depth=1
	s_or_b32 exec_lo, exec_lo, s14
.LBB2_97:                               ;   in Loop: Header=BB2_49 Depth=1
	s_or_b32 exec_lo, exec_lo, s13
	s_trap 2
	ds_read_b32 v10, v0
	v_and_b32_e32 v11, 0x4000, v68
	v_cmp_ne_u32_e32 vcc_lo, 0, v11
	s_and_b32 s14, s23, vcc_lo
	s_and_saveexec_b32 s13, s14
	s_cbranch_execz .LBB2_116
; %bb.98:                               ;   in Loop: Header=BB2_49 Depth=1
	s_and_saveexec_b32 s14, s20
	s_xor_b32 s14, exec_lo, s14
	s_cbranch_execz .LBB2_113
; %bb.99:                               ;   in Loop: Header=BB2_49 Depth=1
	s_and_saveexec_b32 s26, s7
	s_cbranch_execz .LBB2_112
; %bb.100:                              ;   in Loop: Header=BB2_49 Depth=1
	s_mov_b32 s28, exec_lo
	s_mov_b32 s27, exec_lo
	v_mbcnt_lo_u32_b32 v11, s28, 0
	s_waitcnt vmcnt(0) lgkmcnt(0)
	s_waitcnt_vscnt null, 0x0
	buffer_gl1_inv
	buffer_gl0_inv
	v_cmpx_eq_u32_e32 0, v11
	s_cbranch_execz .LBB2_102
; %bb.101:                              ;   in Loop: Header=BB2_49 Depth=1
	s_bcnt1_i32_b32 s28, s28
	v_mov_b32_e32 v12, v36
	v_mov_b32_e32 v11, s28
	ds_add_u64 v0, v[11:12]
	s_trap 2
.LBB2_102:                              ;   in Loop: Header=BB2_49 Depth=1
	s_or_b32 exec_lo, exec_lo, s27
	s_trap 2
	ds_read_b64 v[11:12], v0
	s_waitcnt lgkmcnt(0)
	buffer_gl0_inv
	v_add_co_u32 v26, vcc_lo, v26, v80
	v_add_co_ci_u32_e64 v27, null, 0, v27, vcc_lo
	s_mov_b32 s27, exec_lo
	v_cmpx_lt_u64_e64 v[11:12], v[26:27]
	s_cbranch_execz .LBB2_111
; %bb.103:                              ;   in Loop: Header=BB2_49 Depth=1
	s_mov_b32 s28, 0
	s_mov_b32 s41, 0
                                        ; implicit-def: $sgpr29
                                        ; implicit-def: $sgpr40
	s_inst_prefetch 0x1
	s_branch .LBB2_105
	.p2align	6
.LBB2_104:                              ;   in Loop: Header=BB2_105 Depth=2
	s_or_b32 exec_lo, exec_lo, s43
	s_and_b32 s42, exec_lo, s44
	s_or_b32 s28, s42, s28
	s_andn2_b32 s29, s29, exec_lo
	s_and_b32 s42, s40, exec_lo
	s_or_b32 s29, s29, s42
	s_andn2_b32 exec_lo, exec_lo, s28
	s_cbranch_execz .LBB2_109
.LBB2_105:                              ;   Parent Loop BB2_49 Depth=1
                                        ; =>  This Inner Loop Header: Depth=2
	s_add_i32 s41, s41, 1
	s_cmpk_lg_i32 s41, 0x2710
	s_cselect_b32 s42, -1, 0
	s_and_b32 vcc_lo, exec_lo, s42
	s_cbranch_vccz .LBB2_107
; %bb.106:                              ;   in Loop: Header=BB2_105 Depth=2
	s_mov_b32 s44, -1
	s_or_b32 s40, s40, exec_lo
	s_and_saveexec_b32 s43, s42
	s_cbranch_execz .LBB2_104
	s_branch .LBB2_108
	.p2align	6
.LBB2_107:                              ;   in Loop: Header=BB2_105 Depth=2
	s_trap 2
	ds_read_b64 v[11:12], v0
	s_andn2_b32 s42, s42, exec_lo
	s_mov_b32 s41, 0
	s_waitcnt lgkmcnt(0)
	flat_load_dword v11, v[11:12] glc dlc
	s_waitcnt vmcnt(0) lgkmcnt(0)
	buffer_gl1_inv
	buffer_gl0_inv
	v_cmp_eq_u32_e32 vcc_lo, 0, v11
	s_and_b32 s43, vcc_lo, exec_lo
	s_or_b32 s42, s42, s43
	s_mov_b32 s44, -1
	s_or_b32 s40, s40, exec_lo
	s_and_saveexec_b32 s43, s42
	s_cbranch_execz .LBB2_104
.LBB2_108:                              ;   in Loop: Header=BB2_105 Depth=2
	s_sleep 1
	s_trap 2
	ds_read_b64 v[11:12], v0
	s_waitcnt lgkmcnt(0)
	buffer_gl0_inv
	s_andn2_b32 s40, s40, exec_lo
	v_cmp_ge_u64_e32 vcc_lo, v[11:12], v[26:27]
	s_orn2_b32 s44, vcc_lo, exec_lo
	s_branch .LBB2_104
.LBB2_109:                              ;   in Loop: Header=BB2_49 Depth=1
	s_inst_prefetch 0x2
	s_or_b32 exec_lo, exec_lo, s28
	s_and_saveexec_b32 s28, s29
	s_xor_b32 s28, exec_lo, s28
	s_cbranch_execz .LBB2_111
; %bb.110:                              ;   in Loop: Header=BB2_49 Depth=1
	ds_write_b32 v0, v86
	s_trap 2
.LBB2_111:                              ;   in Loop: Header=BB2_49 Depth=1
	s_or_b32 exec_lo, exec_lo, s27
	;;#ASMSTART
	s_wakeup
	;;#ASMEND
.LBB2_112:                              ;   in Loop: Header=BB2_49 Depth=1
	s_or_b32 exec_lo, exec_lo, s26
.LBB2_113:                              ;   in Loop: Header=BB2_49 Depth=1
	s_andn2_saveexec_b32 s14, s14
	s_cbranch_execz .LBB2_115
; %bb.114:                              ;   in Loop: Header=BB2_49 Depth=1
	s_waitcnt vmcnt(0) lgkmcnt(0)
	s_waitcnt_vscnt null, 0x0
	buffer_gl1_inv
	buffer_gl0_inv
	s_barrier
.LBB2_115:                              ;   in Loop: Header=BB2_49 Depth=1
	s_or_b32 exec_lo, exec_lo, s14
.LBB2_116:                              ;   in Loop: Header=BB2_49 Depth=1
	s_or_b32 exec_lo, exec_lo, s13
	s_trap 2
	ds_read_b64 v[50:51], v0
	s_waitcnt lgkmcnt(0)
	v_cmp_eq_u64_e32 vcc_lo, 0, v[50:51]
	s_cbranch_vccnz .LBB2_124
; %bb.117:                              ;   in Loop: Header=BB2_49 Depth=1
	s_trap 2
	ds_read_b64 v[52:53], v0
	s_waitcnt lgkmcnt(0)
	v_cmp_eq_u64_e32 vcc_lo, 0, v[52:53]
	s_cbranch_vccnz .LBB2_124
; %bb.118:                              ;   in Loop: Header=BB2_49 Depth=1
	s_trap 2
	ds_read_b64 v[11:12], v0
	s_mov_b32 s13, -1
	s_waitcnt lgkmcnt(0)
	v_readfirstlane_b32 s26, v11
	s_and_saveexec_b32 s14, s10
	s_cbranch_execz .LBB2_120
; %bb.119:                              ;   in Loop: Header=BB2_49 Depth=1
	ds_read_b32 v11, v0 offset:720
	s_waitcnt lgkmcnt(0)
	v_and_b32_e32 v11, 15, v11
	v_cmp_eq_u32_e32 vcc_lo, 0, v11
	s_orn2_b32 s13, vcc_lo, exec_lo
.LBB2_120:                              ;   in Loop: Header=BB2_49 Depth=1
	s_or_b32 exec_lo, exec_lo, s14
	s_and_saveexec_b32 s14, s11
	s_cbranch_execz .LBB2_122
; %bb.121:                              ;   in Loop: Header=BB2_49 Depth=1
	ds_read_b32 v11, v0 offset:784
	s_waitcnt lgkmcnt(0)
	v_and_b32_e32 v11, 15, v11
	v_cmp_eq_u32_e32 vcc_lo, 0, v11
	s_and_b32 s27, s13, vcc_lo
	s_andn2_b32 s13, s13, exec_lo
	s_and_b32 s27, s27, exec_lo
	s_or_b32 s13, s13, s27
.LBB2_122:                              ;   in Loop: Header=BB2_49 Depth=1
	s_or_b32 exec_lo, exec_lo, s14
	v_cmp_eq_u32_e32 vcc_lo, 0, v10
	s_xor_b32 s13, s13, -1
	v_mov_b32_e32 v101, 0
	v_cndmask_b32_e64 v11, 0, 1, s13
	v_mov_b32_e32 v16, v0
	v_cndmask_b32_e32 v37, 0, v49, vcc_lo
	s_mov_b32 s27, -1
	v_cmp_ne_u32_e32 vcc_lo, 0, v11
	v_mov_b32_e32 v102, v37
	s_cbranch_vccz .LBB2_125
; %bb.123:                              ;   in Loop: Header=BB2_49 Depth=1
	s_and_saveexec_b32 s14, s27
	s_cbranch_execnz .LBB2_1544
	s_branch .LBB2_1948
.LBB2_124:                              ;   in Loop: Header=BB2_49 Depth=1
	s_mov_b32 s13, 0
	s_and_saveexec_b32 s14, s6
	s_cbranch_execnz .LBB2_1949
	s_branch .LBB2_1967
.LBB2_125:                              ;   in Loop: Header=BB2_49 Depth=1
	v_lshrrev_b32_e32 v10, 9, v37
	v_and_b32_e32 v101, 0x1ff, v37
	v_sub_nc_u32_e32 v102, v37, v82
	s_mov_b32 s27, exec_lo
	v_sub_nc_u32_e32 v10, v10, v81
	v_cmp_lt_u32_e64 s13, 15, v101
	v_add_co_ci_u32_e64 v103, null, 0, v10, s13
	v_cmpx_lt_i32_e32 15, v102
	s_cbranch_execz .LBB2_833
; %bb.126:                              ;   in Loop: Header=BB2_49 Depth=1
	s_trap 2
	ds_read_b64 v[10:11], v0
	v_add_co_u32 v54, vcc_lo, v50, v82
	v_add_co_ci_u32_e64 v55, null, 0, v51, vcc_lo
	s_bitcmp1_b32 s26, 0
	s_mov_b32 s28, 0
	s_cselect_b32 s29, -1, 0
	s_waitcnt lgkmcnt(0)
	v_add_co_u32 v64, vcc_lo, v10, v82
	v_add_co_ci_u32_e64 v65, null, 0, v11, vcc_lo
	v_add_co_u32 v66, vcc_lo, v52, v82
	v_add_co_ci_u32_e64 v67, null, 0, v53, vcc_lo
	s_branch .LBB2_130
.LBB2_127:                              ;   in Loop: Header=BB2_130 Depth=2
	s_or_b32 exec_lo, exec_lo, s14
	v_lshrrev_b32_e32 v12, 21, v12
	v_min_i32_e32 v13, 31, v11
	v_cmp_gt_i32_e32 vcc_lo, 32, v11
	v_and_b32_sdwa v10, v10, v97 dst_sel:DWORD dst_unused:UNUSED_PAD src0_sel:BYTE_3 src1_sel:DWORD
	v_lshlrev_b32_e32 v13, 2, v13
	v_cndmask_b32_e32 v12, 3, v12, vcc_lo
	v_and_b32_e32 v13, 0xfc, v13
	v_and_b32_e32 v17, 3, v12
	v_or_b32_e32 v11, v11, v12
	v_or3_b32 v10, v10, v13, v17
	v_cmp_ne_u32_e32 vcc_lo, 0, v11
	v_lshlrev_b32_e32 v10, 8, v10
	v_cndmask_b32_e32 v11, 0, v10, vcc_lo
.LBB2_128:                              ;   in Loop: Header=BB2_130 Depth=2
	s_or_b32 exec_lo, exec_lo, s41
.LBB2_129:                              ;   in Loop: Header=BB2_130 Depth=2
	s_or_b32 exec_lo, exec_lo, s40
	v_or_b32_sdwa v10, v15, v117 dst_sel:WORD_1 dst_unused:UNUSED_PAD src0_sel:DWORD src1_sel:DWORD
	v_or_b32_sdwa v12, v14, v114 dst_sel:WORD_1 dst_unused:UNUSED_PAD src0_sel:DWORD src1_sel:DWORD
	;; [unrolled: 1-line block ×4, first 2 shown]
	v_sub_nc_u32_e32 v102, v102, v83
	v_or3_b32 v11, v116, v115, v10
	v_or3_b32 v10, v113, v112, v12
	;; [unrolled: 1-line block ×4, first 2 shown]
	v_add_co_u32 v54, vcc_lo, v54, v83
	v_add_co_ci_u32_e64 v55, null, 0, v55, vcc_lo
	v_add_co_u32 v64, vcc_lo, v64, v83
	global_store_dwordx4 v[66:67], v[10:13], off glc slc
	v_add_co_ci_u32_e64 v65, null, 0, v65, vcc_lo
	v_cmp_gt_i32_e32 vcc_lo, 16, v102
	v_add_co_u32 v66, s14, v66, v83
	v_add_co_ci_u32_e64 v67, null, 0, v67, s14
	v_sub_nc_u32_e32 v103, v103, v80
	s_or_b32 s28, vcc_lo, s28
	s_andn2_b32 exec_lo, exec_lo, s28
	s_cbranch_execz .LBB2_832
.LBB2_130:                              ;   Parent Loop BB2_49 Depth=1
                                        ; =>  This Inner Loop Header: Depth=2
	global_load_dwordx4 v[10:13], v[64:65], off slc
	global_load_dwordx4 v[14:17], v[54:55], off slc
	s_mov_b32 s14, -1
	s_waitcnt vmcnt(1)
	v_and_b32_e32 v112, 3, v10
	v_bfe_u32 v115, v10, 2, 5
	v_lshlrev_b32_e32 v116, 24, v10
	s_waitcnt vmcnt(0)
	v_cmp_gt_i16_sdwa s40, v14, v96 src0_sel:BYTE_0 src1_sel:DWORD
	v_ffbh_u32_e32 v113, v112
	v_cmp_eq_u32_e32 vcc_lo, 0, v115
	v_min_u32_e32 v113, 32, v113
	v_subrev_nc_u32_e32 v114, 29, v113
	v_sub_nc_u32_e32 v113, 30, v113
	v_lshlrev_b32_e32 v114, v114, v10
	v_cndmask_b32_e32 v113, v115, v113, vcc_lo
	v_and_b32_e32 v114, 3, v114
	v_lshl_add_u32 v113, v113, 23, 0x37800000
	v_cndmask_b32_e32 v112, v112, v114, vcc_lo
	v_and_b32_e32 v114, 0x80000000, v116
	s_and_b32 vcc_lo, exec_lo, s29
	v_lshlrev_b32_e32 v112, 21, v112
	v_or3_b32 v112, v114, v113, v112
                                        ; implicit-def: $vgpr113
	s_cbranch_vccz .LBB2_144
; %bb.131:                              ;   in Loop: Header=BB2_130 Depth=2
	s_mov_b32 s14, 0
	s_and_saveexec_b32 s41, s40
	s_xor_b32 s40, exec_lo, s41
	s_cbranch_execz .LBB2_704
; %bb.132:                              ;   in Loop: Header=BB2_130 Depth=2
	v_cmp_eq_u16_sdwa s42, v14, v97 src0_sel:BYTE_0 src1_sel:DWORD
	s_mov_b32 s14, -1
	s_and_saveexec_b32 s41, s42
; %bb.133:                              ;   in Loop: Header=BB2_130 Depth=2
	s_xor_b32 s14, exec_lo, -1
; %bb.134:                              ;   in Loop: Header=BB2_130 Depth=2
	s_or_b32 exec_lo, exec_lo, s41
	s_and_b32 s14, s14, exec_lo
	s_or_saveexec_b32 s40, s40
	v_mov_b32_e32 v113, 0x7f800001
	s_xor_b32 exec_lo, exec_lo, s40
	s_cbranch_execnz .LBB2_705
.LBB2_135:                              ;   in Loop: Header=BB2_130 Depth=2
	s_or_b32 exec_lo, exec_lo, s40
	s_and_saveexec_b32 s40, s14
	s_cbranch_execz .LBB2_137
.LBB2_136:                              ;   in Loop: Header=BB2_130 Depth=2
	v_and_b32_e32 v113, 3, v14
	v_bfe_u32 v116, v14, 2, 5
	v_lshlrev_b32_e32 v117, 24, v14
	v_ffbh_u32_e32 v114, v113
	v_cmp_eq_u32_e32 vcc_lo, 0, v116
	v_min_u32_e32 v114, 32, v114
	v_subrev_nc_u32_e32 v115, 29, v114
	v_sub_nc_u32_e32 v114, 30, v114
	v_lshlrev_b32_e32 v115, v115, v14
	v_cndmask_b32_e32 v114, v116, v114, vcc_lo
	v_and_b32_e32 v115, 3, v115
	v_lshl_add_u32 v114, v114, 23, 0x37800000
	v_cndmask_b32_e32 v113, v113, v115, vcc_lo
	v_and_b32_e32 v115, 0x80000000, v117
	v_lshlrev_b32_e32 v113, 21, v113
	v_or3_b32 v113, v115, v114, v113
.LBB2_137:                              ;   in Loop: Header=BB2_130 Depth=2
	s_or_b32 exec_lo, exec_lo, s40
	v_cmp_gt_i16_sdwa s40, v10, v96 src0_sel:BYTE_0 src1_sel:DWORD
	s_mov_b32 s14, 0
	s_and_saveexec_b32 s41, s40
	s_xor_b32 s40, exec_lo, s41
	s_cbranch_execz .LBB2_706
; %bb.138:                              ;   in Loop: Header=BB2_130 Depth=2
	v_cmp_eq_u16_sdwa s42, v10, v97 src0_sel:BYTE_0 src1_sel:DWORD
	s_mov_b32 s14, -1
	s_and_saveexec_b32 s41, s42
; %bb.139:                              ;   in Loop: Header=BB2_130 Depth=2
	s_xor_b32 s14, exec_lo, -1
; %bb.140:                              ;   in Loop: Header=BB2_130 Depth=2
	s_or_b32 exec_lo, exec_lo, s41
	s_and_b32 s14, s14, exec_lo
	s_or_saveexec_b32 s40, s40
	v_mov_b32_e32 v114, 0x7f800001
	s_xor_b32 exec_lo, exec_lo, s40
	s_cbranch_execnz .LBB2_707
.LBB2_141:                              ;   in Loop: Header=BB2_130 Depth=2
	s_or_b32 exec_lo, exec_lo, s40
	s_and_saveexec_b32 s40, s14
.LBB2_142:                              ;   in Loop: Header=BB2_130 Depth=2
	v_mov_b32_e32 v114, v112
.LBB2_143:                              ;   in Loop: Header=BB2_130 Depth=2
	s_or_b32 exec_lo, exec_lo, s40
	v_max_f32_e32 v114, v114, v114
	v_max_f32_e32 v113, v113, v113
	s_mov_b32 s14, 0
	v_max_f32_e32 v113, v113, v114
.LBB2_144:                              ;   in Loop: Header=BB2_130 Depth=2
	s_and_b32 vcc_lo, exec_lo, s14
	s_cbranch_vccz .LBB2_158
; %bb.145:                              ;   in Loop: Header=BB2_130 Depth=2
	v_cmp_gt_i16_sdwa s40, v14, v96 src0_sel:BYTE_0 src1_sel:DWORD
	s_mov_b32 s14, 0
	s_and_saveexec_b32 s41, s40
	s_xor_b32 s40, exec_lo, s41
	s_cbranch_execz .LBB2_708
; %bb.146:                              ;   in Loop: Header=BB2_130 Depth=2
	v_cmp_eq_u16_sdwa s42, v14, v97 src0_sel:BYTE_0 src1_sel:DWORD
	s_mov_b32 s14, -1
	s_and_saveexec_b32 s41, s42
; %bb.147:                              ;   in Loop: Header=BB2_130 Depth=2
	s_xor_b32 s14, exec_lo, -1
; %bb.148:                              ;   in Loop: Header=BB2_130 Depth=2
	s_or_b32 exec_lo, exec_lo, s41
	s_and_b32 s14, s14, exec_lo
	s_or_saveexec_b32 s40, s40
	v_mov_b32_e32 v113, 0x7f800001
	s_xor_b32 exec_lo, exec_lo, s40
	s_cbranch_execnz .LBB2_709
.LBB2_149:                              ;   in Loop: Header=BB2_130 Depth=2
	s_or_b32 exec_lo, exec_lo, s40
	s_and_saveexec_b32 s40, s14
	s_cbranch_execz .LBB2_151
.LBB2_150:                              ;   in Loop: Header=BB2_130 Depth=2
	v_and_b32_e32 v113, 3, v14
	v_bfe_u32 v116, v14, 2, 5
	v_lshlrev_b32_e32 v117, 24, v14
	v_ffbh_u32_e32 v114, v113
	v_cmp_eq_u32_e32 vcc_lo, 0, v116
	v_min_u32_e32 v114, 32, v114
	v_subrev_nc_u32_e32 v115, 29, v114
	v_sub_nc_u32_e32 v114, 30, v114
	v_lshlrev_b32_e32 v115, v115, v14
	v_cndmask_b32_e32 v114, v116, v114, vcc_lo
	v_and_b32_e32 v115, 3, v115
	v_lshl_add_u32 v114, v114, 23, 0x37800000
	v_cndmask_b32_e32 v113, v113, v115, vcc_lo
	v_and_b32_e32 v115, 0x80000000, v117
	v_lshlrev_b32_e32 v113, 21, v113
	v_or3_b32 v113, v115, v114, v113
.LBB2_151:                              ;   in Loop: Header=BB2_130 Depth=2
	s_or_b32 exec_lo, exec_lo, s40
	v_cmp_gt_i16_sdwa s40, v10, v96 src0_sel:BYTE_0 src1_sel:DWORD
	s_mov_b32 s14, 0
	s_and_saveexec_b32 s41, s40
	s_xor_b32 s40, exec_lo, s41
	s_cbranch_execz .LBB2_710
; %bb.152:                              ;   in Loop: Header=BB2_130 Depth=2
	v_cmp_eq_u16_sdwa s42, v10, v97 src0_sel:BYTE_0 src1_sel:DWORD
	s_mov_b32 s14, -1
	s_and_saveexec_b32 s41, s42
; %bb.153:                              ;   in Loop: Header=BB2_130 Depth=2
	s_xor_b32 s14, exec_lo, -1
; %bb.154:                              ;   in Loop: Header=BB2_130 Depth=2
	s_or_b32 exec_lo, exec_lo, s41
	s_and_b32 s14, s14, exec_lo
	s_or_saveexec_b32 s40, s40
	v_mov_b32_e32 v114, 0x7f800001
	s_xor_b32 exec_lo, exec_lo, s40
	s_cbranch_execnz .LBB2_711
.LBB2_155:                              ;   in Loop: Header=BB2_130 Depth=2
	s_or_b32 exec_lo, exec_lo, s40
	s_and_saveexec_b32 s40, s14
.LBB2_156:                              ;   in Loop: Header=BB2_130 Depth=2
	v_mov_b32_e32 v114, v112
.LBB2_157:                              ;   in Loop: Header=BB2_130 Depth=2
	s_or_b32 exec_lo, exec_lo, s40
	v_max_f32_e32 v112, v114, v114
	v_max_f32_e32 v113, v113, v113
	v_min_f32_e32 v113, v113, v112
.LBB2_158:                              ;   in Loop: Header=BB2_130 Depth=2
	v_and_b32_e32 v112, 0x7f800000, v113
	v_cmp_ne_u32_e32 vcc_lo, 0x7f800000, v112
	v_mov_b32_e32 v112, 0x80
	s_and_saveexec_b32 s40, vcc_lo
	s_cbranch_execz .LBB2_166
; %bb.159:                              ;   in Loop: Header=BB2_130 Depth=2
	v_mov_b32_e32 v112, 0
	s_mov_b32 s41, exec_lo
	v_cmpx_ne_u32_e32 0, v113
	s_cbranch_execz .LBB2_165
; %bb.160:                              ;   in Loop: Header=BB2_130 Depth=2
	v_bfe_u32 v112, v113, 23, 8
	v_and_b32_e32 v114, 0x7fffff, v113
	v_sub_nc_u32_e32 v115, 0x70, v112
	v_cmp_gt_u32_e32 vcc_lo, 0x71, v112
	v_or_b32_e32 v116, 0x800000, v114
	v_cndmask_b32_e32 v115, 0, v115, vcc_lo
	v_cmp_eq_u32_e32 vcc_lo, 0, v112
	v_add_nc_u32_e32 v112, 0xffffff91, v112
	v_cndmask_b32_e64 v115, v115, 0x6f, vcc_lo
	v_cndmask_b32_e32 v114, v116, v114, vcc_lo
	v_cndmask_b32_e64 v112, v112, 0xffffff92, vcc_lo
	v_lshl_add_u32 v116, 0x200000, v115, -1
	v_lshrrev_b32_e32 v117, v115, v114
	v_lshlrev_b32_e64 v119, v115, 0x100000
	v_add_nc_u32_e32 v115, v115, v112
	v_and_b32_e32 v114, v116, v114
	v_bfe_u32 v118, v117, 21, 1
	v_cmp_eq_u32_e64 s14, v114, v119
	v_add_nc_u32_e32 v116, -1, v118
	v_cndmask_b32_e64 v114, 0, v116, s14
	v_lshrrev_b32_e32 v116, 23, v117
	s_mov_b32 s14, exec_lo
	v_add_nc_u32_e32 v114, v114, v117
	v_xor_b32_e32 v116, 1, v116
	v_and_b32_e32 v112, 0x1fffff, v114
	v_add_nc_u32_e32 v114, v112, v117
                                        ; implicit-def: $vgpr112
	v_cmpx_ne_u32_e64 v115, v116
	s_xor_b32 s14, exec_lo, s14
; %bb.161:                              ;   in Loop: Header=BB2_130 Depth=2
	v_cmp_lt_u32_e32 vcc_lo, 0xffffff, v114
	v_sub_nc_u32_e32 v112, v115, v116
	v_cndmask_b32_e64 v115, 0, 1, vcc_lo
	v_add_co_ci_u32_e64 v112, null, 0, v112, vcc_lo
	v_lshrrev_b32_e32 v114, v115, v114
; %bb.162:                              ;   in Loop: Header=BB2_130 Depth=2
	s_andn2_saveexec_b32 s14, s14
; %bb.163:                              ;   in Loop: Header=BB2_130 Depth=2
	v_bfe_u32 v112, v114, 23, 1
; %bb.164:                              ;   in Loop: Header=BB2_130 Depth=2
	s_or_b32 exec_lo, exec_lo, s14
	v_lshrrev_b32_e32 v114, 21, v114
	v_min_i32_e32 v115, 31, v112
	v_cmp_gt_i32_e32 vcc_lo, 32, v112
	v_and_b32_sdwa v113, v113, v97 dst_sel:DWORD dst_unused:UNUSED_PAD src0_sel:BYTE_3 src1_sel:DWORD
	v_lshlrev_b32_e32 v115, 2, v115
	v_cndmask_b32_e32 v114, 3, v114, vcc_lo
	v_and_b32_e32 v115, 0xfc, v115
	v_and_b32_e32 v116, 3, v114
	v_or_b32_e32 v112, v112, v114
	v_or3_b32 v113, v115, v113, v116
	v_cmp_ne_u32_e32 vcc_lo, 0, v112
	v_cndmask_b32_e32 v112, 0, v113, vcc_lo
.LBB2_165:                              ;   in Loop: Header=BB2_130 Depth=2
	s_or_b32 exec_lo, exec_lo, s41
.LBB2_166:                              ;   in Loop: Header=BB2_130 Depth=2
	s_or_b32 exec_lo, exec_lo, s40
	v_and_b32_sdwa v113, v98, v10 dst_sel:DWORD dst_unused:UNUSED_PAD src0_sel:DWORD src1_sel:BYTE_1
	v_cmp_gt_i16_sdwa s40, v14, v96 src0_sel:BYTE_1 src1_sel:DWORD
	s_mov_b32 s14, -1
	v_and_b32_e32 v114, 3, v113
	v_bfe_u32 v117, v113, 2, 5
	v_ffbh_u32_e32 v115, v114
	v_cmp_eq_u32_e32 vcc_lo, 0, v117
	v_min_u32_e32 v115, 32, v115
	v_subrev_nc_u32_e32 v116, 29, v115
	v_sub_nc_u32_e32 v115, 30, v115
	v_lshlrev_b32_e32 v113, v116, v113
	v_lshlrev_b32_sdwa v116, v99, v10 dst_sel:DWORD dst_unused:UNUSED_PAD src0_sel:DWORD src1_sel:BYTE_1
	v_cndmask_b32_e32 v115, v117, v115, vcc_lo
	v_and_b32_e32 v113, 3, v113
	v_lshl_add_u32 v115, v115, 23, 0x37800000
	v_cndmask_b32_e32 v113, v114, v113, vcc_lo
	v_and_b32_e32 v114, 0x80000000, v116
	s_and_b32 vcc_lo, exec_lo, s29
	v_lshlrev_b32_e32 v113, 21, v113
	v_or3_b32 v113, v114, v115, v113
                                        ; implicit-def: $vgpr114
	s_cbranch_vccz .LBB2_180
; %bb.167:                              ;   in Loop: Header=BB2_130 Depth=2
	s_mov_b32 s14, 0
	s_and_saveexec_b32 s41, s40
	s_xor_b32 s40, exec_lo, s41
	s_cbranch_execz .LBB2_712
; %bb.168:                              ;   in Loop: Header=BB2_130 Depth=2
	v_cmp_eq_u16_sdwa s42, v14, v97 src0_sel:BYTE_1 src1_sel:DWORD
	s_mov_b32 s14, -1
	s_and_saveexec_b32 s41, s42
; %bb.169:                              ;   in Loop: Header=BB2_130 Depth=2
	s_xor_b32 s14, exec_lo, -1
; %bb.170:                              ;   in Loop: Header=BB2_130 Depth=2
	s_or_b32 exec_lo, exec_lo, s41
	s_and_b32 s14, s14, exec_lo
	s_or_saveexec_b32 s40, s40
	v_mov_b32_e32 v114, 0x7f800001
	s_xor_b32 exec_lo, exec_lo, s40
	s_cbranch_execnz .LBB2_713
.LBB2_171:                              ;   in Loop: Header=BB2_130 Depth=2
	s_or_b32 exec_lo, exec_lo, s40
	s_and_saveexec_b32 s40, s14
	s_cbranch_execz .LBB2_173
.LBB2_172:                              ;   in Loop: Header=BB2_130 Depth=2
	v_and_b32_sdwa v114, v98, v14 dst_sel:DWORD dst_unused:UNUSED_PAD src0_sel:DWORD src1_sel:BYTE_1
	v_and_b32_e32 v115, 3, v114
	v_bfe_u32 v118, v114, 2, 5
	v_ffbh_u32_e32 v116, v115
	v_cmp_eq_u32_e32 vcc_lo, 0, v118
	v_min_u32_e32 v116, 32, v116
	v_subrev_nc_u32_e32 v117, 29, v116
	v_sub_nc_u32_e32 v116, 30, v116
	v_lshlrev_b32_e32 v114, v117, v114
	v_lshlrev_b32_e32 v117, 16, v14
	v_cndmask_b32_e32 v116, v118, v116, vcc_lo
	v_and_b32_e32 v114, 3, v114
	v_lshl_add_u32 v116, v116, 23, 0x37800000
	v_cndmask_b32_e32 v114, v115, v114, vcc_lo
	v_and_b32_e32 v115, 0x80000000, v117
	v_lshlrev_b32_e32 v114, 21, v114
	v_or3_b32 v114, v115, v116, v114
.LBB2_173:                              ;   in Loop: Header=BB2_130 Depth=2
	s_or_b32 exec_lo, exec_lo, s40
	v_cmp_gt_i16_sdwa s40, v10, v96 src0_sel:BYTE_1 src1_sel:DWORD
	s_mov_b32 s14, 0
	s_and_saveexec_b32 s41, s40
	s_xor_b32 s40, exec_lo, s41
	s_cbranch_execz .LBB2_714
; %bb.174:                              ;   in Loop: Header=BB2_130 Depth=2
	v_cmp_eq_u16_sdwa s42, v10, v97 src0_sel:BYTE_1 src1_sel:DWORD
	s_mov_b32 s14, -1
	s_and_saveexec_b32 s41, s42
; %bb.175:                              ;   in Loop: Header=BB2_130 Depth=2
	s_xor_b32 s14, exec_lo, -1
; %bb.176:                              ;   in Loop: Header=BB2_130 Depth=2
	s_or_b32 exec_lo, exec_lo, s41
	s_and_b32 s14, s14, exec_lo
	s_or_saveexec_b32 s40, s40
	v_mov_b32_e32 v115, 0x7f800001
	s_xor_b32 exec_lo, exec_lo, s40
	s_cbranch_execnz .LBB2_715
.LBB2_177:                              ;   in Loop: Header=BB2_130 Depth=2
	s_or_b32 exec_lo, exec_lo, s40
	s_and_saveexec_b32 s40, s14
.LBB2_178:                              ;   in Loop: Header=BB2_130 Depth=2
	v_mov_b32_e32 v115, v113
.LBB2_179:                              ;   in Loop: Header=BB2_130 Depth=2
	s_or_b32 exec_lo, exec_lo, s40
	v_max_f32_e32 v115, v115, v115
	v_max_f32_e32 v114, v114, v114
	s_mov_b32 s14, 0
	v_max_f32_e32 v114, v114, v115
.LBB2_180:                              ;   in Loop: Header=BB2_130 Depth=2
	s_and_b32 vcc_lo, exec_lo, s14
	s_cbranch_vccz .LBB2_194
; %bb.181:                              ;   in Loop: Header=BB2_130 Depth=2
	v_cmp_gt_i16_sdwa s40, v14, v96 src0_sel:BYTE_1 src1_sel:DWORD
	s_mov_b32 s14, 0
	s_and_saveexec_b32 s41, s40
	s_xor_b32 s40, exec_lo, s41
	s_cbranch_execz .LBB2_716
; %bb.182:                              ;   in Loop: Header=BB2_130 Depth=2
	v_cmp_eq_u16_sdwa s42, v14, v97 src0_sel:BYTE_1 src1_sel:DWORD
	s_mov_b32 s14, -1
	s_and_saveexec_b32 s41, s42
; %bb.183:                              ;   in Loop: Header=BB2_130 Depth=2
	s_xor_b32 s14, exec_lo, -1
; %bb.184:                              ;   in Loop: Header=BB2_130 Depth=2
	s_or_b32 exec_lo, exec_lo, s41
	s_and_b32 s14, s14, exec_lo
	s_or_saveexec_b32 s40, s40
	v_mov_b32_e32 v114, 0x7f800001
	s_xor_b32 exec_lo, exec_lo, s40
	s_cbranch_execnz .LBB2_717
.LBB2_185:                              ;   in Loop: Header=BB2_130 Depth=2
	s_or_b32 exec_lo, exec_lo, s40
	s_and_saveexec_b32 s40, s14
	s_cbranch_execz .LBB2_187
.LBB2_186:                              ;   in Loop: Header=BB2_130 Depth=2
	v_and_b32_sdwa v114, v98, v14 dst_sel:DWORD dst_unused:UNUSED_PAD src0_sel:DWORD src1_sel:BYTE_1
	v_and_b32_e32 v115, 3, v114
	v_bfe_u32 v118, v114, 2, 5
	v_ffbh_u32_e32 v116, v115
	v_cmp_eq_u32_e32 vcc_lo, 0, v118
	v_min_u32_e32 v116, 32, v116
	v_subrev_nc_u32_e32 v117, 29, v116
	v_sub_nc_u32_e32 v116, 30, v116
	v_lshlrev_b32_e32 v114, v117, v114
	v_lshlrev_b32_e32 v117, 16, v14
	v_cndmask_b32_e32 v116, v118, v116, vcc_lo
	v_and_b32_e32 v114, 3, v114
	v_lshl_add_u32 v116, v116, 23, 0x37800000
	v_cndmask_b32_e32 v114, v115, v114, vcc_lo
	v_and_b32_e32 v115, 0x80000000, v117
	v_lshlrev_b32_e32 v114, 21, v114
	v_or3_b32 v114, v115, v116, v114
.LBB2_187:                              ;   in Loop: Header=BB2_130 Depth=2
	s_or_b32 exec_lo, exec_lo, s40
	v_cmp_gt_i16_sdwa s40, v10, v96 src0_sel:BYTE_1 src1_sel:DWORD
	s_mov_b32 s14, 0
	s_and_saveexec_b32 s41, s40
	s_xor_b32 s40, exec_lo, s41
	s_cbranch_execz .LBB2_718
; %bb.188:                              ;   in Loop: Header=BB2_130 Depth=2
	v_cmp_eq_u16_sdwa s42, v10, v97 src0_sel:BYTE_1 src1_sel:DWORD
	s_mov_b32 s14, -1
	s_and_saveexec_b32 s41, s42
; %bb.189:                              ;   in Loop: Header=BB2_130 Depth=2
	s_xor_b32 s14, exec_lo, -1
; %bb.190:                              ;   in Loop: Header=BB2_130 Depth=2
	s_or_b32 exec_lo, exec_lo, s41
	s_and_b32 s14, s14, exec_lo
	s_or_saveexec_b32 s40, s40
	v_mov_b32_e32 v115, 0x7f800001
	s_xor_b32 exec_lo, exec_lo, s40
	s_cbranch_execnz .LBB2_719
.LBB2_191:                              ;   in Loop: Header=BB2_130 Depth=2
	s_or_b32 exec_lo, exec_lo, s40
	s_and_saveexec_b32 s40, s14
.LBB2_192:                              ;   in Loop: Header=BB2_130 Depth=2
	v_mov_b32_e32 v115, v113
.LBB2_193:                              ;   in Loop: Header=BB2_130 Depth=2
	s_or_b32 exec_lo, exec_lo, s40
	v_max_f32_e32 v113, v115, v115
	v_max_f32_e32 v114, v114, v114
	v_min_f32_e32 v114, v114, v113
.LBB2_194:                              ;   in Loop: Header=BB2_130 Depth=2
	v_and_b32_e32 v113, 0x7f800000, v114
	v_cmp_ne_u32_e32 vcc_lo, 0x7f800000, v113
	v_mov_b32_e32 v113, 0x8000
	s_and_saveexec_b32 s40, vcc_lo
	s_cbranch_execz .LBB2_202
; %bb.195:                              ;   in Loop: Header=BB2_130 Depth=2
	v_mov_b32_e32 v113, 0
	s_mov_b32 s41, exec_lo
	v_cmpx_ne_u32_e32 0, v114
	s_cbranch_execz .LBB2_201
; %bb.196:                              ;   in Loop: Header=BB2_130 Depth=2
	v_bfe_u32 v113, v114, 23, 8
	v_and_b32_e32 v115, 0x7fffff, v114
	v_sub_nc_u32_e32 v116, 0x70, v113
	v_cmp_gt_u32_e32 vcc_lo, 0x71, v113
	v_or_b32_e32 v117, 0x800000, v115
	v_cndmask_b32_e32 v116, 0, v116, vcc_lo
	v_cmp_eq_u32_e32 vcc_lo, 0, v113
	v_add_nc_u32_e32 v113, 0xffffff91, v113
	v_cndmask_b32_e64 v116, v116, 0x6f, vcc_lo
	v_cndmask_b32_e32 v115, v117, v115, vcc_lo
	v_cndmask_b32_e64 v113, v113, 0xffffff92, vcc_lo
	v_lshl_add_u32 v117, 0x200000, v116, -1
	v_lshrrev_b32_e32 v118, v116, v115
	v_lshlrev_b32_e64 v40, v116, 0x100000
	v_add_nc_u32_e32 v116, v116, v113
	v_and_b32_e32 v115, v117, v115
	v_bfe_u32 v119, v118, 21, 1
	v_cmp_eq_u32_e64 s14, v115, v40
	v_add_nc_u32_e32 v117, -1, v119
	v_cndmask_b32_e64 v115, 0, v117, s14
	v_lshrrev_b32_e32 v117, 23, v118
	s_mov_b32 s14, exec_lo
	v_add_nc_u32_e32 v115, v115, v118
	v_xor_b32_e32 v117, 1, v117
	v_and_b32_e32 v113, 0x1fffff, v115
	v_add_nc_u32_e32 v115, v113, v118
                                        ; implicit-def: $vgpr113
	v_cmpx_ne_u32_e64 v116, v117
	s_xor_b32 s14, exec_lo, s14
; %bb.197:                              ;   in Loop: Header=BB2_130 Depth=2
	v_cmp_lt_u32_e32 vcc_lo, 0xffffff, v115
	v_sub_nc_u32_e32 v113, v116, v117
	v_cndmask_b32_e64 v116, 0, 1, vcc_lo
	v_add_co_ci_u32_e64 v113, null, 0, v113, vcc_lo
	v_lshrrev_b32_e32 v115, v116, v115
; %bb.198:                              ;   in Loop: Header=BB2_130 Depth=2
	s_andn2_saveexec_b32 s14, s14
; %bb.199:                              ;   in Loop: Header=BB2_130 Depth=2
	v_bfe_u32 v113, v115, 23, 1
; %bb.200:                              ;   in Loop: Header=BB2_130 Depth=2
	s_or_b32 exec_lo, exec_lo, s14
	v_lshrrev_b32_e32 v115, 21, v115
	v_min_i32_e32 v116, 31, v113
	v_cmp_gt_i32_e32 vcc_lo, 32, v113
	v_and_b32_sdwa v114, v114, v97 dst_sel:DWORD dst_unused:UNUSED_PAD src0_sel:BYTE_3 src1_sel:DWORD
	v_lshlrev_b32_e32 v116, 2, v116
	v_cndmask_b32_e32 v115, 3, v115, vcc_lo
	v_and_b32_e32 v116, 0xfc, v116
	v_and_b32_e32 v117, 3, v115
	v_or_b32_e32 v113, v113, v115
	v_or3_b32 v114, v114, v116, v117
	v_cmp_ne_u32_e32 vcc_lo, 0, v113
	v_lshlrev_b32_e32 v114, 8, v114
	v_cndmask_b32_e32 v113, 0, v114, vcc_lo
.LBB2_201:                              ;   in Loop: Header=BB2_130 Depth=2
	s_or_b32 exec_lo, exec_lo, s41
.LBB2_202:                              ;   in Loop: Header=BB2_130 Depth=2
	s_or_b32 exec_lo, exec_lo, s40
	v_bfe_u32 v114, v10, 16, 2
	v_bfe_u32 v117, v10, 18, 5
	v_lshlrev_b32_e32 v118, 8, v10
	s_mov_b32 s40, -1
	v_ffbh_u32_e32 v115, v114
	v_cmp_eq_u32_e32 vcc_lo, 0, v117
	v_min_u32_e32 v115, 32, v115
	v_subrev_nc_u32_e32 v116, 29, v115
	v_sub_nc_u32_e32 v115, 30, v115
	v_lshlrev_b32_sdwa v116, v116, v10 dst_sel:DWORD dst_unused:UNUSED_PAD src0_sel:DWORD src1_sel:WORD_1
	v_cndmask_b32_e32 v115, v117, v115, vcc_lo
	v_and_b32_e32 v116, 3, v116
	v_lshl_add_u32 v117, v115, 23, 0x37800000
	v_and_b32_sdwa v115, v14, v100 dst_sel:DWORD dst_unused:UNUSED_PAD src0_sel:WORD_1 src1_sel:DWORD
	v_cndmask_b32_e32 v114, v114, v116, vcc_lo
	v_and_b32_e32 v116, 0x80000000, v118
	v_cmp_lt_i16_e64 s14, 0x7f, v115
	s_and_b32 vcc_lo, exec_lo, s29
	v_lshlrev_b32_e32 v114, 21, v114
	v_or3_b32 v114, v116, v117, v114
                                        ; implicit-def: $vgpr116
	s_cbranch_vccz .LBB2_216
; %bb.203:                              ;   in Loop: Header=BB2_130 Depth=2
	s_mov_b32 s40, 0
	s_and_saveexec_b32 s41, s14
	s_xor_b32 s14, exec_lo, s41
	s_cbranch_execz .LBB2_720
; %bb.204:                              ;   in Loop: Header=BB2_130 Depth=2
	s_mov_b32 s40, -1
	s_mov_b32 s41, exec_lo
	v_cmpx_eq_u16_e32 0x80, v115
; %bb.205:                              ;   in Loop: Header=BB2_130 Depth=2
	s_xor_b32 s40, exec_lo, -1
; %bb.206:                              ;   in Loop: Header=BB2_130 Depth=2
	s_or_b32 exec_lo, exec_lo, s41
	s_and_b32 s40, s40, exec_lo
	s_or_saveexec_b32 s14, s14
	v_mov_b32_e32 v116, 0x7f800001
	s_xor_b32 exec_lo, exec_lo, s14
	s_cbranch_execnz .LBB2_721
.LBB2_207:                              ;   in Loop: Header=BB2_130 Depth=2
	s_or_b32 exec_lo, exec_lo, s14
	s_and_saveexec_b32 s14, s40
	s_cbranch_execz .LBB2_209
.LBB2_208:                              ;   in Loop: Header=BB2_130 Depth=2
	v_bfe_u32 v116, v14, 16, 2
	v_bfe_u32 v119, v14, 18, 5
	v_lshlrev_b32_sdwa v40, v99, v14 dst_sel:DWORD dst_unused:UNUSED_PAD src0_sel:DWORD src1_sel:WORD_1
	v_ffbh_u32_e32 v117, v116
	v_cmp_eq_u32_e32 vcc_lo, 0, v119
	v_min_u32_e32 v117, 32, v117
	v_subrev_nc_u32_e32 v118, 29, v117
	v_sub_nc_u32_e32 v117, 30, v117
	v_lshlrev_b32_sdwa v118, v118, v14 dst_sel:DWORD dst_unused:UNUSED_PAD src0_sel:DWORD src1_sel:WORD_1
	v_cndmask_b32_e32 v117, v119, v117, vcc_lo
	v_and_b32_e32 v118, 3, v118
	v_lshl_add_u32 v117, v117, 23, 0x37800000
	v_cndmask_b32_e32 v116, v116, v118, vcc_lo
	v_and_b32_e32 v118, 0x80000000, v40
	v_lshlrev_b32_e32 v116, 21, v116
	v_or3_b32 v116, v118, v117, v116
.LBB2_209:                              ;   in Loop: Header=BB2_130 Depth=2
	s_or_b32 exec_lo, exec_lo, s14
	v_and_b32_sdwa v118, v10, v100 dst_sel:DWORD dst_unused:UNUSED_PAD src0_sel:WORD_1 src1_sel:DWORD
	s_mov_b32 s14, 0
	s_mov_b32 s40, exec_lo
	v_cmpx_lt_i16_e32 0x7f, v118
	s_xor_b32 s40, exec_lo, s40
	s_cbranch_execz .LBB2_722
; %bb.210:                              ;   in Loop: Header=BB2_130 Depth=2
	s_mov_b32 s14, -1
	s_mov_b32 s41, exec_lo
	v_cmpx_eq_u16_e32 0x80, v118
; %bb.211:                              ;   in Loop: Header=BB2_130 Depth=2
	s_xor_b32 s14, exec_lo, -1
; %bb.212:                              ;   in Loop: Header=BB2_130 Depth=2
	s_or_b32 exec_lo, exec_lo, s41
	s_and_b32 s14, s14, exec_lo
                                        ; implicit-def: $vgpr118
	s_or_saveexec_b32 s40, s40
	v_mov_b32_e32 v117, 0x7f800001
	s_xor_b32 exec_lo, exec_lo, s40
	s_cbranch_execnz .LBB2_723
.LBB2_213:                              ;   in Loop: Header=BB2_130 Depth=2
	s_or_b32 exec_lo, exec_lo, s40
	s_and_saveexec_b32 s40, s14
.LBB2_214:                              ;   in Loop: Header=BB2_130 Depth=2
	v_mov_b32_e32 v117, v114
.LBB2_215:                              ;   in Loop: Header=BB2_130 Depth=2
	s_or_b32 exec_lo, exec_lo, s40
	v_max_f32_e32 v117, v117, v117
	v_max_f32_e32 v116, v116, v116
	s_mov_b32 s40, 0
	v_max_f32_e32 v116, v116, v117
.LBB2_216:                              ;   in Loop: Header=BB2_130 Depth=2
	s_and_b32 vcc_lo, exec_lo, s40
	s_cbranch_vccz .LBB2_230
; %bb.217:                              ;   in Loop: Header=BB2_130 Depth=2
	s_mov_b32 s14, 0
	s_mov_b32 s40, exec_lo
	v_cmpx_lt_i16_e32 0x7f, v115
	s_xor_b32 s40, exec_lo, s40
	s_cbranch_execz .LBB2_724
; %bb.218:                              ;   in Loop: Header=BB2_130 Depth=2
	s_mov_b32 s14, -1
	s_mov_b32 s41, exec_lo
	v_cmpx_eq_u16_e32 0x80, v115
; %bb.219:                              ;   in Loop: Header=BB2_130 Depth=2
	s_xor_b32 s14, exec_lo, -1
; %bb.220:                              ;   in Loop: Header=BB2_130 Depth=2
	s_or_b32 exec_lo, exec_lo, s41
	s_and_b32 s14, s14, exec_lo
                                        ; implicit-def: $vgpr115
	s_or_saveexec_b32 s40, s40
	v_mov_b32_e32 v116, 0x7f800001
	s_xor_b32 exec_lo, exec_lo, s40
	s_cbranch_execnz .LBB2_725
.LBB2_221:                              ;   in Loop: Header=BB2_130 Depth=2
	s_or_b32 exec_lo, exec_lo, s40
	s_and_saveexec_b32 s40, s14
	s_cbranch_execz .LBB2_223
.LBB2_222:                              ;   in Loop: Header=BB2_130 Depth=2
	v_bfe_u32 v115, v14, 16, 2
	v_bfe_u32 v118, v14, 18, 5
	v_lshlrev_b32_sdwa v119, v99, v14 dst_sel:DWORD dst_unused:UNUSED_PAD src0_sel:DWORD src1_sel:WORD_1
	v_ffbh_u32_e32 v116, v115
	v_cmp_eq_u32_e32 vcc_lo, 0, v118
	v_min_u32_e32 v116, 32, v116
	v_subrev_nc_u32_e32 v117, 29, v116
	v_sub_nc_u32_e32 v116, 30, v116
	v_lshlrev_b32_sdwa v117, v117, v14 dst_sel:DWORD dst_unused:UNUSED_PAD src0_sel:DWORD src1_sel:WORD_1
	v_cndmask_b32_e32 v116, v118, v116, vcc_lo
	v_and_b32_e32 v117, 3, v117
	v_lshl_add_u32 v116, v116, 23, 0x37800000
	v_cndmask_b32_e32 v115, v115, v117, vcc_lo
	v_and_b32_e32 v117, 0x80000000, v119
	v_lshlrev_b32_e32 v115, 21, v115
	v_or3_b32 v116, v117, v116, v115
.LBB2_223:                              ;   in Loop: Header=BB2_130 Depth=2
	s_or_b32 exec_lo, exec_lo, s40
	v_and_b32_sdwa v117, v10, v100 dst_sel:DWORD dst_unused:UNUSED_PAD src0_sel:WORD_1 src1_sel:DWORD
	s_mov_b32 s14, 0
	s_mov_b32 s40, exec_lo
	v_cmpx_lt_i16_e32 0x7f, v117
	s_xor_b32 s40, exec_lo, s40
	s_cbranch_execz .LBB2_726
; %bb.224:                              ;   in Loop: Header=BB2_130 Depth=2
	s_mov_b32 s14, -1
	s_mov_b32 s41, exec_lo
	v_cmpx_eq_u16_e32 0x80, v117
; %bb.225:                              ;   in Loop: Header=BB2_130 Depth=2
	s_xor_b32 s14, exec_lo, -1
; %bb.226:                              ;   in Loop: Header=BB2_130 Depth=2
	s_or_b32 exec_lo, exec_lo, s41
	s_and_b32 s14, s14, exec_lo
                                        ; implicit-def: $vgpr117
	s_or_saveexec_b32 s40, s40
	v_mov_b32_e32 v115, 0x7f800001
	s_xor_b32 exec_lo, exec_lo, s40
	s_cbranch_execnz .LBB2_727
.LBB2_227:                              ;   in Loop: Header=BB2_130 Depth=2
	s_or_b32 exec_lo, exec_lo, s40
	s_and_saveexec_b32 s40, s14
.LBB2_228:                              ;   in Loop: Header=BB2_130 Depth=2
	v_mov_b32_e32 v115, v114
.LBB2_229:                              ;   in Loop: Header=BB2_130 Depth=2
	s_or_b32 exec_lo, exec_lo, s40
	v_max_f32_e32 v114, v115, v115
	v_max_f32_e32 v115, v116, v116
	v_min_f32_e32 v116, v115, v114
.LBB2_230:                              ;   in Loop: Header=BB2_130 Depth=2
	v_and_b32_e32 v114, 0x7f800000, v116
	v_cmp_ne_u32_e32 vcc_lo, 0x7f800000, v114
	v_mov_b32_e32 v114, 0x80
	s_and_saveexec_b32 s40, vcc_lo
	s_cbranch_execz .LBB2_238
; %bb.231:                              ;   in Loop: Header=BB2_130 Depth=2
	v_mov_b32_e32 v114, 0
	s_mov_b32 s41, exec_lo
	v_cmpx_ne_u32_e32 0, v116
	s_cbranch_execz .LBB2_237
; %bb.232:                              ;   in Loop: Header=BB2_130 Depth=2
	v_bfe_u32 v114, v116, 23, 8
	v_and_b32_e32 v115, 0x7fffff, v116
	v_sub_nc_u32_e32 v117, 0x70, v114
	v_cmp_gt_u32_e32 vcc_lo, 0x71, v114
	v_or_b32_e32 v118, 0x800000, v115
	v_cndmask_b32_e32 v117, 0, v117, vcc_lo
	v_cmp_eq_u32_e32 vcc_lo, 0, v114
	v_add_nc_u32_e32 v114, 0xffffff91, v114
	v_cndmask_b32_e64 v117, v117, 0x6f, vcc_lo
	v_cndmask_b32_e32 v115, v118, v115, vcc_lo
	v_cndmask_b32_e64 v114, v114, 0xffffff92, vcc_lo
	v_lshl_add_u32 v118, 0x200000, v117, -1
	v_lshrrev_b32_e32 v119, v117, v115
	v_lshlrev_b32_e64 v41, v117, 0x100000
	v_add_nc_u32_e32 v117, v117, v114
	v_and_b32_e32 v115, v118, v115
	v_bfe_u32 v40, v119, 21, 1
	v_cmp_eq_u32_e64 s14, v115, v41
	v_add_nc_u32_e32 v118, -1, v40
	v_cndmask_b32_e64 v115, 0, v118, s14
	v_lshrrev_b32_e32 v118, 23, v119
	s_mov_b32 s14, exec_lo
	v_add_nc_u32_e32 v115, v115, v119
	v_xor_b32_e32 v118, 1, v118
	v_and_b32_e32 v114, 0x1fffff, v115
	v_add_nc_u32_e32 v115, v114, v119
                                        ; implicit-def: $vgpr114
	v_cmpx_ne_u32_e64 v117, v118
	s_xor_b32 s14, exec_lo, s14
; %bb.233:                              ;   in Loop: Header=BB2_130 Depth=2
	v_cmp_lt_u32_e32 vcc_lo, 0xffffff, v115
	v_sub_nc_u32_e32 v114, v117, v118
	v_cndmask_b32_e64 v117, 0, 1, vcc_lo
	v_add_co_ci_u32_e64 v114, null, 0, v114, vcc_lo
	v_lshrrev_b32_e32 v115, v117, v115
; %bb.234:                              ;   in Loop: Header=BB2_130 Depth=2
	s_andn2_saveexec_b32 s14, s14
; %bb.235:                              ;   in Loop: Header=BB2_130 Depth=2
	v_bfe_u32 v114, v115, 23, 1
; %bb.236:                              ;   in Loop: Header=BB2_130 Depth=2
	s_or_b32 exec_lo, exec_lo, s14
	v_lshrrev_b32_e32 v115, 21, v115
	v_min_i32_e32 v117, 31, v114
	v_cmp_gt_i32_e32 vcc_lo, 32, v114
	v_and_b32_sdwa v116, v116, v97 dst_sel:DWORD dst_unused:UNUSED_PAD src0_sel:BYTE_3 src1_sel:DWORD
	v_lshlrev_b32_e32 v117, 2, v117
	v_cndmask_b32_e32 v115, 3, v115, vcc_lo
	v_and_b32_e32 v117, 0xfc, v117
	v_and_b32_e32 v118, 3, v115
	v_or_b32_e32 v114, v114, v115
	v_or3_b32 v115, v117, v116, v118
	v_cmp_ne_u32_e32 vcc_lo, 0, v114
	v_cndmask_b32_e32 v114, 0, v115, vcc_lo
.LBB2_237:                              ;   in Loop: Header=BB2_130 Depth=2
	s_or_b32 exec_lo, exec_lo, s41
.LBB2_238:                              ;   in Loop: Header=BB2_130 Depth=2
	s_or_b32 exec_lo, exec_lo, s40
	v_bfe_u32 v115, v10, 24, 2
	v_bfe_u32 v118, v10, 26, 5
	v_cmp_gt_i16_sdwa s40, v14, v96 src0_sel:BYTE_3 src1_sel:DWORD
	s_mov_b32 s14, -1
	v_ffbh_u32_e32 v116, v115
	v_cmp_eq_u32_e32 vcc_lo, 0, v118
	v_min_u32_e32 v116, 32, v116
	v_subrev_nc_u32_e32 v117, 29, v116
	v_sub_nc_u32_e32 v116, 30, v116
	v_lshlrev_b32_sdwa v117, v117, v10 dst_sel:DWORD dst_unused:UNUSED_PAD src0_sel:DWORD src1_sel:BYTE_3
	v_cndmask_b32_e32 v116, v118, v116, vcc_lo
	v_and_b32_e32 v117, 3, v117
	v_lshl_add_u32 v116, v116, 23, 0x37800000
	v_cndmask_b32_e32 v115, v115, v117, vcc_lo
	v_and_b32_e32 v117, 0x80000000, v10
	s_and_b32 vcc_lo, exec_lo, s29
	v_lshlrev_b32_e32 v115, 21, v115
	v_or3_b32 v115, v117, v116, v115
                                        ; implicit-def: $vgpr116
	s_cbranch_vccz .LBB2_252
; %bb.239:                              ;   in Loop: Header=BB2_130 Depth=2
	s_mov_b32 s14, 0
	s_and_saveexec_b32 s41, s40
	s_xor_b32 s40, exec_lo, s41
	s_cbranch_execz .LBB2_728
; %bb.240:                              ;   in Loop: Header=BB2_130 Depth=2
	v_cmp_eq_u16_sdwa s42, v14, v97 src0_sel:BYTE_3 src1_sel:DWORD
	s_mov_b32 s14, -1
	s_and_saveexec_b32 s41, s42
; %bb.241:                              ;   in Loop: Header=BB2_130 Depth=2
	s_xor_b32 s14, exec_lo, -1
; %bb.242:                              ;   in Loop: Header=BB2_130 Depth=2
	s_or_b32 exec_lo, exec_lo, s41
	s_and_b32 s14, s14, exec_lo
	s_or_saveexec_b32 s40, s40
	v_mov_b32_e32 v116, 0x7f800001
	s_xor_b32 exec_lo, exec_lo, s40
	s_cbranch_execnz .LBB2_729
.LBB2_243:                              ;   in Loop: Header=BB2_130 Depth=2
	s_or_b32 exec_lo, exec_lo, s40
	s_and_saveexec_b32 s40, s14
	s_cbranch_execz .LBB2_245
.LBB2_244:                              ;   in Loop: Header=BB2_130 Depth=2
	v_bfe_u32 v116, v14, 24, 2
	v_bfe_u32 v119, v14, 26, 5
	v_ffbh_u32_e32 v117, v116
	v_cmp_eq_u32_e32 vcc_lo, 0, v119
	v_min_u32_e32 v117, 32, v117
	v_subrev_nc_u32_e32 v118, 29, v117
	v_sub_nc_u32_e32 v117, 30, v117
	v_lshlrev_b32_sdwa v118, v118, v14 dst_sel:DWORD dst_unused:UNUSED_PAD src0_sel:DWORD src1_sel:BYTE_3
	v_cndmask_b32_e32 v117, v119, v117, vcc_lo
	v_and_b32_e32 v118, 3, v118
	v_lshl_add_u32 v117, v117, 23, 0x37800000
	v_cndmask_b32_e32 v116, v116, v118, vcc_lo
	v_and_b32_e32 v118, 0x80000000, v14
	v_lshlrev_b32_e32 v116, 21, v116
	v_or3_b32 v116, v118, v117, v116
.LBB2_245:                              ;   in Loop: Header=BB2_130 Depth=2
	s_or_b32 exec_lo, exec_lo, s40
	v_cmp_gt_i16_sdwa s40, v10, v96 src0_sel:BYTE_3 src1_sel:DWORD
	s_mov_b32 s14, 0
	s_and_saveexec_b32 s41, s40
	s_xor_b32 s40, exec_lo, s41
	s_cbranch_execz .LBB2_730
; %bb.246:                              ;   in Loop: Header=BB2_130 Depth=2
	v_cmp_eq_u16_sdwa s42, v10, v97 src0_sel:BYTE_3 src1_sel:DWORD
	s_mov_b32 s14, -1
	s_and_saveexec_b32 s41, s42
; %bb.247:                              ;   in Loop: Header=BB2_130 Depth=2
	s_xor_b32 s14, exec_lo, -1
; %bb.248:                              ;   in Loop: Header=BB2_130 Depth=2
	s_or_b32 exec_lo, exec_lo, s41
	s_and_b32 s14, s14, exec_lo
	s_or_saveexec_b32 s40, s40
	v_mov_b32_e32 v117, 0x7f800001
	s_xor_b32 exec_lo, exec_lo, s40
	s_cbranch_execnz .LBB2_731
.LBB2_249:                              ;   in Loop: Header=BB2_130 Depth=2
	s_or_b32 exec_lo, exec_lo, s40
	s_and_saveexec_b32 s40, s14
.LBB2_250:                              ;   in Loop: Header=BB2_130 Depth=2
	v_mov_b32_e32 v117, v115
.LBB2_251:                              ;   in Loop: Header=BB2_130 Depth=2
	s_or_b32 exec_lo, exec_lo, s40
	v_max_f32_e32 v117, v117, v117
	v_max_f32_e32 v116, v116, v116
	s_mov_b32 s14, 0
	v_max_f32_e32 v116, v116, v117
.LBB2_252:                              ;   in Loop: Header=BB2_130 Depth=2
	s_and_b32 vcc_lo, exec_lo, s14
	s_cbranch_vccz .LBB2_266
; %bb.253:                              ;   in Loop: Header=BB2_130 Depth=2
	v_cmp_gt_i16_sdwa s40, v14, v96 src0_sel:BYTE_3 src1_sel:DWORD
	s_mov_b32 s14, 0
	s_and_saveexec_b32 s41, s40
	s_xor_b32 s40, exec_lo, s41
	s_cbranch_execz .LBB2_732
; %bb.254:                              ;   in Loop: Header=BB2_130 Depth=2
	v_cmp_eq_u16_sdwa s42, v14, v97 src0_sel:BYTE_3 src1_sel:DWORD
	s_mov_b32 s14, -1
	s_and_saveexec_b32 s41, s42
; %bb.255:                              ;   in Loop: Header=BB2_130 Depth=2
	s_xor_b32 s14, exec_lo, -1
; %bb.256:                              ;   in Loop: Header=BB2_130 Depth=2
	s_or_b32 exec_lo, exec_lo, s41
	s_and_b32 s14, s14, exec_lo
	s_or_saveexec_b32 s40, s40
	v_mov_b32_e32 v116, 0x7f800001
	s_xor_b32 exec_lo, exec_lo, s40
	s_cbranch_execnz .LBB2_733
.LBB2_257:                              ;   in Loop: Header=BB2_130 Depth=2
	s_or_b32 exec_lo, exec_lo, s40
	s_and_saveexec_b32 s40, s14
	s_cbranch_execz .LBB2_259
.LBB2_258:                              ;   in Loop: Header=BB2_130 Depth=2
	v_bfe_u32 v116, v14, 24, 2
	v_bfe_u32 v119, v14, 26, 5
	v_ffbh_u32_e32 v117, v116
	v_cmp_eq_u32_e32 vcc_lo, 0, v119
	v_min_u32_e32 v117, 32, v117
	v_subrev_nc_u32_e32 v118, 29, v117
	v_sub_nc_u32_e32 v117, 30, v117
	v_lshlrev_b32_sdwa v118, v118, v14 dst_sel:DWORD dst_unused:UNUSED_PAD src0_sel:DWORD src1_sel:BYTE_3
	v_cndmask_b32_e32 v117, v119, v117, vcc_lo
	v_and_b32_e32 v14, 0x80000000, v14
	v_and_b32_e32 v118, 3, v118
	v_lshl_add_u32 v117, v117, 23, 0x37800000
	v_cndmask_b32_e32 v116, v116, v118, vcc_lo
	v_lshlrev_b32_e32 v116, 21, v116
	v_or3_b32 v116, v14, v117, v116
.LBB2_259:                              ;   in Loop: Header=BB2_130 Depth=2
	s_or_b32 exec_lo, exec_lo, s40
	v_cmp_gt_i16_sdwa s40, v10, v96 src0_sel:BYTE_3 src1_sel:DWORD
	s_mov_b32 s14, 0
	s_and_saveexec_b32 s41, s40
	s_xor_b32 s40, exec_lo, s41
	s_cbranch_execz .LBB2_734
; %bb.260:                              ;   in Loop: Header=BB2_130 Depth=2
	v_cmp_eq_u16_sdwa s42, v10, v97 src0_sel:BYTE_3 src1_sel:DWORD
	s_mov_b32 s14, -1
	s_and_saveexec_b32 s41, s42
; %bb.261:                              ;   in Loop: Header=BB2_130 Depth=2
	s_xor_b32 s14, exec_lo, -1
; %bb.262:                              ;   in Loop: Header=BB2_130 Depth=2
	s_or_b32 exec_lo, exec_lo, s41
	s_and_b32 s14, s14, exec_lo
	s_or_saveexec_b32 s40, s40
	v_mov_b32_e32 v14, 0x7f800001
	s_xor_b32 exec_lo, exec_lo, s40
	s_cbranch_execnz .LBB2_735
.LBB2_263:                              ;   in Loop: Header=BB2_130 Depth=2
	s_or_b32 exec_lo, exec_lo, s40
	s_and_saveexec_b32 s40, s14
.LBB2_264:                              ;   in Loop: Header=BB2_130 Depth=2
	v_mov_b32_e32 v14, v115
.LBB2_265:                              ;   in Loop: Header=BB2_130 Depth=2
	s_or_b32 exec_lo, exec_lo, s40
	v_max_f32_e32 v10, v14, v14
	v_max_f32_e32 v14, v116, v116
	v_min_f32_e32 v116, v14, v10
.LBB2_266:                              ;   in Loop: Header=BB2_130 Depth=2
	v_and_b32_e32 v10, 0x7f800000, v116
	v_mov_b32_e32 v14, 0x8000
	s_mov_b32 s40, exec_lo
	v_cmpx_ne_u32_e32 0x7f800000, v10
	s_cbranch_execz .LBB2_274
; %bb.267:                              ;   in Loop: Header=BB2_130 Depth=2
	v_mov_b32_e32 v14, 0
	s_mov_b32 s41, exec_lo
	v_cmpx_ne_u32_e32 0, v116
	s_cbranch_execz .LBB2_273
; %bb.268:                              ;   in Loop: Header=BB2_130 Depth=2
	v_bfe_u32 v10, v116, 23, 8
	v_and_b32_e32 v14, 0x7fffff, v116
	v_sub_nc_u32_e32 v115, 0x70, v10
	v_cmp_gt_u32_e32 vcc_lo, 0x71, v10
	v_or_b32_e32 v117, 0x800000, v14
	v_cndmask_b32_e32 v115, 0, v115, vcc_lo
	v_cmp_eq_u32_e32 vcc_lo, 0, v10
	v_add_nc_u32_e32 v10, 0xffffff91, v10
	v_cndmask_b32_e64 v115, v115, 0x6f, vcc_lo
	v_cndmask_b32_e32 v14, v117, v14, vcc_lo
	v_cndmask_b32_e64 v10, v10, 0xffffff92, vcc_lo
	v_lshl_add_u32 v117, 0x200000, v115, -1
	v_lshrrev_b32_e32 v118, v115, v14
	v_lshlrev_b32_e64 v40, v115, 0x100000
	v_add_nc_u32_e32 v115, v115, v10
	v_and_b32_e32 v14, v117, v14
	v_bfe_u32 v119, v118, 21, 1
	v_cmp_eq_u32_e64 s14, v14, v40
	v_add_nc_u32_e32 v117, -1, v119
	v_cndmask_b32_e64 v14, 0, v117, s14
	v_lshrrev_b32_e32 v117, 23, v118
	s_mov_b32 s14, exec_lo
	v_add_nc_u32_e32 v14, v14, v118
	v_xor_b32_e32 v117, 1, v117
	v_and_b32_e32 v10, 0x1fffff, v14
	v_add_nc_u32_e32 v14, v10, v118
                                        ; implicit-def: $vgpr10
	v_cmpx_ne_u32_e64 v115, v117
	s_xor_b32 s14, exec_lo, s14
; %bb.269:                              ;   in Loop: Header=BB2_130 Depth=2
	v_cmp_lt_u32_e32 vcc_lo, 0xffffff, v14
	v_sub_nc_u32_e32 v10, v115, v117
	v_cndmask_b32_e64 v115, 0, 1, vcc_lo
	v_add_co_ci_u32_e64 v10, null, 0, v10, vcc_lo
	v_lshrrev_b32_e32 v14, v115, v14
; %bb.270:                              ;   in Loop: Header=BB2_130 Depth=2
	s_andn2_saveexec_b32 s14, s14
; %bb.271:                              ;   in Loop: Header=BB2_130 Depth=2
	v_bfe_u32 v10, v14, 23, 1
; %bb.272:                              ;   in Loop: Header=BB2_130 Depth=2
	s_or_b32 exec_lo, exec_lo, s14
	v_lshrrev_b32_e32 v14, 21, v14
	v_min_i32_e32 v115, 31, v10
	v_cmp_gt_i32_e32 vcc_lo, 32, v10
	v_and_b32_sdwa v116, v116, v97 dst_sel:DWORD dst_unused:UNUSED_PAD src0_sel:BYTE_3 src1_sel:DWORD
	v_lshlrev_b32_e32 v115, 2, v115
	v_cndmask_b32_e32 v14, 3, v14, vcc_lo
	v_and_b32_e32 v115, 0xfc, v115
	v_and_b32_e32 v117, 3, v14
	v_or_b32_e32 v10, v10, v14
	v_or3_b32 v115, v116, v115, v117
	v_cmp_ne_u32_e32 vcc_lo, 0, v10
	v_lshlrev_b32_e32 v14, 8, v115
	v_cndmask_b32_e32 v14, 0, v14, vcc_lo
.LBB2_273:                              ;   in Loop: Header=BB2_130 Depth=2
	s_or_b32 exec_lo, exec_lo, s41
.LBB2_274:                              ;   in Loop: Header=BB2_130 Depth=2
	s_or_b32 exec_lo, exec_lo, s40
	v_and_b32_e32 v10, 3, v11
	v_bfe_u32 v117, v11, 2, 5
	v_lshlrev_b32_e32 v118, 24, v11
	v_cmp_gt_i16_sdwa s40, v15, v96 src0_sel:BYTE_0 src1_sel:DWORD
	s_mov_b32 s14, -1
	v_ffbh_u32_e32 v115, v10
	v_cmp_eq_u32_e32 vcc_lo, 0, v117
	v_min_u32_e32 v115, 32, v115
	v_subrev_nc_u32_e32 v116, 29, v115
	v_sub_nc_u32_e32 v115, 30, v115
	v_lshlrev_b32_e32 v116, v116, v11
	v_cndmask_b32_e32 v115, v117, v115, vcc_lo
	v_and_b32_e32 v116, 3, v116
	v_lshl_add_u32 v115, v115, 23, 0x37800000
	v_cndmask_b32_e32 v10, v10, v116, vcc_lo
	v_and_b32_e32 v116, 0x80000000, v118
	s_and_b32 vcc_lo, exec_lo, s29
	v_lshlrev_b32_e32 v10, 21, v10
	v_or3_b32 v10, v116, v115, v10
                                        ; implicit-def: $vgpr116
	s_cbranch_vccz .LBB2_288
; %bb.275:                              ;   in Loop: Header=BB2_130 Depth=2
	s_mov_b32 s14, 0
	s_and_saveexec_b32 s41, s40
	s_xor_b32 s40, exec_lo, s41
	s_cbranch_execz .LBB2_736
; %bb.276:                              ;   in Loop: Header=BB2_130 Depth=2
	v_cmp_eq_u16_sdwa s42, v15, v97 src0_sel:BYTE_0 src1_sel:DWORD
	s_mov_b32 s14, -1
	s_and_saveexec_b32 s41, s42
; %bb.277:                              ;   in Loop: Header=BB2_130 Depth=2
	s_xor_b32 s14, exec_lo, -1
; %bb.278:                              ;   in Loop: Header=BB2_130 Depth=2
	s_or_b32 exec_lo, exec_lo, s41
	s_and_b32 s14, s14, exec_lo
	s_or_saveexec_b32 s40, s40
	v_mov_b32_e32 v115, 0x7f800001
	s_xor_b32 exec_lo, exec_lo, s40
	s_cbranch_execnz .LBB2_737
.LBB2_279:                              ;   in Loop: Header=BB2_130 Depth=2
	s_or_b32 exec_lo, exec_lo, s40
	s_and_saveexec_b32 s40, s14
	s_cbranch_execz .LBB2_281
.LBB2_280:                              ;   in Loop: Header=BB2_130 Depth=2
	v_and_b32_e32 v115, 3, v15
	v_bfe_u32 v118, v15, 2, 5
	v_lshlrev_b32_e32 v119, 24, v15
	v_ffbh_u32_e32 v116, v115
	v_cmp_eq_u32_e32 vcc_lo, 0, v118
	v_min_u32_e32 v116, 32, v116
	v_subrev_nc_u32_e32 v117, 29, v116
	v_sub_nc_u32_e32 v116, 30, v116
	v_lshlrev_b32_e32 v117, v117, v15
	v_cndmask_b32_e32 v116, v118, v116, vcc_lo
	v_and_b32_e32 v117, 3, v117
	v_lshl_add_u32 v116, v116, 23, 0x37800000
	v_cndmask_b32_e32 v115, v115, v117, vcc_lo
	v_and_b32_e32 v117, 0x80000000, v119
	v_lshlrev_b32_e32 v115, 21, v115
	v_or3_b32 v115, v117, v116, v115
.LBB2_281:                              ;   in Loop: Header=BB2_130 Depth=2
	s_or_b32 exec_lo, exec_lo, s40
	v_cmp_gt_i16_sdwa s40, v11, v96 src0_sel:BYTE_0 src1_sel:DWORD
	s_mov_b32 s14, 0
	s_and_saveexec_b32 s41, s40
	s_xor_b32 s40, exec_lo, s41
	s_cbranch_execz .LBB2_738
; %bb.282:                              ;   in Loop: Header=BB2_130 Depth=2
	v_cmp_eq_u16_sdwa s42, v11, v97 src0_sel:BYTE_0 src1_sel:DWORD
	s_mov_b32 s14, -1
	s_and_saveexec_b32 s41, s42
; %bb.283:                              ;   in Loop: Header=BB2_130 Depth=2
	s_xor_b32 s14, exec_lo, -1
; %bb.284:                              ;   in Loop: Header=BB2_130 Depth=2
	s_or_b32 exec_lo, exec_lo, s41
	s_and_b32 s14, s14, exec_lo
	s_or_saveexec_b32 s40, s40
	v_mov_b32_e32 v116, 0x7f800001
	s_xor_b32 exec_lo, exec_lo, s40
	s_cbranch_execnz .LBB2_739
.LBB2_285:                              ;   in Loop: Header=BB2_130 Depth=2
	s_or_b32 exec_lo, exec_lo, s40
	s_and_saveexec_b32 s40, s14
.LBB2_286:                              ;   in Loop: Header=BB2_130 Depth=2
	v_mov_b32_e32 v116, v10
.LBB2_287:                              ;   in Loop: Header=BB2_130 Depth=2
	s_or_b32 exec_lo, exec_lo, s40
	v_max_f32_e32 v116, v116, v116
	v_max_f32_e32 v115, v115, v115
	s_mov_b32 s14, 0
	v_max_f32_e32 v116, v115, v116
.LBB2_288:                              ;   in Loop: Header=BB2_130 Depth=2
	s_and_b32 vcc_lo, exec_lo, s14
	s_cbranch_vccz .LBB2_302
; %bb.289:                              ;   in Loop: Header=BB2_130 Depth=2
	v_cmp_gt_i16_sdwa s40, v15, v96 src0_sel:BYTE_0 src1_sel:DWORD
	s_mov_b32 s14, 0
	s_and_saveexec_b32 s41, s40
	s_xor_b32 s40, exec_lo, s41
	s_cbranch_execz .LBB2_740
; %bb.290:                              ;   in Loop: Header=BB2_130 Depth=2
	v_cmp_eq_u16_sdwa s42, v15, v97 src0_sel:BYTE_0 src1_sel:DWORD
	s_mov_b32 s14, -1
	s_and_saveexec_b32 s41, s42
; %bb.291:                              ;   in Loop: Header=BB2_130 Depth=2
	s_xor_b32 s14, exec_lo, -1
; %bb.292:                              ;   in Loop: Header=BB2_130 Depth=2
	s_or_b32 exec_lo, exec_lo, s41
	s_and_b32 s14, s14, exec_lo
	s_or_saveexec_b32 s40, s40
	v_mov_b32_e32 v115, 0x7f800001
	s_xor_b32 exec_lo, exec_lo, s40
	s_cbranch_execnz .LBB2_741
.LBB2_293:                              ;   in Loop: Header=BB2_130 Depth=2
	s_or_b32 exec_lo, exec_lo, s40
	s_and_saveexec_b32 s40, s14
	s_cbranch_execz .LBB2_295
.LBB2_294:                              ;   in Loop: Header=BB2_130 Depth=2
	v_and_b32_e32 v115, 3, v15
	v_bfe_u32 v118, v15, 2, 5
	v_lshlrev_b32_e32 v119, 24, v15
	v_ffbh_u32_e32 v116, v115
	v_cmp_eq_u32_e32 vcc_lo, 0, v118
	v_min_u32_e32 v116, 32, v116
	v_subrev_nc_u32_e32 v117, 29, v116
	v_sub_nc_u32_e32 v116, 30, v116
	v_lshlrev_b32_e32 v117, v117, v15
	v_cndmask_b32_e32 v116, v118, v116, vcc_lo
	v_and_b32_e32 v117, 3, v117
	v_lshl_add_u32 v116, v116, 23, 0x37800000
	v_cndmask_b32_e32 v115, v115, v117, vcc_lo
	v_and_b32_e32 v117, 0x80000000, v119
	v_lshlrev_b32_e32 v115, 21, v115
	v_or3_b32 v115, v117, v116, v115
.LBB2_295:                              ;   in Loop: Header=BB2_130 Depth=2
	s_or_b32 exec_lo, exec_lo, s40
	v_cmp_gt_i16_sdwa s40, v11, v96 src0_sel:BYTE_0 src1_sel:DWORD
	s_mov_b32 s14, 0
	s_and_saveexec_b32 s41, s40
	s_xor_b32 s40, exec_lo, s41
	s_cbranch_execz .LBB2_742
; %bb.296:                              ;   in Loop: Header=BB2_130 Depth=2
	v_cmp_eq_u16_sdwa s42, v11, v97 src0_sel:BYTE_0 src1_sel:DWORD
	s_mov_b32 s14, -1
	s_and_saveexec_b32 s41, s42
; %bb.297:                              ;   in Loop: Header=BB2_130 Depth=2
	s_xor_b32 s14, exec_lo, -1
; %bb.298:                              ;   in Loop: Header=BB2_130 Depth=2
	s_or_b32 exec_lo, exec_lo, s41
	s_and_b32 s14, s14, exec_lo
	s_or_saveexec_b32 s40, s40
	v_mov_b32_e32 v116, 0x7f800001
	s_xor_b32 exec_lo, exec_lo, s40
	s_cbranch_execnz .LBB2_743
.LBB2_299:                              ;   in Loop: Header=BB2_130 Depth=2
	s_or_b32 exec_lo, exec_lo, s40
	s_and_saveexec_b32 s40, s14
.LBB2_300:                              ;   in Loop: Header=BB2_130 Depth=2
	v_mov_b32_e32 v116, v10
.LBB2_301:                              ;   in Loop: Header=BB2_130 Depth=2
	s_or_b32 exec_lo, exec_lo, s40
	v_max_f32_e32 v10, v116, v116
	v_max_f32_e32 v115, v115, v115
	v_min_f32_e32 v116, v115, v10
.LBB2_302:                              ;   in Loop: Header=BB2_130 Depth=2
	v_and_b32_e32 v10, 0x7f800000, v116
	v_mov_b32_e32 v115, 0x80
	s_mov_b32 s40, exec_lo
	v_cmpx_ne_u32_e32 0x7f800000, v10
	s_cbranch_execz .LBB2_310
; %bb.303:                              ;   in Loop: Header=BB2_130 Depth=2
	v_mov_b32_e32 v115, 0
	s_mov_b32 s41, exec_lo
	v_cmpx_ne_u32_e32 0, v116
	s_cbranch_execz .LBB2_309
; %bb.304:                              ;   in Loop: Header=BB2_130 Depth=2
	v_bfe_u32 v10, v116, 23, 8
	v_and_b32_e32 v115, 0x7fffff, v116
	v_sub_nc_u32_e32 v117, 0x70, v10
	v_cmp_gt_u32_e32 vcc_lo, 0x71, v10
	v_or_b32_e32 v118, 0x800000, v115
	v_cndmask_b32_e32 v117, 0, v117, vcc_lo
	v_cmp_eq_u32_e32 vcc_lo, 0, v10
	v_add_nc_u32_e32 v10, 0xffffff91, v10
	v_cndmask_b32_e64 v117, v117, 0x6f, vcc_lo
	v_cndmask_b32_e32 v115, v118, v115, vcc_lo
	v_cndmask_b32_e64 v10, v10, 0xffffff92, vcc_lo
	v_lshl_add_u32 v118, 0x200000, v117, -1
	v_lshrrev_b32_e32 v119, v117, v115
	v_lshlrev_b32_e64 v41, v117, 0x100000
	v_add_nc_u32_e32 v117, v117, v10
	v_and_b32_e32 v115, v118, v115
	v_bfe_u32 v40, v119, 21, 1
	v_cmp_eq_u32_e64 s14, v115, v41
	v_add_nc_u32_e32 v118, -1, v40
	v_cndmask_b32_e64 v115, 0, v118, s14
	v_lshrrev_b32_e32 v118, 23, v119
	s_mov_b32 s14, exec_lo
	v_add_nc_u32_e32 v115, v115, v119
	v_xor_b32_e32 v118, 1, v118
	v_and_b32_e32 v10, 0x1fffff, v115
	v_add_nc_u32_e32 v115, v10, v119
                                        ; implicit-def: $vgpr10
	v_cmpx_ne_u32_e64 v117, v118
	s_xor_b32 s14, exec_lo, s14
; %bb.305:                              ;   in Loop: Header=BB2_130 Depth=2
	v_cmp_lt_u32_e32 vcc_lo, 0xffffff, v115
	v_sub_nc_u32_e32 v10, v117, v118
	v_cndmask_b32_e64 v117, 0, 1, vcc_lo
	v_add_co_ci_u32_e64 v10, null, 0, v10, vcc_lo
	v_lshrrev_b32_e32 v115, v117, v115
; %bb.306:                              ;   in Loop: Header=BB2_130 Depth=2
	s_andn2_saveexec_b32 s14, s14
; %bb.307:                              ;   in Loop: Header=BB2_130 Depth=2
	v_bfe_u32 v10, v115, 23, 1
; %bb.308:                              ;   in Loop: Header=BB2_130 Depth=2
	s_or_b32 exec_lo, exec_lo, s14
	v_lshrrev_b32_e32 v115, 21, v115
	v_min_i32_e32 v117, 31, v10
	v_cmp_gt_i32_e32 vcc_lo, 32, v10
	v_and_b32_sdwa v116, v116, v97 dst_sel:DWORD dst_unused:UNUSED_PAD src0_sel:BYTE_3 src1_sel:DWORD
	v_lshlrev_b32_e32 v117, 2, v117
	v_cndmask_b32_e32 v115, 3, v115, vcc_lo
	v_and_b32_e32 v117, 0xfc, v117
	v_and_b32_e32 v118, 3, v115
	v_or_b32_e32 v10, v10, v115
	v_or3_b32 v115, v117, v116, v118
	v_cmp_ne_u32_e32 vcc_lo, 0, v10
	v_cndmask_b32_e32 v115, 0, v115, vcc_lo
.LBB2_309:                              ;   in Loop: Header=BB2_130 Depth=2
	s_or_b32 exec_lo, exec_lo, s41
.LBB2_310:                              ;   in Loop: Header=BB2_130 Depth=2
	s_or_b32 exec_lo, exec_lo, s40
	v_and_b32_sdwa v10, v98, v11 dst_sel:DWORD dst_unused:UNUSED_PAD src0_sel:DWORD src1_sel:BYTE_1
	v_cmp_gt_i16_sdwa s40, v15, v96 src0_sel:BYTE_1 src1_sel:DWORD
	s_mov_b32 s14, -1
	v_and_b32_e32 v116, 3, v10
	v_bfe_u32 v119, v10, 2, 5
	v_ffbh_u32_e32 v117, v116
	v_cmp_eq_u32_e32 vcc_lo, 0, v119
	v_min_u32_e32 v117, 32, v117
	v_subrev_nc_u32_e32 v118, 29, v117
	v_sub_nc_u32_e32 v117, 30, v117
	v_lshlrev_b32_e32 v10, v118, v10
	v_lshlrev_b32_sdwa v118, v99, v11 dst_sel:DWORD dst_unused:UNUSED_PAD src0_sel:DWORD src1_sel:BYTE_1
	v_cndmask_b32_e32 v117, v119, v117, vcc_lo
	v_and_b32_e32 v10, 3, v10
	v_lshl_add_u32 v117, v117, 23, 0x37800000
	v_cndmask_b32_e32 v10, v116, v10, vcc_lo
	v_and_b32_e32 v116, 0x80000000, v118
	s_and_b32 vcc_lo, exec_lo, s29
	v_lshlrev_b32_e32 v10, 21, v10
	v_or3_b32 v10, v116, v117, v10
                                        ; implicit-def: $vgpr117
	s_cbranch_vccz .LBB2_324
; %bb.311:                              ;   in Loop: Header=BB2_130 Depth=2
	s_mov_b32 s14, 0
	s_and_saveexec_b32 s41, s40
	s_xor_b32 s40, exec_lo, s41
	s_cbranch_execz .LBB2_744
; %bb.312:                              ;   in Loop: Header=BB2_130 Depth=2
	v_cmp_eq_u16_sdwa s42, v15, v97 src0_sel:BYTE_1 src1_sel:DWORD
	s_mov_b32 s14, -1
	s_and_saveexec_b32 s41, s42
; %bb.313:                              ;   in Loop: Header=BB2_130 Depth=2
	s_xor_b32 s14, exec_lo, -1
; %bb.314:                              ;   in Loop: Header=BB2_130 Depth=2
	s_or_b32 exec_lo, exec_lo, s41
	s_and_b32 s14, s14, exec_lo
	s_or_saveexec_b32 s40, s40
	v_mov_b32_e32 v116, 0x7f800001
	s_xor_b32 exec_lo, exec_lo, s40
	s_cbranch_execnz .LBB2_745
.LBB2_315:                              ;   in Loop: Header=BB2_130 Depth=2
	s_or_b32 exec_lo, exec_lo, s40
	s_and_saveexec_b32 s40, s14
	s_cbranch_execz .LBB2_317
.LBB2_316:                              ;   in Loop: Header=BB2_130 Depth=2
	v_and_b32_sdwa v116, v98, v15 dst_sel:DWORD dst_unused:UNUSED_PAD src0_sel:DWORD src1_sel:BYTE_1
	v_and_b32_e32 v117, 3, v116
	v_bfe_u32 v40, v116, 2, 5
	v_ffbh_u32_e32 v118, v117
	v_cmp_eq_u32_e32 vcc_lo, 0, v40
	v_min_u32_e32 v118, 32, v118
	v_subrev_nc_u32_e32 v119, 29, v118
	v_sub_nc_u32_e32 v118, 30, v118
	v_lshlrev_b32_e32 v116, v119, v116
	v_lshlrev_b32_e32 v119, 16, v15
	v_cndmask_b32_e32 v118, v40, v118, vcc_lo
	v_and_b32_e32 v116, 3, v116
	v_lshl_add_u32 v118, v118, 23, 0x37800000
	v_cndmask_b32_e32 v116, v117, v116, vcc_lo
	v_and_b32_e32 v117, 0x80000000, v119
	v_lshlrev_b32_e32 v116, 21, v116
	v_or3_b32 v116, v117, v118, v116
.LBB2_317:                              ;   in Loop: Header=BB2_130 Depth=2
	s_or_b32 exec_lo, exec_lo, s40
	v_cmp_gt_i16_sdwa s40, v11, v96 src0_sel:BYTE_1 src1_sel:DWORD
	s_mov_b32 s14, 0
	s_and_saveexec_b32 s41, s40
	s_xor_b32 s40, exec_lo, s41
	s_cbranch_execz .LBB2_746
; %bb.318:                              ;   in Loop: Header=BB2_130 Depth=2
	v_cmp_eq_u16_sdwa s42, v11, v97 src0_sel:BYTE_1 src1_sel:DWORD
	s_mov_b32 s14, -1
	s_and_saveexec_b32 s41, s42
; %bb.319:                              ;   in Loop: Header=BB2_130 Depth=2
	s_xor_b32 s14, exec_lo, -1
; %bb.320:                              ;   in Loop: Header=BB2_130 Depth=2
	s_or_b32 exec_lo, exec_lo, s41
	s_and_b32 s14, s14, exec_lo
	s_or_saveexec_b32 s40, s40
	v_mov_b32_e32 v117, 0x7f800001
	s_xor_b32 exec_lo, exec_lo, s40
	s_cbranch_execnz .LBB2_747
.LBB2_321:                              ;   in Loop: Header=BB2_130 Depth=2
	s_or_b32 exec_lo, exec_lo, s40
	s_and_saveexec_b32 s40, s14
.LBB2_322:                              ;   in Loop: Header=BB2_130 Depth=2
	v_mov_b32_e32 v117, v10
.LBB2_323:                              ;   in Loop: Header=BB2_130 Depth=2
	s_or_b32 exec_lo, exec_lo, s40
	v_max_f32_e32 v117, v117, v117
	v_max_f32_e32 v116, v116, v116
	s_mov_b32 s14, 0
	v_max_f32_e32 v117, v116, v117
.LBB2_324:                              ;   in Loop: Header=BB2_130 Depth=2
	s_and_b32 vcc_lo, exec_lo, s14
	s_cbranch_vccz .LBB2_338
; %bb.325:                              ;   in Loop: Header=BB2_130 Depth=2
	v_cmp_gt_i16_sdwa s40, v15, v96 src0_sel:BYTE_1 src1_sel:DWORD
	s_mov_b32 s14, 0
	s_and_saveexec_b32 s41, s40
	s_xor_b32 s40, exec_lo, s41
	s_cbranch_execz .LBB2_748
; %bb.326:                              ;   in Loop: Header=BB2_130 Depth=2
	v_cmp_eq_u16_sdwa s42, v15, v97 src0_sel:BYTE_1 src1_sel:DWORD
	s_mov_b32 s14, -1
	s_and_saveexec_b32 s41, s42
; %bb.327:                              ;   in Loop: Header=BB2_130 Depth=2
	s_xor_b32 s14, exec_lo, -1
; %bb.328:                              ;   in Loop: Header=BB2_130 Depth=2
	s_or_b32 exec_lo, exec_lo, s41
	s_and_b32 s14, s14, exec_lo
	s_or_saveexec_b32 s40, s40
	v_mov_b32_e32 v116, 0x7f800001
	s_xor_b32 exec_lo, exec_lo, s40
	s_cbranch_execnz .LBB2_749
.LBB2_329:                              ;   in Loop: Header=BB2_130 Depth=2
	s_or_b32 exec_lo, exec_lo, s40
	s_and_saveexec_b32 s40, s14
	s_cbranch_execz .LBB2_331
.LBB2_330:                              ;   in Loop: Header=BB2_130 Depth=2
	v_and_b32_sdwa v116, v98, v15 dst_sel:DWORD dst_unused:UNUSED_PAD src0_sel:DWORD src1_sel:BYTE_1
	v_and_b32_e32 v117, 3, v116
	v_bfe_u32 v40, v116, 2, 5
	v_ffbh_u32_e32 v118, v117
	v_cmp_eq_u32_e32 vcc_lo, 0, v40
	v_min_u32_e32 v118, 32, v118
	v_subrev_nc_u32_e32 v119, 29, v118
	v_sub_nc_u32_e32 v118, 30, v118
	v_lshlrev_b32_e32 v116, v119, v116
	v_lshlrev_b32_e32 v119, 16, v15
	v_cndmask_b32_e32 v118, v40, v118, vcc_lo
	v_and_b32_e32 v116, 3, v116
	v_lshl_add_u32 v118, v118, 23, 0x37800000
	v_cndmask_b32_e32 v116, v117, v116, vcc_lo
	v_and_b32_e32 v117, 0x80000000, v119
	v_lshlrev_b32_e32 v116, 21, v116
	v_or3_b32 v116, v117, v118, v116
.LBB2_331:                              ;   in Loop: Header=BB2_130 Depth=2
	s_or_b32 exec_lo, exec_lo, s40
	v_cmp_gt_i16_sdwa s40, v11, v96 src0_sel:BYTE_1 src1_sel:DWORD
	s_mov_b32 s14, 0
	s_and_saveexec_b32 s41, s40
	s_xor_b32 s40, exec_lo, s41
	s_cbranch_execz .LBB2_750
; %bb.332:                              ;   in Loop: Header=BB2_130 Depth=2
	v_cmp_eq_u16_sdwa s42, v11, v97 src0_sel:BYTE_1 src1_sel:DWORD
	s_mov_b32 s14, -1
	s_and_saveexec_b32 s41, s42
; %bb.333:                              ;   in Loop: Header=BB2_130 Depth=2
	s_xor_b32 s14, exec_lo, -1
; %bb.334:                              ;   in Loop: Header=BB2_130 Depth=2
	s_or_b32 exec_lo, exec_lo, s41
	s_and_b32 s14, s14, exec_lo
	s_or_saveexec_b32 s40, s40
	v_mov_b32_e32 v117, 0x7f800001
	s_xor_b32 exec_lo, exec_lo, s40
	s_cbranch_execnz .LBB2_751
.LBB2_335:                              ;   in Loop: Header=BB2_130 Depth=2
	s_or_b32 exec_lo, exec_lo, s40
	s_and_saveexec_b32 s40, s14
.LBB2_336:                              ;   in Loop: Header=BB2_130 Depth=2
	v_mov_b32_e32 v117, v10
.LBB2_337:                              ;   in Loop: Header=BB2_130 Depth=2
	s_or_b32 exec_lo, exec_lo, s40
	v_max_f32_e32 v10, v117, v117
	v_max_f32_e32 v116, v116, v116
	v_min_f32_e32 v117, v116, v10
.LBB2_338:                              ;   in Loop: Header=BB2_130 Depth=2
	v_and_b32_e32 v10, 0x7f800000, v117
	v_mov_b32_e32 v116, 0x8000
	s_mov_b32 s40, exec_lo
	v_cmpx_ne_u32_e32 0x7f800000, v10
	s_cbranch_execz .LBB2_346
; %bb.339:                              ;   in Loop: Header=BB2_130 Depth=2
	v_mov_b32_e32 v116, 0
	s_mov_b32 s41, exec_lo
	v_cmpx_ne_u32_e32 0, v117
	s_cbranch_execz .LBB2_345
; %bb.340:                              ;   in Loop: Header=BB2_130 Depth=2
	v_bfe_u32 v10, v117, 23, 8
	v_and_b32_e32 v116, 0x7fffff, v117
	v_sub_nc_u32_e32 v118, 0x70, v10
	v_cmp_gt_u32_e32 vcc_lo, 0x71, v10
	v_or_b32_e32 v119, 0x800000, v116
	v_cndmask_b32_e32 v118, 0, v118, vcc_lo
	v_cmp_eq_u32_e32 vcc_lo, 0, v10
	v_add_nc_u32_e32 v10, 0xffffff91, v10
	v_cndmask_b32_e64 v118, v118, 0x6f, vcc_lo
	v_cndmask_b32_e32 v116, v119, v116, vcc_lo
	v_cndmask_b32_e64 v10, v10, 0xffffff92, vcc_lo
	v_lshl_add_u32 v119, 0x200000, v118, -1
	v_lshrrev_b32_e32 v40, v118, v116
	v_lshlrev_b32_e64 v42, v118, 0x100000
	v_add_nc_u32_e32 v118, v118, v10
	v_and_b32_e32 v116, v119, v116
	v_bfe_u32 v41, v40, 21, 1
	v_cmp_eq_u32_e64 s14, v116, v42
	v_add_nc_u32_e32 v119, -1, v41
	v_cndmask_b32_e64 v116, 0, v119, s14
	v_lshrrev_b32_e32 v119, 23, v40
	s_mov_b32 s14, exec_lo
	v_add_nc_u32_e32 v116, v116, v40
	v_xor_b32_e32 v119, 1, v119
	v_and_b32_e32 v10, 0x1fffff, v116
	v_add_nc_u32_e32 v116, v10, v40
                                        ; implicit-def: $vgpr10
	v_cmpx_ne_u32_e64 v118, v119
	s_xor_b32 s14, exec_lo, s14
; %bb.341:                              ;   in Loop: Header=BB2_130 Depth=2
	v_cmp_lt_u32_e32 vcc_lo, 0xffffff, v116
	v_sub_nc_u32_e32 v10, v118, v119
	v_cndmask_b32_e64 v118, 0, 1, vcc_lo
	v_add_co_ci_u32_e64 v10, null, 0, v10, vcc_lo
	v_lshrrev_b32_e32 v116, v118, v116
; %bb.342:                              ;   in Loop: Header=BB2_130 Depth=2
	s_andn2_saveexec_b32 s14, s14
; %bb.343:                              ;   in Loop: Header=BB2_130 Depth=2
	v_bfe_u32 v10, v116, 23, 1
; %bb.344:                              ;   in Loop: Header=BB2_130 Depth=2
	s_or_b32 exec_lo, exec_lo, s14
	v_lshrrev_b32_e32 v116, 21, v116
	v_min_i32_e32 v118, 31, v10
	v_cmp_gt_i32_e32 vcc_lo, 32, v10
	v_and_b32_sdwa v117, v117, v97 dst_sel:DWORD dst_unused:UNUSED_PAD src0_sel:BYTE_3 src1_sel:DWORD
	v_lshlrev_b32_e32 v118, 2, v118
	v_cndmask_b32_e32 v116, 3, v116, vcc_lo
	v_and_b32_e32 v118, 0xfc, v118
	v_and_b32_e32 v119, 3, v116
	v_or_b32_e32 v10, v10, v116
	v_or3_b32 v117, v117, v118, v119
	v_cmp_ne_u32_e32 vcc_lo, 0, v10
	v_lshlrev_b32_e32 v116, 8, v117
	v_cndmask_b32_e32 v116, 0, v116, vcc_lo
.LBB2_345:                              ;   in Loop: Header=BB2_130 Depth=2
	s_or_b32 exec_lo, exec_lo, s41
.LBB2_346:                              ;   in Loop: Header=BB2_130 Depth=2
	s_or_b32 exec_lo, exec_lo, s40
	v_bfe_u32 v10, v11, 16, 2
	v_bfe_u32 v119, v11, 18, 5
	v_lshlrev_b32_e32 v40, 8, v11
	s_mov_b32 s40, -1
	v_ffbh_u32_e32 v117, v10
	v_cmp_eq_u32_e32 vcc_lo, 0, v119
	v_min_u32_e32 v117, 32, v117
	v_subrev_nc_u32_e32 v118, 29, v117
	v_sub_nc_u32_e32 v117, 30, v117
	v_lshlrev_b32_sdwa v118, v118, v11 dst_sel:DWORD dst_unused:UNUSED_PAD src0_sel:DWORD src1_sel:WORD_1
	v_cndmask_b32_e32 v117, v119, v117, vcc_lo
	v_and_b32_e32 v118, 3, v118
	v_lshl_add_u32 v119, v117, 23, 0x37800000
	v_and_b32_sdwa v117, v15, v100 dst_sel:DWORD dst_unused:UNUSED_PAD src0_sel:WORD_1 src1_sel:DWORD
	v_cndmask_b32_e32 v10, v10, v118, vcc_lo
	v_and_b32_e32 v118, 0x80000000, v40
	v_cmp_lt_i16_e64 s14, 0x7f, v117
	s_and_b32 vcc_lo, exec_lo, s29
	v_lshlrev_b32_e32 v10, 21, v10
	v_or3_b32 v10, v118, v119, v10
                                        ; implicit-def: $vgpr118
	s_cbranch_vccz .LBB2_360
; %bb.347:                              ;   in Loop: Header=BB2_130 Depth=2
	s_mov_b32 s40, 0
	s_and_saveexec_b32 s41, s14
	s_xor_b32 s14, exec_lo, s41
	s_cbranch_execz .LBB2_752
; %bb.348:                              ;   in Loop: Header=BB2_130 Depth=2
	s_mov_b32 s40, -1
	s_mov_b32 s41, exec_lo
	v_cmpx_eq_u16_e32 0x80, v117
; %bb.349:                              ;   in Loop: Header=BB2_130 Depth=2
	s_xor_b32 s40, exec_lo, -1
; %bb.350:                              ;   in Loop: Header=BB2_130 Depth=2
	s_or_b32 exec_lo, exec_lo, s41
	s_and_b32 s40, s40, exec_lo
	s_or_saveexec_b32 s14, s14
	v_mov_b32_e32 v118, 0x7f800001
	s_xor_b32 exec_lo, exec_lo, s14
	s_cbranch_execnz .LBB2_753
.LBB2_351:                              ;   in Loop: Header=BB2_130 Depth=2
	s_or_b32 exec_lo, exec_lo, s14
	s_and_saveexec_b32 s14, s40
	s_cbranch_execz .LBB2_353
.LBB2_352:                              ;   in Loop: Header=BB2_130 Depth=2
	v_bfe_u32 v118, v15, 16, 2
	v_bfe_u32 v41, v15, 18, 5
	v_lshlrev_b32_sdwa v42, v99, v15 dst_sel:DWORD dst_unused:UNUSED_PAD src0_sel:DWORD src1_sel:WORD_1
	v_ffbh_u32_e32 v119, v118
	v_cmp_eq_u32_e32 vcc_lo, 0, v41
	v_min_u32_e32 v119, 32, v119
	v_subrev_nc_u32_e32 v40, 29, v119
	v_sub_nc_u32_e32 v119, 30, v119
	v_lshlrev_b32_sdwa v40, v40, v15 dst_sel:DWORD dst_unused:UNUSED_PAD src0_sel:DWORD src1_sel:WORD_1
	v_cndmask_b32_e32 v119, v41, v119, vcc_lo
	v_and_b32_e32 v40, 3, v40
	v_lshl_add_u32 v119, v119, 23, 0x37800000
	v_cndmask_b32_e32 v118, v118, v40, vcc_lo
	v_and_b32_e32 v40, 0x80000000, v42
	v_lshlrev_b32_e32 v118, 21, v118
	v_or3_b32 v118, v40, v119, v118
.LBB2_353:                              ;   in Loop: Header=BB2_130 Depth=2
	s_or_b32 exec_lo, exec_lo, s14
	v_and_b32_sdwa v40, v11, v100 dst_sel:DWORD dst_unused:UNUSED_PAD src0_sel:WORD_1 src1_sel:DWORD
	s_mov_b32 s14, 0
	s_mov_b32 s40, exec_lo
	v_cmpx_lt_i16_e32 0x7f, v40
	s_xor_b32 s40, exec_lo, s40
	s_cbranch_execz .LBB2_754
; %bb.354:                              ;   in Loop: Header=BB2_130 Depth=2
	s_mov_b32 s14, -1
	s_mov_b32 s41, exec_lo
	v_cmpx_eq_u16_e32 0x80, v40
; %bb.355:                              ;   in Loop: Header=BB2_130 Depth=2
	s_xor_b32 s14, exec_lo, -1
; %bb.356:                              ;   in Loop: Header=BB2_130 Depth=2
	s_or_b32 exec_lo, exec_lo, s41
	s_and_b32 s14, s14, exec_lo
                                        ; implicit-def: $vgpr40
	s_or_saveexec_b32 s40, s40
	v_mov_b32_e32 v119, 0x7f800001
	s_xor_b32 exec_lo, exec_lo, s40
	s_cbranch_execnz .LBB2_755
.LBB2_357:                              ;   in Loop: Header=BB2_130 Depth=2
	s_or_b32 exec_lo, exec_lo, s40
	s_and_saveexec_b32 s40, s14
.LBB2_358:                              ;   in Loop: Header=BB2_130 Depth=2
	v_mov_b32_e32 v119, v10
.LBB2_359:                              ;   in Loop: Header=BB2_130 Depth=2
	s_or_b32 exec_lo, exec_lo, s40
	v_max_f32_e32 v119, v119, v119
	v_max_f32_e32 v118, v118, v118
	s_mov_b32 s40, 0
	v_max_f32_e32 v118, v118, v119
.LBB2_360:                              ;   in Loop: Header=BB2_130 Depth=2
	s_and_b32 vcc_lo, exec_lo, s40
	s_cbranch_vccz .LBB2_374
; %bb.361:                              ;   in Loop: Header=BB2_130 Depth=2
	s_mov_b32 s14, 0
	s_mov_b32 s40, exec_lo
	v_cmpx_lt_i16_e32 0x7f, v117
	s_xor_b32 s40, exec_lo, s40
	s_cbranch_execz .LBB2_756
; %bb.362:                              ;   in Loop: Header=BB2_130 Depth=2
	s_mov_b32 s14, -1
	s_mov_b32 s41, exec_lo
	v_cmpx_eq_u16_e32 0x80, v117
; %bb.363:                              ;   in Loop: Header=BB2_130 Depth=2
	s_xor_b32 s14, exec_lo, -1
; %bb.364:                              ;   in Loop: Header=BB2_130 Depth=2
	s_or_b32 exec_lo, exec_lo, s41
	s_and_b32 s14, s14, exec_lo
                                        ; implicit-def: $vgpr117
	s_or_saveexec_b32 s40, s40
	v_mov_b32_e32 v118, 0x7f800001
	s_xor_b32 exec_lo, exec_lo, s40
	s_cbranch_execnz .LBB2_757
.LBB2_365:                              ;   in Loop: Header=BB2_130 Depth=2
	s_or_b32 exec_lo, exec_lo, s40
	s_and_saveexec_b32 s40, s14
	s_cbranch_execz .LBB2_367
.LBB2_366:                              ;   in Loop: Header=BB2_130 Depth=2
	v_bfe_u32 v117, v15, 16, 2
	v_bfe_u32 v40, v15, 18, 5
	v_lshlrev_b32_sdwa v41, v99, v15 dst_sel:DWORD dst_unused:UNUSED_PAD src0_sel:DWORD src1_sel:WORD_1
	v_ffbh_u32_e32 v118, v117
	v_cmp_eq_u32_e32 vcc_lo, 0, v40
	v_min_u32_e32 v118, 32, v118
	v_subrev_nc_u32_e32 v119, 29, v118
	v_sub_nc_u32_e32 v118, 30, v118
	v_lshlrev_b32_sdwa v119, v119, v15 dst_sel:DWORD dst_unused:UNUSED_PAD src0_sel:DWORD src1_sel:WORD_1
	v_cndmask_b32_e32 v118, v40, v118, vcc_lo
	v_and_b32_e32 v119, 3, v119
	v_lshl_add_u32 v118, v118, 23, 0x37800000
	v_cndmask_b32_e32 v117, v117, v119, vcc_lo
	v_and_b32_e32 v119, 0x80000000, v41
	v_lshlrev_b32_e32 v117, 21, v117
	v_or3_b32 v118, v119, v118, v117
.LBB2_367:                              ;   in Loop: Header=BB2_130 Depth=2
	s_or_b32 exec_lo, exec_lo, s40
	v_and_b32_sdwa v119, v11, v100 dst_sel:DWORD dst_unused:UNUSED_PAD src0_sel:WORD_1 src1_sel:DWORD
	s_mov_b32 s14, 0
	s_mov_b32 s40, exec_lo
	v_cmpx_lt_i16_e32 0x7f, v119
	s_xor_b32 s40, exec_lo, s40
	s_cbranch_execz .LBB2_758
; %bb.368:                              ;   in Loop: Header=BB2_130 Depth=2
	s_mov_b32 s14, -1
	s_mov_b32 s41, exec_lo
	v_cmpx_eq_u16_e32 0x80, v119
; %bb.369:                              ;   in Loop: Header=BB2_130 Depth=2
	s_xor_b32 s14, exec_lo, -1
; %bb.370:                              ;   in Loop: Header=BB2_130 Depth=2
	s_or_b32 exec_lo, exec_lo, s41
	s_and_b32 s14, s14, exec_lo
                                        ; implicit-def: $vgpr119
	s_or_saveexec_b32 s40, s40
	v_mov_b32_e32 v117, 0x7f800001
	s_xor_b32 exec_lo, exec_lo, s40
	s_cbranch_execnz .LBB2_759
.LBB2_371:                              ;   in Loop: Header=BB2_130 Depth=2
	s_or_b32 exec_lo, exec_lo, s40
	s_and_saveexec_b32 s40, s14
.LBB2_372:                              ;   in Loop: Header=BB2_130 Depth=2
	v_mov_b32_e32 v117, v10
.LBB2_373:                              ;   in Loop: Header=BB2_130 Depth=2
	s_or_b32 exec_lo, exec_lo, s40
	v_max_f32_e32 v10, v117, v117
	v_max_f32_e32 v117, v118, v118
	v_min_f32_e32 v118, v117, v10
.LBB2_374:                              ;   in Loop: Header=BB2_130 Depth=2
	v_and_b32_e32 v10, 0x7f800000, v118
	v_mov_b32_e32 v117, 0x80
	s_mov_b32 s40, exec_lo
	v_cmpx_ne_u32_e32 0x7f800000, v10
	s_cbranch_execz .LBB2_382
; %bb.375:                              ;   in Loop: Header=BB2_130 Depth=2
	v_mov_b32_e32 v117, 0
	s_mov_b32 s41, exec_lo
	v_cmpx_ne_u32_e32 0, v118
	s_cbranch_execz .LBB2_381
; %bb.376:                              ;   in Loop: Header=BB2_130 Depth=2
	v_bfe_u32 v10, v118, 23, 8
	v_and_b32_e32 v117, 0x7fffff, v118
	v_sub_nc_u32_e32 v119, 0x70, v10
	v_cmp_gt_u32_e32 vcc_lo, 0x71, v10
	v_or_b32_e32 v40, 0x800000, v117
	v_cndmask_b32_e32 v119, 0, v119, vcc_lo
	v_cmp_eq_u32_e32 vcc_lo, 0, v10
	v_add_nc_u32_e32 v10, 0xffffff91, v10
	v_cndmask_b32_e64 v119, v119, 0x6f, vcc_lo
	v_cndmask_b32_e32 v117, v40, v117, vcc_lo
	v_cndmask_b32_e64 v10, v10, 0xffffff92, vcc_lo
	v_lshl_add_u32 v40, 0x200000, v119, -1
	v_lshrrev_b32_e32 v41, v119, v117
	v_lshlrev_b32_e64 v43, v119, 0x100000
	v_add_nc_u32_e32 v119, v119, v10
	v_and_b32_e32 v117, v40, v117
	v_bfe_u32 v42, v41, 21, 1
	v_cmp_eq_u32_e64 s14, v117, v43
	v_add_nc_u32_e32 v40, -1, v42
	v_cndmask_b32_e64 v117, 0, v40, s14
	v_lshrrev_b32_e32 v40, 23, v41
	s_mov_b32 s14, exec_lo
	v_add_nc_u32_e32 v117, v117, v41
	v_xor_b32_e32 v40, 1, v40
	v_and_b32_e32 v10, 0x1fffff, v117
	v_add_nc_u32_e32 v117, v10, v41
                                        ; implicit-def: $vgpr10
	v_cmpx_ne_u32_e64 v119, v40
	s_xor_b32 s14, exec_lo, s14
; %bb.377:                              ;   in Loop: Header=BB2_130 Depth=2
	v_cmp_lt_u32_e32 vcc_lo, 0xffffff, v117
	v_sub_nc_u32_e32 v10, v119, v40
	v_cndmask_b32_e64 v119, 0, 1, vcc_lo
	v_add_co_ci_u32_e64 v10, null, 0, v10, vcc_lo
	v_lshrrev_b32_e32 v117, v119, v117
; %bb.378:                              ;   in Loop: Header=BB2_130 Depth=2
	s_andn2_saveexec_b32 s14, s14
; %bb.379:                              ;   in Loop: Header=BB2_130 Depth=2
	v_bfe_u32 v10, v117, 23, 1
; %bb.380:                              ;   in Loop: Header=BB2_130 Depth=2
	s_or_b32 exec_lo, exec_lo, s14
	v_lshrrev_b32_e32 v117, 21, v117
	v_min_i32_e32 v119, 31, v10
	v_cmp_gt_i32_e32 vcc_lo, 32, v10
	v_and_b32_sdwa v118, v118, v97 dst_sel:DWORD dst_unused:UNUSED_PAD src0_sel:BYTE_3 src1_sel:DWORD
	v_lshlrev_b32_e32 v119, 2, v119
	v_cndmask_b32_e32 v117, 3, v117, vcc_lo
	v_and_b32_e32 v119, 0xfc, v119
	v_and_b32_e32 v40, 3, v117
	v_or_b32_e32 v10, v10, v117
	v_or3_b32 v117, v119, v118, v40
	v_cmp_ne_u32_e32 vcc_lo, 0, v10
	v_cndmask_b32_e32 v117, 0, v117, vcc_lo
.LBB2_381:                              ;   in Loop: Header=BB2_130 Depth=2
	s_or_b32 exec_lo, exec_lo, s41
.LBB2_382:                              ;   in Loop: Header=BB2_130 Depth=2
	s_or_b32 exec_lo, exec_lo, s40
	v_bfe_u32 v10, v11, 24, 2
	v_bfe_u32 v40, v11, 26, 5
	v_cmp_gt_i16_sdwa s40, v15, v96 src0_sel:BYTE_3 src1_sel:DWORD
	s_mov_b32 s14, -1
	v_ffbh_u32_e32 v118, v10
	v_cmp_eq_u32_e32 vcc_lo, 0, v40
	v_min_u32_e32 v118, 32, v118
	v_subrev_nc_u32_e32 v119, 29, v118
	v_sub_nc_u32_e32 v118, 30, v118
	v_lshlrev_b32_sdwa v119, v119, v11 dst_sel:DWORD dst_unused:UNUSED_PAD src0_sel:DWORD src1_sel:BYTE_3
	v_cndmask_b32_e32 v118, v40, v118, vcc_lo
	v_and_b32_e32 v119, 3, v119
	v_lshl_add_u32 v118, v118, 23, 0x37800000
	v_cndmask_b32_e32 v10, v10, v119, vcc_lo
	v_and_b32_e32 v119, 0x80000000, v11
	s_and_b32 vcc_lo, exec_lo, s29
	v_lshlrev_b32_e32 v10, 21, v10
	v_or3_b32 v10, v119, v118, v10
                                        ; implicit-def: $vgpr118
	s_cbranch_vccz .LBB2_396
; %bb.383:                              ;   in Loop: Header=BB2_130 Depth=2
	s_mov_b32 s14, 0
	s_and_saveexec_b32 s41, s40
	s_xor_b32 s40, exec_lo, s41
	s_cbranch_execz .LBB2_760
; %bb.384:                              ;   in Loop: Header=BB2_130 Depth=2
	v_cmp_eq_u16_sdwa s42, v15, v97 src0_sel:BYTE_3 src1_sel:DWORD
	s_mov_b32 s14, -1
	s_and_saveexec_b32 s41, s42
; %bb.385:                              ;   in Loop: Header=BB2_130 Depth=2
	s_xor_b32 s14, exec_lo, -1
; %bb.386:                              ;   in Loop: Header=BB2_130 Depth=2
	s_or_b32 exec_lo, exec_lo, s41
	s_and_b32 s14, s14, exec_lo
	s_or_saveexec_b32 s40, s40
	v_mov_b32_e32 v118, 0x7f800001
	s_xor_b32 exec_lo, exec_lo, s40
	s_cbranch_execnz .LBB2_761
.LBB2_387:                              ;   in Loop: Header=BB2_130 Depth=2
	s_or_b32 exec_lo, exec_lo, s40
	s_and_saveexec_b32 s40, s14
	s_cbranch_execz .LBB2_389
.LBB2_388:                              ;   in Loop: Header=BB2_130 Depth=2
	v_bfe_u32 v118, v15, 24, 2
	v_bfe_u32 v41, v15, 26, 5
	v_ffbh_u32_e32 v119, v118
	v_cmp_eq_u32_e32 vcc_lo, 0, v41
	v_min_u32_e32 v119, 32, v119
	v_subrev_nc_u32_e32 v40, 29, v119
	v_sub_nc_u32_e32 v119, 30, v119
	v_lshlrev_b32_sdwa v40, v40, v15 dst_sel:DWORD dst_unused:UNUSED_PAD src0_sel:DWORD src1_sel:BYTE_3
	v_cndmask_b32_e32 v119, v41, v119, vcc_lo
	v_and_b32_e32 v40, 3, v40
	v_lshl_add_u32 v119, v119, 23, 0x37800000
	v_cndmask_b32_e32 v118, v118, v40, vcc_lo
	v_and_b32_e32 v40, 0x80000000, v15
	v_lshlrev_b32_e32 v118, 21, v118
	v_or3_b32 v118, v40, v119, v118
.LBB2_389:                              ;   in Loop: Header=BB2_130 Depth=2
	s_or_b32 exec_lo, exec_lo, s40
	v_cmp_gt_i16_sdwa s40, v11, v96 src0_sel:BYTE_3 src1_sel:DWORD
	s_mov_b32 s14, 0
	s_and_saveexec_b32 s41, s40
	s_xor_b32 s40, exec_lo, s41
	s_cbranch_execz .LBB2_762
; %bb.390:                              ;   in Loop: Header=BB2_130 Depth=2
	v_cmp_eq_u16_sdwa s42, v11, v97 src0_sel:BYTE_3 src1_sel:DWORD
	s_mov_b32 s14, -1
	s_and_saveexec_b32 s41, s42
; %bb.391:                              ;   in Loop: Header=BB2_130 Depth=2
	s_xor_b32 s14, exec_lo, -1
; %bb.392:                              ;   in Loop: Header=BB2_130 Depth=2
	s_or_b32 exec_lo, exec_lo, s41
	s_and_b32 s14, s14, exec_lo
	s_or_saveexec_b32 s40, s40
	v_mov_b32_e32 v119, 0x7f800001
	s_xor_b32 exec_lo, exec_lo, s40
	s_cbranch_execnz .LBB2_763
.LBB2_393:                              ;   in Loop: Header=BB2_130 Depth=2
	s_or_b32 exec_lo, exec_lo, s40
	s_and_saveexec_b32 s40, s14
.LBB2_394:                              ;   in Loop: Header=BB2_130 Depth=2
	v_mov_b32_e32 v119, v10
.LBB2_395:                              ;   in Loop: Header=BB2_130 Depth=2
	s_or_b32 exec_lo, exec_lo, s40
	v_max_f32_e32 v119, v119, v119
	v_max_f32_e32 v118, v118, v118
	s_mov_b32 s14, 0
	v_max_f32_e32 v118, v118, v119
.LBB2_396:                              ;   in Loop: Header=BB2_130 Depth=2
	s_and_b32 vcc_lo, exec_lo, s14
	s_cbranch_vccz .LBB2_410
; %bb.397:                              ;   in Loop: Header=BB2_130 Depth=2
	v_cmp_gt_i16_sdwa s40, v15, v96 src0_sel:BYTE_3 src1_sel:DWORD
	s_mov_b32 s14, 0
	s_and_saveexec_b32 s41, s40
	s_xor_b32 s40, exec_lo, s41
	s_cbranch_execz .LBB2_764
; %bb.398:                              ;   in Loop: Header=BB2_130 Depth=2
	v_cmp_eq_u16_sdwa s42, v15, v97 src0_sel:BYTE_3 src1_sel:DWORD
	s_mov_b32 s14, -1
	s_and_saveexec_b32 s41, s42
; %bb.399:                              ;   in Loop: Header=BB2_130 Depth=2
	s_xor_b32 s14, exec_lo, -1
; %bb.400:                              ;   in Loop: Header=BB2_130 Depth=2
	s_or_b32 exec_lo, exec_lo, s41
	s_and_b32 s14, s14, exec_lo
	s_or_saveexec_b32 s40, s40
	v_mov_b32_e32 v118, 0x7f800001
	s_xor_b32 exec_lo, exec_lo, s40
	s_cbranch_execnz .LBB2_765
.LBB2_401:                              ;   in Loop: Header=BB2_130 Depth=2
	s_or_b32 exec_lo, exec_lo, s40
	s_and_saveexec_b32 s40, s14
	s_cbranch_execz .LBB2_403
.LBB2_402:                              ;   in Loop: Header=BB2_130 Depth=2
	v_bfe_u32 v118, v15, 24, 2
	v_bfe_u32 v41, v15, 26, 5
	v_ffbh_u32_e32 v119, v118
	v_cmp_eq_u32_e32 vcc_lo, 0, v41
	v_min_u32_e32 v119, 32, v119
	v_subrev_nc_u32_e32 v40, 29, v119
	v_sub_nc_u32_e32 v119, 30, v119
	v_lshlrev_b32_sdwa v40, v40, v15 dst_sel:DWORD dst_unused:UNUSED_PAD src0_sel:DWORD src1_sel:BYTE_3
	v_cndmask_b32_e32 v119, v41, v119, vcc_lo
	v_and_b32_e32 v15, 0x80000000, v15
	v_and_b32_e32 v40, 3, v40
	v_lshl_add_u32 v119, v119, 23, 0x37800000
	v_cndmask_b32_e32 v118, v118, v40, vcc_lo
	v_lshlrev_b32_e32 v118, 21, v118
	v_or3_b32 v118, v15, v119, v118
.LBB2_403:                              ;   in Loop: Header=BB2_130 Depth=2
	s_or_b32 exec_lo, exec_lo, s40
	v_cmp_gt_i16_sdwa s40, v11, v96 src0_sel:BYTE_3 src1_sel:DWORD
	s_mov_b32 s14, 0
	s_and_saveexec_b32 s41, s40
	s_xor_b32 s40, exec_lo, s41
	s_cbranch_execz .LBB2_766
; %bb.404:                              ;   in Loop: Header=BB2_130 Depth=2
	v_cmp_eq_u16_sdwa s42, v11, v97 src0_sel:BYTE_3 src1_sel:DWORD
	s_mov_b32 s14, -1
	s_and_saveexec_b32 s41, s42
; %bb.405:                              ;   in Loop: Header=BB2_130 Depth=2
	s_xor_b32 s14, exec_lo, -1
; %bb.406:                              ;   in Loop: Header=BB2_130 Depth=2
	s_or_b32 exec_lo, exec_lo, s41
	s_and_b32 s14, s14, exec_lo
	s_or_saveexec_b32 s40, s40
	v_mov_b32_e32 v15, 0x7f800001
	s_xor_b32 exec_lo, exec_lo, s40
	s_cbranch_execnz .LBB2_767
.LBB2_407:                              ;   in Loop: Header=BB2_130 Depth=2
	s_or_b32 exec_lo, exec_lo, s40
	s_and_saveexec_b32 s40, s14
.LBB2_408:                              ;   in Loop: Header=BB2_130 Depth=2
	v_mov_b32_e32 v15, v10
.LBB2_409:                              ;   in Loop: Header=BB2_130 Depth=2
	s_or_b32 exec_lo, exec_lo, s40
	v_max_f32_e32 v10, v15, v15
	v_max_f32_e32 v11, v118, v118
	v_min_f32_e32 v118, v11, v10
.LBB2_410:                              ;   in Loop: Header=BB2_130 Depth=2
	v_and_b32_e32 v10, 0x7f800000, v118
	v_mov_b32_e32 v15, 0x8000
	s_mov_b32 s40, exec_lo
	v_cmpx_ne_u32_e32 0x7f800000, v10
	s_cbranch_execz .LBB2_418
; %bb.411:                              ;   in Loop: Header=BB2_130 Depth=2
	v_mov_b32_e32 v15, 0
	s_mov_b32 s41, exec_lo
	v_cmpx_ne_u32_e32 0, v118
	s_cbranch_execz .LBB2_417
; %bb.412:                              ;   in Loop: Header=BB2_130 Depth=2
	v_bfe_u32 v10, v118, 23, 8
	v_and_b32_e32 v11, 0x7fffff, v118
	v_sub_nc_u32_e32 v15, 0x70, v10
	v_cmp_gt_u32_e32 vcc_lo, 0x71, v10
	v_or_b32_e32 v119, 0x800000, v11
	v_cndmask_b32_e32 v15, 0, v15, vcc_lo
	v_cmp_eq_u32_e32 vcc_lo, 0, v10
	v_add_nc_u32_e32 v10, 0xffffff91, v10
	v_cndmask_b32_e64 v15, v15, 0x6f, vcc_lo
	v_cndmask_b32_e32 v11, v119, v11, vcc_lo
	v_cndmask_b32_e64 v10, v10, 0xffffff92, vcc_lo
	v_lshl_add_u32 v119, 0x200000, v15, -1
	v_lshrrev_b32_e32 v40, v15, v11
	v_lshlrev_b32_e64 v42, v15, 0x100000
	v_add_nc_u32_e32 v15, v15, v10
	v_and_b32_e32 v11, v119, v11
	v_bfe_u32 v41, v40, 21, 1
	v_cmp_eq_u32_e64 s14, v11, v42
	v_add_nc_u32_e32 v119, -1, v41
	v_cndmask_b32_e64 v11, 0, v119, s14
	v_lshrrev_b32_e32 v119, 23, v40
	s_mov_b32 s14, exec_lo
	v_add_nc_u32_e32 v11, v11, v40
	v_xor_b32_e32 v119, 1, v119
	v_and_b32_e32 v10, 0x1fffff, v11
	v_add_nc_u32_e32 v11, v10, v40
                                        ; implicit-def: $vgpr10
	v_cmpx_ne_u32_e64 v15, v119
	s_xor_b32 s14, exec_lo, s14
; %bb.413:                              ;   in Loop: Header=BB2_130 Depth=2
	v_cmp_lt_u32_e32 vcc_lo, 0xffffff, v11
	v_sub_nc_u32_e32 v10, v15, v119
	v_cndmask_b32_e64 v15, 0, 1, vcc_lo
	v_add_co_ci_u32_e64 v10, null, 0, v10, vcc_lo
	v_lshrrev_b32_e32 v11, v15, v11
; %bb.414:                              ;   in Loop: Header=BB2_130 Depth=2
	s_andn2_saveexec_b32 s14, s14
; %bb.415:                              ;   in Loop: Header=BB2_130 Depth=2
	v_bfe_u32 v10, v11, 23, 1
; %bb.416:                              ;   in Loop: Header=BB2_130 Depth=2
	s_or_b32 exec_lo, exec_lo, s14
	v_lshrrev_b32_e32 v11, 21, v11
	v_min_i32_e32 v15, 31, v10
	v_cmp_gt_i32_e32 vcc_lo, 32, v10
	v_and_b32_sdwa v118, v118, v97 dst_sel:DWORD dst_unused:UNUSED_PAD src0_sel:BYTE_3 src1_sel:DWORD
	v_lshlrev_b32_e32 v15, 2, v15
	v_cndmask_b32_e32 v11, 3, v11, vcc_lo
	v_and_b32_e32 v15, 0xfc, v15
	v_and_b32_e32 v119, 3, v11
	v_or_b32_e32 v10, v10, v11
	v_or3_b32 v15, v118, v15, v119
	v_cmp_ne_u32_e32 vcc_lo, 0, v10
	v_lshlrev_b32_e32 v11, 8, v15
	v_cndmask_b32_e32 v15, 0, v11, vcc_lo
.LBB2_417:                              ;   in Loop: Header=BB2_130 Depth=2
	s_or_b32 exec_lo, exec_lo, s41
.LBB2_418:                              ;   in Loop: Header=BB2_130 Depth=2
	s_or_b32 exec_lo, exec_lo, s40
	v_and_b32_e32 v10, 3, v12
	v_bfe_u32 v119, v12, 2, 5
	v_lshlrev_b32_e32 v40, 24, v12
	v_cmp_gt_i16_sdwa s40, v16, v96 src0_sel:BYTE_0 src1_sel:DWORD
	s_mov_b32 s14, -1
	v_ffbh_u32_e32 v11, v10
	v_cmp_eq_u32_e32 vcc_lo, 0, v119
	v_min_u32_e32 v11, 32, v11
	v_subrev_nc_u32_e32 v118, 29, v11
	v_sub_nc_u32_e32 v11, 30, v11
	v_lshlrev_b32_e32 v118, v118, v12
	v_cndmask_b32_e32 v11, v119, v11, vcc_lo
	v_and_b32_e32 v118, 3, v118
	v_lshl_add_u32 v11, v11, 23, 0x37800000
	v_cndmask_b32_e32 v10, v10, v118, vcc_lo
	v_and_b32_e32 v118, 0x80000000, v40
	s_and_b32 vcc_lo, exec_lo, s29
	v_lshlrev_b32_e32 v10, 21, v10
	v_or3_b32 v10, v118, v11, v10
                                        ; implicit-def: $vgpr11
	s_cbranch_vccz .LBB2_432
; %bb.419:                              ;   in Loop: Header=BB2_130 Depth=2
	s_mov_b32 s14, 0
	s_and_saveexec_b32 s41, s40
	s_xor_b32 s40, exec_lo, s41
	s_cbranch_execz .LBB2_768
; %bb.420:                              ;   in Loop: Header=BB2_130 Depth=2
	v_cmp_eq_u16_sdwa s42, v16, v97 src0_sel:BYTE_0 src1_sel:DWORD
	s_mov_b32 s14, -1
	s_and_saveexec_b32 s41, s42
; %bb.421:                              ;   in Loop: Header=BB2_130 Depth=2
	s_xor_b32 s14, exec_lo, -1
; %bb.422:                              ;   in Loop: Header=BB2_130 Depth=2
	s_or_b32 exec_lo, exec_lo, s41
	s_and_b32 s14, s14, exec_lo
	s_or_saveexec_b32 s40, s40
	v_mov_b32_e32 v11, 0x7f800001
	s_xor_b32 exec_lo, exec_lo, s40
	s_cbranch_execnz .LBB2_769
.LBB2_423:                              ;   in Loop: Header=BB2_130 Depth=2
	s_or_b32 exec_lo, exec_lo, s40
	s_and_saveexec_b32 s40, s14
	s_cbranch_execz .LBB2_425
.LBB2_424:                              ;   in Loop: Header=BB2_130 Depth=2
	v_and_b32_e32 v11, 3, v16
	v_bfe_u32 v40, v16, 2, 5
	v_lshlrev_b32_e32 v41, 24, v16
	v_ffbh_u32_e32 v118, v11
	v_cmp_eq_u32_e32 vcc_lo, 0, v40
	v_min_u32_e32 v118, 32, v118
	v_subrev_nc_u32_e32 v119, 29, v118
	v_sub_nc_u32_e32 v118, 30, v118
	v_lshlrev_b32_e32 v119, v119, v16
	v_cndmask_b32_e32 v118, v40, v118, vcc_lo
	v_and_b32_e32 v119, 3, v119
	v_lshl_add_u32 v118, v118, 23, 0x37800000
	v_cndmask_b32_e32 v11, v11, v119, vcc_lo
	v_and_b32_e32 v119, 0x80000000, v41
	v_lshlrev_b32_e32 v11, 21, v11
	v_or3_b32 v11, v119, v118, v11
.LBB2_425:                              ;   in Loop: Header=BB2_130 Depth=2
	s_or_b32 exec_lo, exec_lo, s40
	v_cmp_gt_i16_sdwa s40, v12, v96 src0_sel:BYTE_0 src1_sel:DWORD
	s_mov_b32 s14, 0
	s_and_saveexec_b32 s41, s40
	s_xor_b32 s40, exec_lo, s41
	s_cbranch_execz .LBB2_770
; %bb.426:                              ;   in Loop: Header=BB2_130 Depth=2
	v_cmp_eq_u16_sdwa s42, v12, v97 src0_sel:BYTE_0 src1_sel:DWORD
	s_mov_b32 s14, -1
	s_and_saveexec_b32 s41, s42
; %bb.427:                              ;   in Loop: Header=BB2_130 Depth=2
	s_xor_b32 s14, exec_lo, -1
; %bb.428:                              ;   in Loop: Header=BB2_130 Depth=2
	s_or_b32 exec_lo, exec_lo, s41
	s_and_b32 s14, s14, exec_lo
	s_or_saveexec_b32 s40, s40
	v_mov_b32_e32 v118, 0x7f800001
	s_xor_b32 exec_lo, exec_lo, s40
	s_cbranch_execnz .LBB2_771
.LBB2_429:                              ;   in Loop: Header=BB2_130 Depth=2
	s_or_b32 exec_lo, exec_lo, s40
	s_and_saveexec_b32 s40, s14
.LBB2_430:                              ;   in Loop: Header=BB2_130 Depth=2
	v_mov_b32_e32 v118, v10
.LBB2_431:                              ;   in Loop: Header=BB2_130 Depth=2
	s_or_b32 exec_lo, exec_lo, s40
	v_max_f32_e32 v118, v118, v118
	v_max_f32_e32 v11, v11, v11
	s_mov_b32 s14, 0
	v_max_f32_e32 v11, v11, v118
.LBB2_432:                              ;   in Loop: Header=BB2_130 Depth=2
	s_and_b32 vcc_lo, exec_lo, s14
	s_cbranch_vccz .LBB2_446
; %bb.433:                              ;   in Loop: Header=BB2_130 Depth=2
	v_cmp_gt_i16_sdwa s40, v16, v96 src0_sel:BYTE_0 src1_sel:DWORD
	s_mov_b32 s14, 0
	s_and_saveexec_b32 s41, s40
	s_xor_b32 s40, exec_lo, s41
	s_cbranch_execz .LBB2_772
; %bb.434:                              ;   in Loop: Header=BB2_130 Depth=2
	v_cmp_eq_u16_sdwa s42, v16, v97 src0_sel:BYTE_0 src1_sel:DWORD
	s_mov_b32 s14, -1
	s_and_saveexec_b32 s41, s42
; %bb.435:                              ;   in Loop: Header=BB2_130 Depth=2
	s_xor_b32 s14, exec_lo, -1
; %bb.436:                              ;   in Loop: Header=BB2_130 Depth=2
	s_or_b32 exec_lo, exec_lo, s41
	s_and_b32 s14, s14, exec_lo
	s_or_saveexec_b32 s40, s40
	v_mov_b32_e32 v11, 0x7f800001
	s_xor_b32 exec_lo, exec_lo, s40
	s_cbranch_execnz .LBB2_773
.LBB2_437:                              ;   in Loop: Header=BB2_130 Depth=2
	s_or_b32 exec_lo, exec_lo, s40
	s_and_saveexec_b32 s40, s14
	s_cbranch_execz .LBB2_439
.LBB2_438:                              ;   in Loop: Header=BB2_130 Depth=2
	v_and_b32_e32 v11, 3, v16
	v_bfe_u32 v40, v16, 2, 5
	v_lshlrev_b32_e32 v41, 24, v16
	v_ffbh_u32_e32 v118, v11
	v_cmp_eq_u32_e32 vcc_lo, 0, v40
	v_min_u32_e32 v118, 32, v118
	v_subrev_nc_u32_e32 v119, 29, v118
	v_sub_nc_u32_e32 v118, 30, v118
	v_lshlrev_b32_e32 v119, v119, v16
	v_cndmask_b32_e32 v118, v40, v118, vcc_lo
	v_and_b32_e32 v119, 3, v119
	v_lshl_add_u32 v118, v118, 23, 0x37800000
	v_cndmask_b32_e32 v11, v11, v119, vcc_lo
	v_and_b32_e32 v119, 0x80000000, v41
	v_lshlrev_b32_e32 v11, 21, v11
	v_or3_b32 v11, v119, v118, v11
.LBB2_439:                              ;   in Loop: Header=BB2_130 Depth=2
	s_or_b32 exec_lo, exec_lo, s40
	v_cmp_gt_i16_sdwa s40, v12, v96 src0_sel:BYTE_0 src1_sel:DWORD
	s_mov_b32 s14, 0
	s_and_saveexec_b32 s41, s40
	s_xor_b32 s40, exec_lo, s41
	s_cbranch_execz .LBB2_774
; %bb.440:                              ;   in Loop: Header=BB2_130 Depth=2
	v_cmp_eq_u16_sdwa s42, v12, v97 src0_sel:BYTE_0 src1_sel:DWORD
	s_mov_b32 s14, -1
	s_and_saveexec_b32 s41, s42
; %bb.441:                              ;   in Loop: Header=BB2_130 Depth=2
	s_xor_b32 s14, exec_lo, -1
; %bb.442:                              ;   in Loop: Header=BB2_130 Depth=2
	s_or_b32 exec_lo, exec_lo, s41
	s_and_b32 s14, s14, exec_lo
	s_or_saveexec_b32 s40, s40
	v_mov_b32_e32 v118, 0x7f800001
	s_xor_b32 exec_lo, exec_lo, s40
	s_cbranch_execnz .LBB2_775
.LBB2_443:                              ;   in Loop: Header=BB2_130 Depth=2
	s_or_b32 exec_lo, exec_lo, s40
	s_and_saveexec_b32 s40, s14
.LBB2_444:                              ;   in Loop: Header=BB2_130 Depth=2
	v_mov_b32_e32 v118, v10
.LBB2_445:                              ;   in Loop: Header=BB2_130 Depth=2
	s_or_b32 exec_lo, exec_lo, s40
	v_max_f32_e32 v10, v118, v118
	v_max_f32_e32 v11, v11, v11
	v_min_f32_e32 v11, v11, v10
.LBB2_446:                              ;   in Loop: Header=BB2_130 Depth=2
	v_and_b32_e32 v10, 0x7f800000, v11
	v_mov_b32_e32 v118, 0x80
	s_mov_b32 s40, exec_lo
	v_cmpx_ne_u32_e32 0x7f800000, v10
	s_cbranch_execz .LBB2_454
; %bb.447:                              ;   in Loop: Header=BB2_130 Depth=2
	v_mov_b32_e32 v118, 0
	s_mov_b32 s41, exec_lo
	v_cmpx_ne_u32_e32 0, v11
	s_cbranch_execz .LBB2_453
; %bb.448:                              ;   in Loop: Header=BB2_130 Depth=2
	v_bfe_u32 v10, v11, 23, 8
	v_and_b32_e32 v118, 0x7fffff, v11
	v_sub_nc_u32_e32 v119, 0x70, v10
	v_cmp_gt_u32_e32 vcc_lo, 0x71, v10
	v_or_b32_e32 v40, 0x800000, v118
	v_cndmask_b32_e32 v119, 0, v119, vcc_lo
	v_cmp_eq_u32_e32 vcc_lo, 0, v10
	v_add_nc_u32_e32 v10, 0xffffff91, v10
	v_cndmask_b32_e64 v119, v119, 0x6f, vcc_lo
	v_cndmask_b32_e32 v118, v40, v118, vcc_lo
	v_cndmask_b32_e64 v10, v10, 0xffffff92, vcc_lo
	v_lshl_add_u32 v40, 0x200000, v119, -1
	v_lshrrev_b32_e32 v41, v119, v118
	v_lshlrev_b32_e64 v43, v119, 0x100000
	v_add_nc_u32_e32 v119, v119, v10
	v_and_b32_e32 v118, v40, v118
	v_bfe_u32 v42, v41, 21, 1
	v_cmp_eq_u32_e64 s14, v118, v43
	v_add_nc_u32_e32 v40, -1, v42
	v_cndmask_b32_e64 v118, 0, v40, s14
	v_lshrrev_b32_e32 v40, 23, v41
	s_mov_b32 s14, exec_lo
	v_add_nc_u32_e32 v118, v118, v41
	v_xor_b32_e32 v40, 1, v40
	v_and_b32_e32 v10, 0x1fffff, v118
	v_add_nc_u32_e32 v118, v10, v41
                                        ; implicit-def: $vgpr10
	v_cmpx_ne_u32_e64 v119, v40
	s_xor_b32 s14, exec_lo, s14
; %bb.449:                              ;   in Loop: Header=BB2_130 Depth=2
	v_cmp_lt_u32_e32 vcc_lo, 0xffffff, v118
	v_sub_nc_u32_e32 v10, v119, v40
	v_cndmask_b32_e64 v119, 0, 1, vcc_lo
	v_add_co_ci_u32_e64 v10, null, 0, v10, vcc_lo
	v_lshrrev_b32_e32 v118, v119, v118
; %bb.450:                              ;   in Loop: Header=BB2_130 Depth=2
	s_andn2_saveexec_b32 s14, s14
; %bb.451:                              ;   in Loop: Header=BB2_130 Depth=2
	v_bfe_u32 v10, v118, 23, 1
; %bb.452:                              ;   in Loop: Header=BB2_130 Depth=2
	s_or_b32 exec_lo, exec_lo, s14
	v_lshrrev_b32_e32 v118, 21, v118
	v_min_i32_e32 v119, 31, v10
	v_cmp_gt_i32_e32 vcc_lo, 32, v10
	v_and_b32_sdwa v11, v11, v97 dst_sel:DWORD dst_unused:UNUSED_PAD src0_sel:BYTE_3 src1_sel:DWORD
	v_lshlrev_b32_e32 v119, 2, v119
	v_cndmask_b32_e32 v118, 3, v118, vcc_lo
	v_and_b32_e32 v119, 0xfc, v119
	v_and_b32_e32 v40, 3, v118
	v_or_b32_e32 v10, v10, v118
	v_or3_b32 v11, v119, v11, v40
	v_cmp_ne_u32_e32 vcc_lo, 0, v10
	v_cndmask_b32_e32 v118, 0, v11, vcc_lo
.LBB2_453:                              ;   in Loop: Header=BB2_130 Depth=2
	s_or_b32 exec_lo, exec_lo, s41
.LBB2_454:                              ;   in Loop: Header=BB2_130 Depth=2
	s_or_b32 exec_lo, exec_lo, s40
	v_and_b32_sdwa v10, v98, v12 dst_sel:DWORD dst_unused:UNUSED_PAD src0_sel:DWORD src1_sel:BYTE_1
	v_cmp_gt_i16_sdwa s40, v16, v96 src0_sel:BYTE_1 src1_sel:DWORD
	s_mov_b32 s14, -1
	v_and_b32_e32 v11, 3, v10
	v_bfe_u32 v41, v10, 2, 5
	v_ffbh_u32_e32 v119, v11
	v_cmp_eq_u32_e32 vcc_lo, 0, v41
	v_min_u32_e32 v119, 32, v119
	v_subrev_nc_u32_e32 v40, 29, v119
	v_sub_nc_u32_e32 v119, 30, v119
	v_lshlrev_b32_e32 v10, v40, v10
	v_lshlrev_b32_sdwa v40, v99, v12 dst_sel:DWORD dst_unused:UNUSED_PAD src0_sel:DWORD src1_sel:BYTE_1
	v_cndmask_b32_e32 v119, v41, v119, vcc_lo
	v_and_b32_e32 v10, 3, v10
	v_lshl_add_u32 v119, v119, 23, 0x37800000
	v_cndmask_b32_e32 v10, v11, v10, vcc_lo
	v_and_b32_e32 v11, 0x80000000, v40
	s_and_b32 vcc_lo, exec_lo, s29
	v_lshlrev_b32_e32 v10, 21, v10
	v_or3_b32 v10, v11, v119, v10
                                        ; implicit-def: $vgpr11
	s_cbranch_vccz .LBB2_468
; %bb.455:                              ;   in Loop: Header=BB2_130 Depth=2
	s_mov_b32 s14, 0
	s_and_saveexec_b32 s41, s40
	s_xor_b32 s40, exec_lo, s41
	s_cbranch_execz .LBB2_776
; %bb.456:                              ;   in Loop: Header=BB2_130 Depth=2
	v_cmp_eq_u16_sdwa s42, v16, v97 src0_sel:BYTE_1 src1_sel:DWORD
	s_mov_b32 s14, -1
	s_and_saveexec_b32 s41, s42
; %bb.457:                              ;   in Loop: Header=BB2_130 Depth=2
	s_xor_b32 s14, exec_lo, -1
; %bb.458:                              ;   in Loop: Header=BB2_130 Depth=2
	s_or_b32 exec_lo, exec_lo, s41
	s_and_b32 s14, s14, exec_lo
	s_or_saveexec_b32 s40, s40
	v_mov_b32_e32 v11, 0x7f800001
	s_xor_b32 exec_lo, exec_lo, s40
	s_cbranch_execnz .LBB2_777
.LBB2_459:                              ;   in Loop: Header=BB2_130 Depth=2
	s_or_b32 exec_lo, exec_lo, s40
	s_and_saveexec_b32 s40, s14
	s_cbranch_execz .LBB2_461
.LBB2_460:                              ;   in Loop: Header=BB2_130 Depth=2
	v_and_b32_sdwa v11, v98, v16 dst_sel:DWORD dst_unused:UNUSED_PAD src0_sel:DWORD src1_sel:BYTE_1
	v_and_b32_e32 v119, 3, v11
	v_bfe_u32 v42, v11, 2, 5
	v_ffbh_u32_e32 v40, v119
	v_cmp_eq_u32_e32 vcc_lo, 0, v42
	v_min_u32_e32 v40, 32, v40
	v_subrev_nc_u32_e32 v41, 29, v40
	v_sub_nc_u32_e32 v40, 30, v40
	v_lshlrev_b32_e32 v11, v41, v11
	v_lshlrev_b32_e32 v41, 16, v16
	v_cndmask_b32_e32 v40, v42, v40, vcc_lo
	v_and_b32_e32 v11, 3, v11
	v_lshl_add_u32 v40, v40, 23, 0x37800000
	v_cndmask_b32_e32 v11, v119, v11, vcc_lo
	v_and_b32_e32 v119, 0x80000000, v41
	v_lshlrev_b32_e32 v11, 21, v11
	v_or3_b32 v11, v119, v40, v11
.LBB2_461:                              ;   in Loop: Header=BB2_130 Depth=2
	s_or_b32 exec_lo, exec_lo, s40
	v_cmp_gt_i16_sdwa s40, v12, v96 src0_sel:BYTE_1 src1_sel:DWORD
	s_mov_b32 s14, 0
	s_and_saveexec_b32 s41, s40
	s_xor_b32 s40, exec_lo, s41
	s_cbranch_execz .LBB2_778
; %bb.462:                              ;   in Loop: Header=BB2_130 Depth=2
	v_cmp_eq_u16_sdwa s42, v12, v97 src0_sel:BYTE_1 src1_sel:DWORD
	s_mov_b32 s14, -1
	s_and_saveexec_b32 s41, s42
; %bb.463:                              ;   in Loop: Header=BB2_130 Depth=2
	s_xor_b32 s14, exec_lo, -1
; %bb.464:                              ;   in Loop: Header=BB2_130 Depth=2
	s_or_b32 exec_lo, exec_lo, s41
	s_and_b32 s14, s14, exec_lo
	s_or_saveexec_b32 s40, s40
	v_mov_b32_e32 v119, 0x7f800001
	s_xor_b32 exec_lo, exec_lo, s40
	s_cbranch_execnz .LBB2_779
.LBB2_465:                              ;   in Loop: Header=BB2_130 Depth=2
	s_or_b32 exec_lo, exec_lo, s40
	s_and_saveexec_b32 s40, s14
.LBB2_466:                              ;   in Loop: Header=BB2_130 Depth=2
	v_mov_b32_e32 v119, v10
.LBB2_467:                              ;   in Loop: Header=BB2_130 Depth=2
	s_or_b32 exec_lo, exec_lo, s40
	v_max_f32_e32 v119, v119, v119
	v_max_f32_e32 v11, v11, v11
	s_mov_b32 s14, 0
	v_max_f32_e32 v11, v11, v119
.LBB2_468:                              ;   in Loop: Header=BB2_130 Depth=2
	s_and_b32 vcc_lo, exec_lo, s14
	s_cbranch_vccz .LBB2_482
; %bb.469:                              ;   in Loop: Header=BB2_130 Depth=2
	v_cmp_gt_i16_sdwa s40, v16, v96 src0_sel:BYTE_1 src1_sel:DWORD
	s_mov_b32 s14, 0
	s_and_saveexec_b32 s41, s40
	s_xor_b32 s40, exec_lo, s41
	s_cbranch_execz .LBB2_780
; %bb.470:                              ;   in Loop: Header=BB2_130 Depth=2
	v_cmp_eq_u16_sdwa s42, v16, v97 src0_sel:BYTE_1 src1_sel:DWORD
	s_mov_b32 s14, -1
	s_and_saveexec_b32 s41, s42
; %bb.471:                              ;   in Loop: Header=BB2_130 Depth=2
	s_xor_b32 s14, exec_lo, -1
; %bb.472:                              ;   in Loop: Header=BB2_130 Depth=2
	s_or_b32 exec_lo, exec_lo, s41
	s_and_b32 s14, s14, exec_lo
	s_or_saveexec_b32 s40, s40
	v_mov_b32_e32 v11, 0x7f800001
	s_xor_b32 exec_lo, exec_lo, s40
	s_cbranch_execnz .LBB2_781
.LBB2_473:                              ;   in Loop: Header=BB2_130 Depth=2
	s_or_b32 exec_lo, exec_lo, s40
	s_and_saveexec_b32 s40, s14
	s_cbranch_execz .LBB2_475
.LBB2_474:                              ;   in Loop: Header=BB2_130 Depth=2
	v_and_b32_sdwa v11, v98, v16 dst_sel:DWORD dst_unused:UNUSED_PAD src0_sel:DWORD src1_sel:BYTE_1
	v_and_b32_e32 v119, 3, v11
	v_bfe_u32 v42, v11, 2, 5
	v_ffbh_u32_e32 v40, v119
	v_cmp_eq_u32_e32 vcc_lo, 0, v42
	v_min_u32_e32 v40, 32, v40
	v_subrev_nc_u32_e32 v41, 29, v40
	v_sub_nc_u32_e32 v40, 30, v40
	v_lshlrev_b32_e32 v11, v41, v11
	v_lshlrev_b32_e32 v41, 16, v16
	v_cndmask_b32_e32 v40, v42, v40, vcc_lo
	v_and_b32_e32 v11, 3, v11
	v_lshl_add_u32 v40, v40, 23, 0x37800000
	v_cndmask_b32_e32 v11, v119, v11, vcc_lo
	v_and_b32_e32 v119, 0x80000000, v41
	v_lshlrev_b32_e32 v11, 21, v11
	v_or3_b32 v11, v119, v40, v11
.LBB2_475:                              ;   in Loop: Header=BB2_130 Depth=2
	s_or_b32 exec_lo, exec_lo, s40
	v_cmp_gt_i16_sdwa s40, v12, v96 src0_sel:BYTE_1 src1_sel:DWORD
	s_mov_b32 s14, 0
	s_and_saveexec_b32 s41, s40
	s_xor_b32 s40, exec_lo, s41
	s_cbranch_execz .LBB2_782
; %bb.476:                              ;   in Loop: Header=BB2_130 Depth=2
	v_cmp_eq_u16_sdwa s42, v12, v97 src0_sel:BYTE_1 src1_sel:DWORD
	s_mov_b32 s14, -1
	s_and_saveexec_b32 s41, s42
; %bb.477:                              ;   in Loop: Header=BB2_130 Depth=2
	s_xor_b32 s14, exec_lo, -1
; %bb.478:                              ;   in Loop: Header=BB2_130 Depth=2
	s_or_b32 exec_lo, exec_lo, s41
	s_and_b32 s14, s14, exec_lo
	s_or_saveexec_b32 s40, s40
	v_mov_b32_e32 v119, 0x7f800001
	s_xor_b32 exec_lo, exec_lo, s40
	s_cbranch_execnz .LBB2_783
.LBB2_479:                              ;   in Loop: Header=BB2_130 Depth=2
	s_or_b32 exec_lo, exec_lo, s40
	s_and_saveexec_b32 s40, s14
.LBB2_480:                              ;   in Loop: Header=BB2_130 Depth=2
	v_mov_b32_e32 v119, v10
.LBB2_481:                              ;   in Loop: Header=BB2_130 Depth=2
	s_or_b32 exec_lo, exec_lo, s40
	v_max_f32_e32 v10, v119, v119
	v_max_f32_e32 v11, v11, v11
	v_min_f32_e32 v11, v11, v10
.LBB2_482:                              ;   in Loop: Header=BB2_130 Depth=2
	v_and_b32_e32 v10, 0x7f800000, v11
	v_mov_b32_e32 v119, 0x8000
	s_mov_b32 s40, exec_lo
	v_cmpx_ne_u32_e32 0x7f800000, v10
	s_cbranch_execz .LBB2_490
; %bb.483:                              ;   in Loop: Header=BB2_130 Depth=2
	v_mov_b32_e32 v119, 0
	s_mov_b32 s41, exec_lo
	v_cmpx_ne_u32_e32 0, v11
	s_cbranch_execz .LBB2_489
; %bb.484:                              ;   in Loop: Header=BB2_130 Depth=2
	v_bfe_u32 v10, v11, 23, 8
	v_and_b32_e32 v119, 0x7fffff, v11
	v_sub_nc_u32_e32 v40, 0x70, v10
	v_cmp_gt_u32_e32 vcc_lo, 0x71, v10
	v_or_b32_e32 v41, 0x800000, v119
	v_cndmask_b32_e32 v40, 0, v40, vcc_lo
	v_cmp_eq_u32_e32 vcc_lo, 0, v10
	v_add_nc_u32_e32 v10, 0xffffff91, v10
	v_cndmask_b32_e64 v40, v40, 0x6f, vcc_lo
	v_cndmask_b32_e32 v119, v41, v119, vcc_lo
	v_cndmask_b32_e64 v10, v10, 0xffffff92, vcc_lo
	v_lshl_add_u32 v41, 0x200000, v40, -1
	v_lshrrev_b32_e32 v42, v40, v119
	v_lshlrev_b32_e64 v44, v40, 0x100000
	v_add_nc_u32_e32 v40, v40, v10
	v_and_b32_e32 v119, v41, v119
	v_bfe_u32 v43, v42, 21, 1
	v_cmp_eq_u32_e64 s14, v119, v44
	v_add_nc_u32_e32 v41, -1, v43
	v_cndmask_b32_e64 v119, 0, v41, s14
	v_lshrrev_b32_e32 v41, 23, v42
	s_mov_b32 s14, exec_lo
	v_add_nc_u32_e32 v119, v119, v42
	v_xor_b32_e32 v41, 1, v41
	v_and_b32_e32 v10, 0x1fffff, v119
	v_add_nc_u32_e32 v119, v10, v42
                                        ; implicit-def: $vgpr10
	v_cmpx_ne_u32_e64 v40, v41
	s_xor_b32 s14, exec_lo, s14
; %bb.485:                              ;   in Loop: Header=BB2_130 Depth=2
	v_cmp_lt_u32_e32 vcc_lo, 0xffffff, v119
	v_sub_nc_u32_e32 v10, v40, v41
	v_cndmask_b32_e64 v40, 0, 1, vcc_lo
	v_add_co_ci_u32_e64 v10, null, 0, v10, vcc_lo
	v_lshrrev_b32_e32 v119, v40, v119
; %bb.486:                              ;   in Loop: Header=BB2_130 Depth=2
	s_andn2_saveexec_b32 s14, s14
; %bb.487:                              ;   in Loop: Header=BB2_130 Depth=2
	v_bfe_u32 v10, v119, 23, 1
; %bb.488:                              ;   in Loop: Header=BB2_130 Depth=2
	s_or_b32 exec_lo, exec_lo, s14
	v_lshrrev_b32_e32 v119, 21, v119
	v_min_i32_e32 v40, 31, v10
	v_cmp_gt_i32_e32 vcc_lo, 32, v10
	v_and_b32_sdwa v11, v11, v97 dst_sel:DWORD dst_unused:UNUSED_PAD src0_sel:BYTE_3 src1_sel:DWORD
	v_lshlrev_b32_e32 v40, 2, v40
	v_cndmask_b32_e32 v119, 3, v119, vcc_lo
	v_and_b32_e32 v40, 0xfc, v40
	v_and_b32_e32 v41, 3, v119
	v_or_b32_e32 v10, v10, v119
	v_or3_b32 v11, v11, v40, v41
	v_cmp_ne_u32_e32 vcc_lo, 0, v10
	v_lshlrev_b32_e32 v11, 8, v11
	v_cndmask_b32_e32 v119, 0, v11, vcc_lo
.LBB2_489:                              ;   in Loop: Header=BB2_130 Depth=2
	s_or_b32 exec_lo, exec_lo, s41
.LBB2_490:                              ;   in Loop: Header=BB2_130 Depth=2
	s_or_b32 exec_lo, exec_lo, s40
	v_bfe_u32 v10, v12, 16, 2
	v_bfe_u32 v41, v12, 18, 5
	v_lshlrev_b32_e32 v42, 8, v12
	s_mov_b32 s40, -1
	v_ffbh_u32_e32 v11, v10
	v_cmp_eq_u32_e32 vcc_lo, 0, v41
	v_min_u32_e32 v11, 32, v11
	v_subrev_nc_u32_e32 v40, 29, v11
	v_sub_nc_u32_e32 v11, 30, v11
	v_lshlrev_b32_sdwa v40, v40, v12 dst_sel:DWORD dst_unused:UNUSED_PAD src0_sel:DWORD src1_sel:WORD_1
	v_cndmask_b32_e32 v11, v41, v11, vcc_lo
	v_and_b32_e32 v40, 3, v40
	v_lshl_add_u32 v41, v11, 23, 0x37800000
	v_and_b32_sdwa v11, v16, v100 dst_sel:DWORD dst_unused:UNUSED_PAD src0_sel:WORD_1 src1_sel:DWORD
	v_cndmask_b32_e32 v10, v10, v40, vcc_lo
	v_and_b32_e32 v40, 0x80000000, v42
	v_cmp_lt_i16_e64 s14, 0x7f, v11
	s_and_b32 vcc_lo, exec_lo, s29
	v_lshlrev_b32_e32 v10, 21, v10
	v_or3_b32 v10, v40, v41, v10
                                        ; implicit-def: $vgpr41
	s_cbranch_vccz .LBB2_504
; %bb.491:                              ;   in Loop: Header=BB2_130 Depth=2
	s_mov_b32 s40, 0
	s_and_saveexec_b32 s41, s14
	s_xor_b32 s14, exec_lo, s41
	s_cbranch_execz .LBB2_784
; %bb.492:                              ;   in Loop: Header=BB2_130 Depth=2
	s_mov_b32 s40, -1
	s_mov_b32 s41, exec_lo
	v_cmpx_eq_u16_e32 0x80, v11
; %bb.493:                              ;   in Loop: Header=BB2_130 Depth=2
	s_xor_b32 s40, exec_lo, -1
; %bb.494:                              ;   in Loop: Header=BB2_130 Depth=2
	s_or_b32 exec_lo, exec_lo, s41
	s_and_b32 s40, s40, exec_lo
	s_or_saveexec_b32 s14, s14
	v_mov_b32_e32 v40, 0x7f800001
	s_xor_b32 exec_lo, exec_lo, s14
	s_cbranch_execnz .LBB2_785
.LBB2_495:                              ;   in Loop: Header=BB2_130 Depth=2
	s_or_b32 exec_lo, exec_lo, s14
	s_and_saveexec_b32 s14, s40
	s_cbranch_execz .LBB2_497
.LBB2_496:                              ;   in Loop: Header=BB2_130 Depth=2
	v_bfe_u32 v40, v16, 16, 2
	v_bfe_u32 v43, v16, 18, 5
	v_lshlrev_b32_sdwa v44, v99, v16 dst_sel:DWORD dst_unused:UNUSED_PAD src0_sel:DWORD src1_sel:WORD_1
	v_ffbh_u32_e32 v41, v40
	v_cmp_eq_u32_e32 vcc_lo, 0, v43
	v_min_u32_e32 v41, 32, v41
	v_subrev_nc_u32_e32 v42, 29, v41
	v_sub_nc_u32_e32 v41, 30, v41
	v_lshlrev_b32_sdwa v42, v42, v16 dst_sel:DWORD dst_unused:UNUSED_PAD src0_sel:DWORD src1_sel:WORD_1
	v_cndmask_b32_e32 v41, v43, v41, vcc_lo
	v_and_b32_e32 v42, 3, v42
	v_lshl_add_u32 v41, v41, 23, 0x37800000
	v_cndmask_b32_e32 v40, v40, v42, vcc_lo
	v_and_b32_e32 v42, 0x80000000, v44
	v_lshlrev_b32_e32 v40, 21, v40
	v_or3_b32 v40, v42, v41, v40
.LBB2_497:                              ;   in Loop: Header=BB2_130 Depth=2
	s_or_b32 exec_lo, exec_lo, s14
	v_and_b32_sdwa v42, v12, v100 dst_sel:DWORD dst_unused:UNUSED_PAD src0_sel:WORD_1 src1_sel:DWORD
	s_mov_b32 s14, 0
	s_mov_b32 s40, exec_lo
	v_cmpx_lt_i16_e32 0x7f, v42
	s_xor_b32 s40, exec_lo, s40
	s_cbranch_execz .LBB2_786
; %bb.498:                              ;   in Loop: Header=BB2_130 Depth=2
	s_mov_b32 s14, -1
	s_mov_b32 s41, exec_lo
	v_cmpx_eq_u16_e32 0x80, v42
; %bb.499:                              ;   in Loop: Header=BB2_130 Depth=2
	s_xor_b32 s14, exec_lo, -1
; %bb.500:                              ;   in Loop: Header=BB2_130 Depth=2
	s_or_b32 exec_lo, exec_lo, s41
	s_and_b32 s14, s14, exec_lo
                                        ; implicit-def: $vgpr42
	s_or_saveexec_b32 s40, s40
	v_mov_b32_e32 v41, 0x7f800001
	s_xor_b32 exec_lo, exec_lo, s40
	s_cbranch_execnz .LBB2_787
.LBB2_501:                              ;   in Loop: Header=BB2_130 Depth=2
	s_or_b32 exec_lo, exec_lo, s40
	s_and_saveexec_b32 s40, s14
.LBB2_502:                              ;   in Loop: Header=BB2_130 Depth=2
	v_mov_b32_e32 v41, v10
.LBB2_503:                              ;   in Loop: Header=BB2_130 Depth=2
	s_or_b32 exec_lo, exec_lo, s40
	v_max_f32_e32 v41, v41, v41
	v_max_f32_e32 v40, v40, v40
	s_mov_b32 s40, 0
	v_max_f32_e32 v41, v40, v41
.LBB2_504:                              ;   in Loop: Header=BB2_130 Depth=2
	s_and_b32 vcc_lo, exec_lo, s40
	s_cbranch_vccz .LBB2_518
; %bb.505:                              ;   in Loop: Header=BB2_130 Depth=2
	s_mov_b32 s14, 0
	s_mov_b32 s40, exec_lo
	v_cmpx_lt_i16_e32 0x7f, v11
	s_xor_b32 s40, exec_lo, s40
	s_cbranch_execz .LBB2_788
; %bb.506:                              ;   in Loop: Header=BB2_130 Depth=2
	s_mov_b32 s14, -1
	s_mov_b32 s41, exec_lo
	v_cmpx_eq_u16_e32 0x80, v11
; %bb.507:                              ;   in Loop: Header=BB2_130 Depth=2
	s_xor_b32 s14, exec_lo, -1
; %bb.508:                              ;   in Loop: Header=BB2_130 Depth=2
	s_or_b32 exec_lo, exec_lo, s41
	s_and_b32 s14, s14, exec_lo
                                        ; implicit-def: $vgpr11
	s_or_saveexec_b32 s40, s40
	v_mov_b32_e32 v40, 0x7f800001
	s_xor_b32 exec_lo, exec_lo, s40
	s_cbranch_execnz .LBB2_789
.LBB2_509:                              ;   in Loop: Header=BB2_130 Depth=2
	s_or_b32 exec_lo, exec_lo, s40
	s_and_saveexec_b32 s40, s14
	s_cbranch_execz .LBB2_511
.LBB2_510:                              ;   in Loop: Header=BB2_130 Depth=2
	v_bfe_u32 v11, v16, 16, 2
	v_bfe_u32 v42, v16, 18, 5
	v_lshlrev_b32_sdwa v43, v99, v16 dst_sel:DWORD dst_unused:UNUSED_PAD src0_sel:DWORD src1_sel:WORD_1
	v_ffbh_u32_e32 v40, v11
	v_cmp_eq_u32_e32 vcc_lo, 0, v42
	v_min_u32_e32 v40, 32, v40
	v_subrev_nc_u32_e32 v41, 29, v40
	v_sub_nc_u32_e32 v40, 30, v40
	v_lshlrev_b32_sdwa v41, v41, v16 dst_sel:DWORD dst_unused:UNUSED_PAD src0_sel:DWORD src1_sel:WORD_1
	v_cndmask_b32_e32 v40, v42, v40, vcc_lo
	v_and_b32_e32 v41, 3, v41
	v_lshl_add_u32 v40, v40, 23, 0x37800000
	v_cndmask_b32_e32 v11, v11, v41, vcc_lo
	v_and_b32_e32 v41, 0x80000000, v43
	v_lshlrev_b32_e32 v11, 21, v11
	v_or3_b32 v40, v41, v40, v11
.LBB2_511:                              ;   in Loop: Header=BB2_130 Depth=2
	s_or_b32 exec_lo, exec_lo, s40
	v_and_b32_sdwa v41, v12, v100 dst_sel:DWORD dst_unused:UNUSED_PAD src0_sel:WORD_1 src1_sel:DWORD
	s_mov_b32 s14, 0
	s_mov_b32 s40, exec_lo
	v_cmpx_lt_i16_e32 0x7f, v41
	s_xor_b32 s40, exec_lo, s40
	s_cbranch_execz .LBB2_790
; %bb.512:                              ;   in Loop: Header=BB2_130 Depth=2
	s_mov_b32 s14, -1
	s_mov_b32 s41, exec_lo
	v_cmpx_eq_u16_e32 0x80, v41
; %bb.513:                              ;   in Loop: Header=BB2_130 Depth=2
	s_xor_b32 s14, exec_lo, -1
; %bb.514:                              ;   in Loop: Header=BB2_130 Depth=2
	s_or_b32 exec_lo, exec_lo, s41
	s_and_b32 s14, s14, exec_lo
                                        ; implicit-def: $vgpr41
	s_or_saveexec_b32 s40, s40
	v_mov_b32_e32 v11, 0x7f800001
	s_xor_b32 exec_lo, exec_lo, s40
	s_cbranch_execnz .LBB2_791
.LBB2_515:                              ;   in Loop: Header=BB2_130 Depth=2
	s_or_b32 exec_lo, exec_lo, s40
	s_and_saveexec_b32 s40, s14
.LBB2_516:                              ;   in Loop: Header=BB2_130 Depth=2
	v_mov_b32_e32 v11, v10
.LBB2_517:                              ;   in Loop: Header=BB2_130 Depth=2
	s_or_b32 exec_lo, exec_lo, s40
	v_max_f32_e32 v10, v11, v11
	v_max_f32_e32 v11, v40, v40
	v_min_f32_e32 v41, v11, v10
.LBB2_518:                              ;   in Loop: Header=BB2_130 Depth=2
	v_and_b32_e32 v10, 0x7f800000, v41
	v_mov_b32_e32 v40, 0x80
	s_mov_b32 s40, exec_lo
	v_cmpx_ne_u32_e32 0x7f800000, v10
	s_cbranch_execz .LBB2_526
; %bb.519:                              ;   in Loop: Header=BB2_130 Depth=2
	v_mov_b32_e32 v40, 0
	s_mov_b32 s41, exec_lo
	v_cmpx_ne_u32_e32 0, v41
	s_cbranch_execz .LBB2_525
; %bb.520:                              ;   in Loop: Header=BB2_130 Depth=2
	v_bfe_u32 v10, v41, 23, 8
	v_and_b32_e32 v11, 0x7fffff, v41
	v_sub_nc_u32_e32 v40, 0x70, v10
	v_cmp_gt_u32_e32 vcc_lo, 0x71, v10
	v_or_b32_e32 v42, 0x800000, v11
	v_cndmask_b32_e32 v40, 0, v40, vcc_lo
	v_cmp_eq_u32_e32 vcc_lo, 0, v10
	v_add_nc_u32_e32 v10, 0xffffff91, v10
	v_cndmask_b32_e64 v40, v40, 0x6f, vcc_lo
	v_cndmask_b32_e32 v11, v42, v11, vcc_lo
	v_cndmask_b32_e64 v10, v10, 0xffffff92, vcc_lo
	v_lshl_add_u32 v42, 0x200000, v40, -1
	v_lshrrev_b32_e32 v43, v40, v11
	v_lshlrev_b32_e64 v45, v40, 0x100000
	v_add_nc_u32_e32 v40, v40, v10
	v_and_b32_e32 v11, v42, v11
	v_bfe_u32 v44, v43, 21, 1
	v_cmp_eq_u32_e64 s14, v11, v45
	v_add_nc_u32_e32 v42, -1, v44
	v_cndmask_b32_e64 v11, 0, v42, s14
	v_lshrrev_b32_e32 v42, 23, v43
	s_mov_b32 s14, exec_lo
	v_add_nc_u32_e32 v11, v11, v43
	v_xor_b32_e32 v42, 1, v42
	v_and_b32_e32 v10, 0x1fffff, v11
	v_add_nc_u32_e32 v11, v10, v43
                                        ; implicit-def: $vgpr10
	v_cmpx_ne_u32_e64 v40, v42
	s_xor_b32 s14, exec_lo, s14
; %bb.521:                              ;   in Loop: Header=BB2_130 Depth=2
	v_cmp_lt_u32_e32 vcc_lo, 0xffffff, v11
	v_sub_nc_u32_e32 v10, v40, v42
	v_cndmask_b32_e64 v40, 0, 1, vcc_lo
	v_add_co_ci_u32_e64 v10, null, 0, v10, vcc_lo
	v_lshrrev_b32_e32 v11, v40, v11
; %bb.522:                              ;   in Loop: Header=BB2_130 Depth=2
	s_andn2_saveexec_b32 s14, s14
; %bb.523:                              ;   in Loop: Header=BB2_130 Depth=2
	v_bfe_u32 v10, v11, 23, 1
; %bb.524:                              ;   in Loop: Header=BB2_130 Depth=2
	s_or_b32 exec_lo, exec_lo, s14
	v_lshrrev_b32_e32 v11, 21, v11
	v_min_i32_e32 v40, 31, v10
	v_cmp_gt_i32_e32 vcc_lo, 32, v10
	v_and_b32_sdwa v41, v41, v97 dst_sel:DWORD dst_unused:UNUSED_PAD src0_sel:BYTE_3 src1_sel:DWORD
	v_lshlrev_b32_e32 v40, 2, v40
	v_cndmask_b32_e32 v11, 3, v11, vcc_lo
	v_and_b32_e32 v40, 0xfc, v40
	v_and_b32_e32 v42, 3, v11
	v_or_b32_e32 v10, v10, v11
	v_or3_b32 v11, v40, v41, v42
	v_cmp_ne_u32_e32 vcc_lo, 0, v10
	v_cndmask_b32_e32 v40, 0, v11, vcc_lo
.LBB2_525:                              ;   in Loop: Header=BB2_130 Depth=2
	s_or_b32 exec_lo, exec_lo, s41
.LBB2_526:                              ;   in Loop: Header=BB2_130 Depth=2
	s_or_b32 exec_lo, exec_lo, s40
	v_bfe_u32 v10, v12, 24, 2
	v_bfe_u32 v42, v12, 26, 5
	v_cmp_gt_i16_sdwa s40, v16, v96 src0_sel:BYTE_3 src1_sel:DWORD
	s_mov_b32 s14, -1
	v_ffbh_u32_e32 v11, v10
	v_cmp_eq_u32_e32 vcc_lo, 0, v42
	v_min_u32_e32 v11, 32, v11
	v_subrev_nc_u32_e32 v41, 29, v11
	v_sub_nc_u32_e32 v11, 30, v11
	v_lshlrev_b32_sdwa v41, v41, v12 dst_sel:DWORD dst_unused:UNUSED_PAD src0_sel:DWORD src1_sel:BYTE_3
	v_cndmask_b32_e32 v11, v42, v11, vcc_lo
	v_and_b32_e32 v41, 3, v41
	v_lshl_add_u32 v11, v11, 23, 0x37800000
	v_cndmask_b32_e32 v10, v10, v41, vcc_lo
	v_and_b32_e32 v41, 0x80000000, v12
	s_and_b32 vcc_lo, exec_lo, s29
	v_lshlrev_b32_e32 v10, 21, v10
	v_or3_b32 v10, v41, v11, v10
                                        ; implicit-def: $vgpr11
	s_cbranch_vccz .LBB2_540
; %bb.527:                              ;   in Loop: Header=BB2_130 Depth=2
	s_mov_b32 s14, 0
	s_and_saveexec_b32 s41, s40
	s_xor_b32 s40, exec_lo, s41
	s_cbranch_execz .LBB2_792
; %bb.528:                              ;   in Loop: Header=BB2_130 Depth=2
	v_cmp_eq_u16_sdwa s42, v16, v97 src0_sel:BYTE_3 src1_sel:DWORD
	s_mov_b32 s14, -1
	s_and_saveexec_b32 s41, s42
; %bb.529:                              ;   in Loop: Header=BB2_130 Depth=2
	s_xor_b32 s14, exec_lo, -1
; %bb.530:                              ;   in Loop: Header=BB2_130 Depth=2
	s_or_b32 exec_lo, exec_lo, s41
	s_and_b32 s14, s14, exec_lo
	s_or_saveexec_b32 s40, s40
	v_mov_b32_e32 v11, 0x7f800001
	s_xor_b32 exec_lo, exec_lo, s40
	s_cbranch_execnz .LBB2_793
.LBB2_531:                              ;   in Loop: Header=BB2_130 Depth=2
	s_or_b32 exec_lo, exec_lo, s40
	s_and_saveexec_b32 s40, s14
	s_cbranch_execz .LBB2_533
.LBB2_532:                              ;   in Loop: Header=BB2_130 Depth=2
	v_bfe_u32 v11, v16, 24, 2
	v_bfe_u32 v43, v16, 26, 5
	v_ffbh_u32_e32 v41, v11
	v_cmp_eq_u32_e32 vcc_lo, 0, v43
	v_min_u32_e32 v41, 32, v41
	v_subrev_nc_u32_e32 v42, 29, v41
	v_sub_nc_u32_e32 v41, 30, v41
	v_lshlrev_b32_sdwa v42, v42, v16 dst_sel:DWORD dst_unused:UNUSED_PAD src0_sel:DWORD src1_sel:BYTE_3
	v_cndmask_b32_e32 v41, v43, v41, vcc_lo
	v_and_b32_e32 v42, 3, v42
	v_lshl_add_u32 v41, v41, 23, 0x37800000
	v_cndmask_b32_e32 v11, v11, v42, vcc_lo
	v_and_b32_e32 v42, 0x80000000, v16
	v_lshlrev_b32_e32 v11, 21, v11
	v_or3_b32 v11, v42, v41, v11
.LBB2_533:                              ;   in Loop: Header=BB2_130 Depth=2
	s_or_b32 exec_lo, exec_lo, s40
	v_cmp_gt_i16_sdwa s40, v12, v96 src0_sel:BYTE_3 src1_sel:DWORD
	s_mov_b32 s14, 0
	s_and_saveexec_b32 s41, s40
	s_xor_b32 s40, exec_lo, s41
	s_cbranch_execz .LBB2_794
; %bb.534:                              ;   in Loop: Header=BB2_130 Depth=2
	v_cmp_eq_u16_sdwa s42, v12, v97 src0_sel:BYTE_3 src1_sel:DWORD
	s_mov_b32 s14, -1
	s_and_saveexec_b32 s41, s42
; %bb.535:                              ;   in Loop: Header=BB2_130 Depth=2
	s_xor_b32 s14, exec_lo, -1
; %bb.536:                              ;   in Loop: Header=BB2_130 Depth=2
	s_or_b32 exec_lo, exec_lo, s41
	s_and_b32 s14, s14, exec_lo
	s_or_saveexec_b32 s40, s40
	v_mov_b32_e32 v41, 0x7f800001
	s_xor_b32 exec_lo, exec_lo, s40
	s_cbranch_execnz .LBB2_795
.LBB2_537:                              ;   in Loop: Header=BB2_130 Depth=2
	s_or_b32 exec_lo, exec_lo, s40
	s_and_saveexec_b32 s40, s14
.LBB2_538:                              ;   in Loop: Header=BB2_130 Depth=2
	v_mov_b32_e32 v41, v10
.LBB2_539:                              ;   in Loop: Header=BB2_130 Depth=2
	s_or_b32 exec_lo, exec_lo, s40
	v_max_f32_e32 v41, v41, v41
	v_max_f32_e32 v11, v11, v11
	s_mov_b32 s14, 0
	v_max_f32_e32 v11, v11, v41
.LBB2_540:                              ;   in Loop: Header=BB2_130 Depth=2
	s_and_b32 vcc_lo, exec_lo, s14
	s_cbranch_vccz .LBB2_554
; %bb.541:                              ;   in Loop: Header=BB2_130 Depth=2
	v_cmp_gt_i16_sdwa s40, v16, v96 src0_sel:BYTE_3 src1_sel:DWORD
	s_mov_b32 s14, 0
	s_and_saveexec_b32 s41, s40
	s_xor_b32 s40, exec_lo, s41
	s_cbranch_execz .LBB2_796
; %bb.542:                              ;   in Loop: Header=BB2_130 Depth=2
	v_cmp_eq_u16_sdwa s42, v16, v97 src0_sel:BYTE_3 src1_sel:DWORD
	s_mov_b32 s14, -1
	s_and_saveexec_b32 s41, s42
; %bb.543:                              ;   in Loop: Header=BB2_130 Depth=2
	s_xor_b32 s14, exec_lo, -1
; %bb.544:                              ;   in Loop: Header=BB2_130 Depth=2
	s_or_b32 exec_lo, exec_lo, s41
	s_and_b32 s14, s14, exec_lo
	s_or_saveexec_b32 s40, s40
	v_mov_b32_e32 v11, 0x7f800001
	s_xor_b32 exec_lo, exec_lo, s40
	s_cbranch_execnz .LBB2_797
.LBB2_545:                              ;   in Loop: Header=BB2_130 Depth=2
	s_or_b32 exec_lo, exec_lo, s40
	s_and_saveexec_b32 s40, s14
	s_cbranch_execz .LBB2_547
.LBB2_546:                              ;   in Loop: Header=BB2_130 Depth=2
	v_bfe_u32 v11, v16, 24, 2
	v_bfe_u32 v43, v16, 26, 5
	v_ffbh_u32_e32 v41, v11
	v_cmp_eq_u32_e32 vcc_lo, 0, v43
	v_min_u32_e32 v41, 32, v41
	v_subrev_nc_u32_e32 v42, 29, v41
	v_sub_nc_u32_e32 v41, 30, v41
	v_lshlrev_b32_sdwa v42, v42, v16 dst_sel:DWORD dst_unused:UNUSED_PAD src0_sel:DWORD src1_sel:BYTE_3
	v_cndmask_b32_e32 v41, v43, v41, vcc_lo
	v_and_b32_e32 v16, 0x80000000, v16
	v_and_b32_e32 v42, 3, v42
	v_lshl_add_u32 v41, v41, 23, 0x37800000
	v_cndmask_b32_e32 v11, v11, v42, vcc_lo
	v_lshlrev_b32_e32 v11, 21, v11
	v_or3_b32 v11, v16, v41, v11
.LBB2_547:                              ;   in Loop: Header=BB2_130 Depth=2
	s_or_b32 exec_lo, exec_lo, s40
	v_cmp_gt_i16_sdwa s40, v12, v96 src0_sel:BYTE_3 src1_sel:DWORD
	s_mov_b32 s14, 0
	s_and_saveexec_b32 s41, s40
	s_xor_b32 s40, exec_lo, s41
	s_cbranch_execz .LBB2_798
; %bb.548:                              ;   in Loop: Header=BB2_130 Depth=2
	v_cmp_eq_u16_sdwa s42, v12, v97 src0_sel:BYTE_3 src1_sel:DWORD
	s_mov_b32 s14, -1
	s_and_saveexec_b32 s41, s42
; %bb.549:                              ;   in Loop: Header=BB2_130 Depth=2
	s_xor_b32 s14, exec_lo, -1
; %bb.550:                              ;   in Loop: Header=BB2_130 Depth=2
	s_or_b32 exec_lo, exec_lo, s41
	s_and_b32 s14, s14, exec_lo
	s_or_saveexec_b32 s40, s40
	v_mov_b32_e32 v16, 0x7f800001
	s_xor_b32 exec_lo, exec_lo, s40
	s_cbranch_execnz .LBB2_799
.LBB2_551:                              ;   in Loop: Header=BB2_130 Depth=2
	s_or_b32 exec_lo, exec_lo, s40
	s_and_saveexec_b32 s40, s14
.LBB2_552:                              ;   in Loop: Header=BB2_130 Depth=2
	v_mov_b32_e32 v16, v10
.LBB2_553:                              ;   in Loop: Header=BB2_130 Depth=2
	s_or_b32 exec_lo, exec_lo, s40
	v_max_f32_e32 v10, v16, v16
	v_max_f32_e32 v11, v11, v11
	v_min_f32_e32 v11, v11, v10
.LBB2_554:                              ;   in Loop: Header=BB2_130 Depth=2
	v_and_b32_e32 v10, 0x7f800000, v11
	v_mov_b32_e32 v16, 0x8000
	s_mov_b32 s40, exec_lo
	v_cmpx_ne_u32_e32 0x7f800000, v10
	s_cbranch_execz .LBB2_562
; %bb.555:                              ;   in Loop: Header=BB2_130 Depth=2
	v_mov_b32_e32 v16, 0
	s_mov_b32 s41, exec_lo
	v_cmpx_ne_u32_e32 0, v11
	s_cbranch_execz .LBB2_561
; %bb.556:                              ;   in Loop: Header=BB2_130 Depth=2
	v_bfe_u32 v10, v11, 23, 8
	v_and_b32_e32 v12, 0x7fffff, v11
	v_sub_nc_u32_e32 v16, 0x70, v10
	v_cmp_gt_u32_e32 vcc_lo, 0x71, v10
	v_or_b32_e32 v41, 0x800000, v12
	v_cndmask_b32_e32 v16, 0, v16, vcc_lo
	v_cmp_eq_u32_e32 vcc_lo, 0, v10
	v_add_nc_u32_e32 v10, 0xffffff91, v10
	v_cndmask_b32_e64 v16, v16, 0x6f, vcc_lo
	v_cndmask_b32_e32 v12, v41, v12, vcc_lo
	v_cndmask_b32_e64 v10, v10, 0xffffff92, vcc_lo
	v_lshl_add_u32 v41, 0x200000, v16, -1
	v_lshrrev_b32_e32 v42, v16, v12
	v_lshlrev_b32_e64 v44, v16, 0x100000
	v_add_nc_u32_e32 v16, v16, v10
	v_and_b32_e32 v12, v41, v12
	v_bfe_u32 v43, v42, 21, 1
	v_cmp_eq_u32_e64 s14, v12, v44
	v_add_nc_u32_e32 v41, -1, v43
	v_cndmask_b32_e64 v12, 0, v41, s14
	v_lshrrev_b32_e32 v41, 23, v42
	s_mov_b32 s14, exec_lo
	v_add_nc_u32_e32 v12, v12, v42
	v_xor_b32_e32 v41, 1, v41
	v_and_b32_e32 v10, 0x1fffff, v12
	v_add_nc_u32_e32 v12, v10, v42
                                        ; implicit-def: $vgpr10
	v_cmpx_ne_u32_e64 v16, v41
	s_xor_b32 s14, exec_lo, s14
; %bb.557:                              ;   in Loop: Header=BB2_130 Depth=2
	v_cmp_lt_u32_e32 vcc_lo, 0xffffff, v12
	v_sub_nc_u32_e32 v10, v16, v41
	v_cndmask_b32_e64 v16, 0, 1, vcc_lo
	v_add_co_ci_u32_e64 v10, null, 0, v10, vcc_lo
	v_lshrrev_b32_e32 v12, v16, v12
; %bb.558:                              ;   in Loop: Header=BB2_130 Depth=2
	s_andn2_saveexec_b32 s14, s14
; %bb.559:                              ;   in Loop: Header=BB2_130 Depth=2
	v_bfe_u32 v10, v12, 23, 1
; %bb.560:                              ;   in Loop: Header=BB2_130 Depth=2
	s_or_b32 exec_lo, exec_lo, s14
	v_lshrrev_b32_e32 v12, 21, v12
	v_min_i32_e32 v16, 31, v10
	v_cmp_gt_i32_e32 vcc_lo, 32, v10
	v_and_b32_sdwa v11, v11, v97 dst_sel:DWORD dst_unused:UNUSED_PAD src0_sel:BYTE_3 src1_sel:DWORD
	v_lshlrev_b32_e32 v16, 2, v16
	v_cndmask_b32_e32 v12, 3, v12, vcc_lo
	v_and_b32_e32 v16, 0xfc, v16
	v_and_b32_e32 v41, 3, v12
	v_or_b32_e32 v10, v10, v12
	v_or3_b32 v11, v11, v16, v41
	v_cmp_ne_u32_e32 vcc_lo, 0, v10
	v_lshlrev_b32_e32 v11, 8, v11
	v_cndmask_b32_e32 v16, 0, v11, vcc_lo
.LBB2_561:                              ;   in Loop: Header=BB2_130 Depth=2
	s_or_b32 exec_lo, exec_lo, s41
.LBB2_562:                              ;   in Loop: Header=BB2_130 Depth=2
	s_or_b32 exec_lo, exec_lo, s40
	v_and_b32_e32 v10, 3, v13
	v_bfe_u32 v41, v13, 2, 5
	v_lshlrev_b32_e32 v42, 24, v13
	v_cmp_gt_i16_sdwa s40, v17, v96 src0_sel:BYTE_0 src1_sel:DWORD
	s_mov_b32 s14, -1
	v_ffbh_u32_e32 v11, v10
	v_cmp_eq_u32_e32 vcc_lo, 0, v41
	v_min_u32_e32 v11, 32, v11
	v_subrev_nc_u32_e32 v12, 29, v11
	v_sub_nc_u32_e32 v11, 30, v11
	v_lshlrev_b32_e32 v12, v12, v13
	v_cndmask_b32_e32 v11, v41, v11, vcc_lo
	v_and_b32_e32 v12, 3, v12
	v_lshl_add_u32 v11, v11, 23, 0x37800000
	v_cndmask_b32_e32 v10, v10, v12, vcc_lo
	v_and_b32_e32 v12, 0x80000000, v42
	s_and_b32 vcc_lo, exec_lo, s29
	v_lshlrev_b32_e32 v10, 21, v10
	v_or3_b32 v10, v12, v11, v10
                                        ; implicit-def: $vgpr11
	s_cbranch_vccz .LBB2_576
; %bb.563:                              ;   in Loop: Header=BB2_130 Depth=2
	s_mov_b32 s14, 0
	s_and_saveexec_b32 s41, s40
	s_xor_b32 s40, exec_lo, s41
	s_cbranch_execz .LBB2_800
; %bb.564:                              ;   in Loop: Header=BB2_130 Depth=2
	v_cmp_eq_u16_sdwa s42, v17, v97 src0_sel:BYTE_0 src1_sel:DWORD
	s_mov_b32 s14, -1
	s_and_saveexec_b32 s41, s42
; %bb.565:                              ;   in Loop: Header=BB2_130 Depth=2
	s_xor_b32 s14, exec_lo, -1
; %bb.566:                              ;   in Loop: Header=BB2_130 Depth=2
	s_or_b32 exec_lo, exec_lo, s41
	s_and_b32 s14, s14, exec_lo
	s_or_saveexec_b32 s40, s40
	v_mov_b32_e32 v11, 0x7f800001
	s_xor_b32 exec_lo, exec_lo, s40
	s_cbranch_execnz .LBB2_801
.LBB2_567:                              ;   in Loop: Header=BB2_130 Depth=2
	s_or_b32 exec_lo, exec_lo, s40
	s_and_saveexec_b32 s40, s14
	s_cbranch_execz .LBB2_569
.LBB2_568:                              ;   in Loop: Header=BB2_130 Depth=2
	v_and_b32_e32 v11, 3, v17
	v_bfe_u32 v42, v17, 2, 5
	v_lshlrev_b32_e32 v43, 24, v17
	v_ffbh_u32_e32 v12, v11
	v_cmp_eq_u32_e32 vcc_lo, 0, v42
	v_min_u32_e32 v12, 32, v12
	v_subrev_nc_u32_e32 v41, 29, v12
	v_sub_nc_u32_e32 v12, 30, v12
	v_lshlrev_b32_e32 v41, v41, v17
	v_cndmask_b32_e32 v12, v42, v12, vcc_lo
	v_and_b32_e32 v41, 3, v41
	v_lshl_add_u32 v12, v12, 23, 0x37800000
	v_cndmask_b32_e32 v11, v11, v41, vcc_lo
	v_and_b32_e32 v41, 0x80000000, v43
	v_lshlrev_b32_e32 v11, 21, v11
	v_or3_b32 v11, v41, v12, v11
.LBB2_569:                              ;   in Loop: Header=BB2_130 Depth=2
	s_or_b32 exec_lo, exec_lo, s40
	v_cmp_gt_i16_sdwa s40, v13, v96 src0_sel:BYTE_0 src1_sel:DWORD
	s_mov_b32 s14, 0
	s_and_saveexec_b32 s41, s40
	s_xor_b32 s40, exec_lo, s41
	s_cbranch_execz .LBB2_802
; %bb.570:                              ;   in Loop: Header=BB2_130 Depth=2
	v_cmp_eq_u16_sdwa s42, v13, v97 src0_sel:BYTE_0 src1_sel:DWORD
	s_mov_b32 s14, -1
	s_and_saveexec_b32 s41, s42
; %bb.571:                              ;   in Loop: Header=BB2_130 Depth=2
	s_xor_b32 s14, exec_lo, -1
; %bb.572:                              ;   in Loop: Header=BB2_130 Depth=2
	s_or_b32 exec_lo, exec_lo, s41
	s_and_b32 s14, s14, exec_lo
	s_or_saveexec_b32 s40, s40
	v_mov_b32_e32 v12, 0x7f800001
	s_xor_b32 exec_lo, exec_lo, s40
	s_cbranch_execnz .LBB2_803
.LBB2_573:                              ;   in Loop: Header=BB2_130 Depth=2
	s_or_b32 exec_lo, exec_lo, s40
	s_and_saveexec_b32 s40, s14
.LBB2_574:                              ;   in Loop: Header=BB2_130 Depth=2
	v_mov_b32_e32 v12, v10
.LBB2_575:                              ;   in Loop: Header=BB2_130 Depth=2
	s_or_b32 exec_lo, exec_lo, s40
	v_max_f32_e32 v12, v12, v12
	v_max_f32_e32 v11, v11, v11
	s_mov_b32 s14, 0
	v_max_f32_e32 v11, v11, v12
.LBB2_576:                              ;   in Loop: Header=BB2_130 Depth=2
	s_and_b32 vcc_lo, exec_lo, s14
	s_cbranch_vccz .LBB2_590
; %bb.577:                              ;   in Loop: Header=BB2_130 Depth=2
	v_cmp_gt_i16_sdwa s40, v17, v96 src0_sel:BYTE_0 src1_sel:DWORD
	s_mov_b32 s14, 0
	s_and_saveexec_b32 s41, s40
	s_xor_b32 s40, exec_lo, s41
	s_cbranch_execz .LBB2_804
; %bb.578:                              ;   in Loop: Header=BB2_130 Depth=2
	v_cmp_eq_u16_sdwa s42, v17, v97 src0_sel:BYTE_0 src1_sel:DWORD
	s_mov_b32 s14, -1
	s_and_saveexec_b32 s41, s42
; %bb.579:                              ;   in Loop: Header=BB2_130 Depth=2
	s_xor_b32 s14, exec_lo, -1
; %bb.580:                              ;   in Loop: Header=BB2_130 Depth=2
	s_or_b32 exec_lo, exec_lo, s41
	s_and_b32 s14, s14, exec_lo
	s_or_saveexec_b32 s40, s40
	v_mov_b32_e32 v11, 0x7f800001
	s_xor_b32 exec_lo, exec_lo, s40
	s_cbranch_execnz .LBB2_805
.LBB2_581:                              ;   in Loop: Header=BB2_130 Depth=2
	s_or_b32 exec_lo, exec_lo, s40
	s_and_saveexec_b32 s40, s14
	s_cbranch_execz .LBB2_583
.LBB2_582:                              ;   in Loop: Header=BB2_130 Depth=2
	v_and_b32_e32 v11, 3, v17
	v_bfe_u32 v42, v17, 2, 5
	v_lshlrev_b32_e32 v43, 24, v17
	v_ffbh_u32_e32 v12, v11
	v_cmp_eq_u32_e32 vcc_lo, 0, v42
	v_min_u32_e32 v12, 32, v12
	v_subrev_nc_u32_e32 v41, 29, v12
	v_sub_nc_u32_e32 v12, 30, v12
	v_lshlrev_b32_e32 v41, v41, v17
	v_cndmask_b32_e32 v12, v42, v12, vcc_lo
	v_and_b32_e32 v41, 3, v41
	v_lshl_add_u32 v12, v12, 23, 0x37800000
	v_cndmask_b32_e32 v11, v11, v41, vcc_lo
	v_and_b32_e32 v41, 0x80000000, v43
	v_lshlrev_b32_e32 v11, 21, v11
	v_or3_b32 v11, v41, v12, v11
.LBB2_583:                              ;   in Loop: Header=BB2_130 Depth=2
	s_or_b32 exec_lo, exec_lo, s40
	v_cmp_gt_i16_sdwa s40, v13, v96 src0_sel:BYTE_0 src1_sel:DWORD
	s_mov_b32 s14, 0
	s_and_saveexec_b32 s41, s40
	s_xor_b32 s40, exec_lo, s41
	s_cbranch_execz .LBB2_806
; %bb.584:                              ;   in Loop: Header=BB2_130 Depth=2
	v_cmp_eq_u16_sdwa s42, v13, v97 src0_sel:BYTE_0 src1_sel:DWORD
	s_mov_b32 s14, -1
	s_and_saveexec_b32 s41, s42
; %bb.585:                              ;   in Loop: Header=BB2_130 Depth=2
	s_xor_b32 s14, exec_lo, -1
; %bb.586:                              ;   in Loop: Header=BB2_130 Depth=2
	s_or_b32 exec_lo, exec_lo, s41
	s_and_b32 s14, s14, exec_lo
	s_or_saveexec_b32 s40, s40
	v_mov_b32_e32 v12, 0x7f800001
	s_xor_b32 exec_lo, exec_lo, s40
	s_cbranch_execnz .LBB2_807
.LBB2_587:                              ;   in Loop: Header=BB2_130 Depth=2
	s_or_b32 exec_lo, exec_lo, s40
	s_and_saveexec_b32 s40, s14
.LBB2_588:                              ;   in Loop: Header=BB2_130 Depth=2
	v_mov_b32_e32 v12, v10
.LBB2_589:                              ;   in Loop: Header=BB2_130 Depth=2
	s_or_b32 exec_lo, exec_lo, s40
	v_max_f32_e32 v10, v12, v12
	v_max_f32_e32 v11, v11, v11
	v_min_f32_e32 v11, v11, v10
.LBB2_590:                              ;   in Loop: Header=BB2_130 Depth=2
	v_and_b32_e32 v10, 0x7f800000, v11
	v_mov_b32_e32 v41, 0x80
	s_mov_b32 s40, exec_lo
	v_cmpx_ne_u32_e32 0x7f800000, v10
	s_cbranch_execz .LBB2_598
; %bb.591:                              ;   in Loop: Header=BB2_130 Depth=2
	v_mov_b32_e32 v41, 0
	s_mov_b32 s41, exec_lo
	v_cmpx_ne_u32_e32 0, v11
	s_cbranch_execz .LBB2_597
; %bb.592:                              ;   in Loop: Header=BB2_130 Depth=2
	v_bfe_u32 v10, v11, 23, 8
	v_and_b32_e32 v12, 0x7fffff, v11
	v_sub_nc_u32_e32 v41, 0x70, v10
	v_cmp_gt_u32_e32 vcc_lo, 0x71, v10
	v_or_b32_e32 v42, 0x800000, v12
	v_cndmask_b32_e32 v41, 0, v41, vcc_lo
	v_cmp_eq_u32_e32 vcc_lo, 0, v10
	v_add_nc_u32_e32 v10, 0xffffff91, v10
	v_cndmask_b32_e64 v41, v41, 0x6f, vcc_lo
	v_cndmask_b32_e32 v12, v42, v12, vcc_lo
	v_cndmask_b32_e64 v10, v10, 0xffffff92, vcc_lo
	v_lshl_add_u32 v42, 0x200000, v41, -1
	v_lshrrev_b32_e32 v43, v41, v12
	v_lshlrev_b32_e64 v45, v41, 0x100000
	v_add_nc_u32_e32 v41, v41, v10
	v_and_b32_e32 v12, v42, v12
	v_bfe_u32 v44, v43, 21, 1
	v_cmp_eq_u32_e64 s14, v12, v45
	v_add_nc_u32_e32 v42, -1, v44
	v_cndmask_b32_e64 v12, 0, v42, s14
	v_lshrrev_b32_e32 v42, 23, v43
	s_mov_b32 s14, exec_lo
	v_add_nc_u32_e32 v12, v12, v43
	v_xor_b32_e32 v42, 1, v42
	v_and_b32_e32 v10, 0x1fffff, v12
	v_add_nc_u32_e32 v12, v10, v43
                                        ; implicit-def: $vgpr10
	v_cmpx_ne_u32_e64 v41, v42
	s_xor_b32 s14, exec_lo, s14
; %bb.593:                              ;   in Loop: Header=BB2_130 Depth=2
	v_cmp_lt_u32_e32 vcc_lo, 0xffffff, v12
	v_sub_nc_u32_e32 v10, v41, v42
	v_cndmask_b32_e64 v41, 0, 1, vcc_lo
	v_add_co_ci_u32_e64 v10, null, 0, v10, vcc_lo
	v_lshrrev_b32_e32 v12, v41, v12
; %bb.594:                              ;   in Loop: Header=BB2_130 Depth=2
	s_andn2_saveexec_b32 s14, s14
; %bb.595:                              ;   in Loop: Header=BB2_130 Depth=2
	v_bfe_u32 v10, v12, 23, 1
; %bb.596:                              ;   in Loop: Header=BB2_130 Depth=2
	s_or_b32 exec_lo, exec_lo, s14
	v_lshrrev_b32_e32 v12, 21, v12
	v_min_i32_e32 v41, 31, v10
	v_cmp_gt_i32_e32 vcc_lo, 32, v10
	v_and_b32_sdwa v11, v11, v97 dst_sel:DWORD dst_unused:UNUSED_PAD src0_sel:BYTE_3 src1_sel:DWORD
	v_lshlrev_b32_e32 v41, 2, v41
	v_cndmask_b32_e32 v12, 3, v12, vcc_lo
	v_and_b32_e32 v41, 0xfc, v41
	v_and_b32_e32 v42, 3, v12
	v_or_b32_e32 v10, v10, v12
	v_or3_b32 v11, v41, v11, v42
	v_cmp_ne_u32_e32 vcc_lo, 0, v10
	v_cndmask_b32_e32 v41, 0, v11, vcc_lo
.LBB2_597:                              ;   in Loop: Header=BB2_130 Depth=2
	s_or_b32 exec_lo, exec_lo, s41
.LBB2_598:                              ;   in Loop: Header=BB2_130 Depth=2
	s_or_b32 exec_lo, exec_lo, s40
	v_and_b32_sdwa v10, v98, v13 dst_sel:DWORD dst_unused:UNUSED_PAD src0_sel:DWORD src1_sel:BYTE_1
	v_cmp_gt_i16_sdwa s40, v17, v96 src0_sel:BYTE_1 src1_sel:DWORD
	s_mov_b32 s14, -1
	v_and_b32_e32 v11, 3, v10
	v_bfe_u32 v43, v10, 2, 5
	v_ffbh_u32_e32 v12, v11
	v_cmp_eq_u32_e32 vcc_lo, 0, v43
	v_min_u32_e32 v12, 32, v12
	v_subrev_nc_u32_e32 v42, 29, v12
	v_sub_nc_u32_e32 v12, 30, v12
	v_lshlrev_b32_e32 v10, v42, v10
	v_lshlrev_b32_sdwa v42, v99, v13 dst_sel:DWORD dst_unused:UNUSED_PAD src0_sel:DWORD src1_sel:BYTE_1
	v_cndmask_b32_e32 v12, v43, v12, vcc_lo
	v_and_b32_e32 v10, 3, v10
	v_lshl_add_u32 v12, v12, 23, 0x37800000
	v_cndmask_b32_e32 v10, v11, v10, vcc_lo
	v_and_b32_e32 v11, 0x80000000, v42
	s_and_b32 vcc_lo, exec_lo, s29
	v_lshlrev_b32_e32 v10, 21, v10
	v_or3_b32 v10, v11, v12, v10
                                        ; implicit-def: $vgpr11
	s_cbranch_vccz .LBB2_612
; %bb.599:                              ;   in Loop: Header=BB2_130 Depth=2
	s_mov_b32 s14, 0
	s_and_saveexec_b32 s41, s40
	s_xor_b32 s40, exec_lo, s41
	s_cbranch_execz .LBB2_808
; %bb.600:                              ;   in Loop: Header=BB2_130 Depth=2
	v_cmp_eq_u16_sdwa s42, v17, v97 src0_sel:BYTE_1 src1_sel:DWORD
	s_mov_b32 s14, -1
	s_and_saveexec_b32 s41, s42
; %bb.601:                              ;   in Loop: Header=BB2_130 Depth=2
	s_xor_b32 s14, exec_lo, -1
; %bb.602:                              ;   in Loop: Header=BB2_130 Depth=2
	s_or_b32 exec_lo, exec_lo, s41
	s_and_b32 s14, s14, exec_lo
	s_or_saveexec_b32 s40, s40
	v_mov_b32_e32 v11, 0x7f800001
	s_xor_b32 exec_lo, exec_lo, s40
	s_cbranch_execnz .LBB2_809
.LBB2_603:                              ;   in Loop: Header=BB2_130 Depth=2
	s_or_b32 exec_lo, exec_lo, s40
	s_and_saveexec_b32 s40, s14
	s_cbranch_execz .LBB2_605
.LBB2_604:                              ;   in Loop: Header=BB2_130 Depth=2
	v_and_b32_sdwa v11, v98, v17 dst_sel:DWORD dst_unused:UNUSED_PAD src0_sel:DWORD src1_sel:BYTE_1
	v_and_b32_e32 v12, 3, v11
	v_bfe_u32 v44, v11, 2, 5
	v_ffbh_u32_e32 v42, v12
	v_cmp_eq_u32_e32 vcc_lo, 0, v44
	v_min_u32_e32 v42, 32, v42
	v_subrev_nc_u32_e32 v43, 29, v42
	v_sub_nc_u32_e32 v42, 30, v42
	v_lshlrev_b32_e32 v11, v43, v11
	v_lshlrev_b32_e32 v43, 16, v17
	v_cndmask_b32_e32 v42, v44, v42, vcc_lo
	v_and_b32_e32 v11, 3, v11
	v_lshl_add_u32 v42, v42, 23, 0x37800000
	v_cndmask_b32_e32 v11, v12, v11, vcc_lo
	v_and_b32_e32 v12, 0x80000000, v43
	v_lshlrev_b32_e32 v11, 21, v11
	v_or3_b32 v11, v12, v42, v11
.LBB2_605:                              ;   in Loop: Header=BB2_130 Depth=2
	s_or_b32 exec_lo, exec_lo, s40
	v_cmp_gt_i16_sdwa s40, v13, v96 src0_sel:BYTE_1 src1_sel:DWORD
	s_mov_b32 s14, 0
	s_and_saveexec_b32 s41, s40
	s_xor_b32 s40, exec_lo, s41
	s_cbranch_execz .LBB2_810
; %bb.606:                              ;   in Loop: Header=BB2_130 Depth=2
	v_cmp_eq_u16_sdwa s42, v13, v97 src0_sel:BYTE_1 src1_sel:DWORD
	s_mov_b32 s14, -1
	s_and_saveexec_b32 s41, s42
; %bb.607:                              ;   in Loop: Header=BB2_130 Depth=2
	s_xor_b32 s14, exec_lo, -1
; %bb.608:                              ;   in Loop: Header=BB2_130 Depth=2
	s_or_b32 exec_lo, exec_lo, s41
	s_and_b32 s14, s14, exec_lo
	s_or_saveexec_b32 s40, s40
	v_mov_b32_e32 v12, 0x7f800001
	s_xor_b32 exec_lo, exec_lo, s40
	s_cbranch_execnz .LBB2_811
.LBB2_609:                              ;   in Loop: Header=BB2_130 Depth=2
	s_or_b32 exec_lo, exec_lo, s40
	s_and_saveexec_b32 s40, s14
.LBB2_610:                              ;   in Loop: Header=BB2_130 Depth=2
	v_mov_b32_e32 v12, v10
.LBB2_611:                              ;   in Loop: Header=BB2_130 Depth=2
	s_or_b32 exec_lo, exec_lo, s40
	v_max_f32_e32 v12, v12, v12
	v_max_f32_e32 v11, v11, v11
	s_mov_b32 s14, 0
	v_max_f32_e32 v11, v11, v12
.LBB2_612:                              ;   in Loop: Header=BB2_130 Depth=2
	s_and_b32 vcc_lo, exec_lo, s14
	s_cbranch_vccz .LBB2_626
; %bb.613:                              ;   in Loop: Header=BB2_130 Depth=2
	v_cmp_gt_i16_sdwa s40, v17, v96 src0_sel:BYTE_1 src1_sel:DWORD
	s_mov_b32 s14, 0
	s_and_saveexec_b32 s41, s40
	s_xor_b32 s40, exec_lo, s41
	s_cbranch_execz .LBB2_812
; %bb.614:                              ;   in Loop: Header=BB2_130 Depth=2
	v_cmp_eq_u16_sdwa s42, v17, v97 src0_sel:BYTE_1 src1_sel:DWORD
	s_mov_b32 s14, -1
	s_and_saveexec_b32 s41, s42
; %bb.615:                              ;   in Loop: Header=BB2_130 Depth=2
	s_xor_b32 s14, exec_lo, -1
; %bb.616:                              ;   in Loop: Header=BB2_130 Depth=2
	s_or_b32 exec_lo, exec_lo, s41
	s_and_b32 s14, s14, exec_lo
	s_or_saveexec_b32 s40, s40
	v_mov_b32_e32 v11, 0x7f800001
	s_xor_b32 exec_lo, exec_lo, s40
	s_cbranch_execnz .LBB2_813
.LBB2_617:                              ;   in Loop: Header=BB2_130 Depth=2
	s_or_b32 exec_lo, exec_lo, s40
	s_and_saveexec_b32 s40, s14
	s_cbranch_execz .LBB2_619
.LBB2_618:                              ;   in Loop: Header=BB2_130 Depth=2
	v_and_b32_sdwa v11, v98, v17 dst_sel:DWORD dst_unused:UNUSED_PAD src0_sel:DWORD src1_sel:BYTE_1
	v_and_b32_e32 v12, 3, v11
	v_bfe_u32 v44, v11, 2, 5
	v_ffbh_u32_e32 v42, v12
	v_cmp_eq_u32_e32 vcc_lo, 0, v44
	v_min_u32_e32 v42, 32, v42
	v_subrev_nc_u32_e32 v43, 29, v42
	v_sub_nc_u32_e32 v42, 30, v42
	v_lshlrev_b32_e32 v11, v43, v11
	v_lshlrev_b32_e32 v43, 16, v17
	v_cndmask_b32_e32 v42, v44, v42, vcc_lo
	v_and_b32_e32 v11, 3, v11
	v_lshl_add_u32 v42, v42, 23, 0x37800000
	v_cndmask_b32_e32 v11, v12, v11, vcc_lo
	v_and_b32_e32 v12, 0x80000000, v43
	v_lshlrev_b32_e32 v11, 21, v11
	v_or3_b32 v11, v12, v42, v11
.LBB2_619:                              ;   in Loop: Header=BB2_130 Depth=2
	s_or_b32 exec_lo, exec_lo, s40
	v_cmp_gt_i16_sdwa s40, v13, v96 src0_sel:BYTE_1 src1_sel:DWORD
	s_mov_b32 s14, 0
	s_and_saveexec_b32 s41, s40
	s_xor_b32 s40, exec_lo, s41
	s_cbranch_execz .LBB2_814
; %bb.620:                              ;   in Loop: Header=BB2_130 Depth=2
	v_cmp_eq_u16_sdwa s42, v13, v97 src0_sel:BYTE_1 src1_sel:DWORD
	s_mov_b32 s14, -1
	s_and_saveexec_b32 s41, s42
; %bb.621:                              ;   in Loop: Header=BB2_130 Depth=2
	s_xor_b32 s14, exec_lo, -1
; %bb.622:                              ;   in Loop: Header=BB2_130 Depth=2
	s_or_b32 exec_lo, exec_lo, s41
	s_and_b32 s14, s14, exec_lo
	s_or_saveexec_b32 s40, s40
	v_mov_b32_e32 v12, 0x7f800001
	s_xor_b32 exec_lo, exec_lo, s40
	s_cbranch_execnz .LBB2_815
.LBB2_623:                              ;   in Loop: Header=BB2_130 Depth=2
	s_or_b32 exec_lo, exec_lo, s40
	s_and_saveexec_b32 s40, s14
.LBB2_624:                              ;   in Loop: Header=BB2_130 Depth=2
	v_mov_b32_e32 v12, v10
.LBB2_625:                              ;   in Loop: Header=BB2_130 Depth=2
	s_or_b32 exec_lo, exec_lo, s40
	v_max_f32_e32 v10, v12, v12
	v_max_f32_e32 v11, v11, v11
	v_min_f32_e32 v11, v11, v10
.LBB2_626:                              ;   in Loop: Header=BB2_130 Depth=2
	v_and_b32_e32 v10, 0x7f800000, v11
	v_mov_b32_e32 v42, 0x8000
	s_mov_b32 s40, exec_lo
	v_cmpx_ne_u32_e32 0x7f800000, v10
	s_cbranch_execz .LBB2_634
; %bb.627:                              ;   in Loop: Header=BB2_130 Depth=2
	v_mov_b32_e32 v42, 0
	s_mov_b32 s41, exec_lo
	v_cmpx_ne_u32_e32 0, v11
	s_cbranch_execz .LBB2_633
; %bb.628:                              ;   in Loop: Header=BB2_130 Depth=2
	v_bfe_u32 v10, v11, 23, 8
	v_and_b32_e32 v12, 0x7fffff, v11
	v_sub_nc_u32_e32 v42, 0x70, v10
	v_cmp_gt_u32_e32 vcc_lo, 0x71, v10
	v_or_b32_e32 v43, 0x800000, v12
	v_cndmask_b32_e32 v42, 0, v42, vcc_lo
	v_cmp_eq_u32_e32 vcc_lo, 0, v10
	v_add_nc_u32_e32 v10, 0xffffff91, v10
	v_cndmask_b32_e64 v42, v42, 0x6f, vcc_lo
	v_cndmask_b32_e32 v12, v43, v12, vcc_lo
	v_cndmask_b32_e64 v10, v10, 0xffffff92, vcc_lo
	v_lshl_add_u32 v43, 0x200000, v42, -1
	v_lshrrev_b32_e32 v44, v42, v12
	v_lshlrev_b32_e64 v46, v42, 0x100000
	v_add_nc_u32_e32 v42, v42, v10
	v_and_b32_e32 v12, v43, v12
	v_bfe_u32 v45, v44, 21, 1
	v_cmp_eq_u32_e64 s14, v12, v46
	v_add_nc_u32_e32 v43, -1, v45
	v_cndmask_b32_e64 v12, 0, v43, s14
	v_lshrrev_b32_e32 v43, 23, v44
	s_mov_b32 s14, exec_lo
	v_add_nc_u32_e32 v12, v12, v44
	v_xor_b32_e32 v43, 1, v43
	v_and_b32_e32 v10, 0x1fffff, v12
	v_add_nc_u32_e32 v12, v10, v44
                                        ; implicit-def: $vgpr10
	v_cmpx_ne_u32_e64 v42, v43
	s_xor_b32 s14, exec_lo, s14
; %bb.629:                              ;   in Loop: Header=BB2_130 Depth=2
	v_cmp_lt_u32_e32 vcc_lo, 0xffffff, v12
	v_sub_nc_u32_e32 v10, v42, v43
	v_cndmask_b32_e64 v42, 0, 1, vcc_lo
	v_add_co_ci_u32_e64 v10, null, 0, v10, vcc_lo
	v_lshrrev_b32_e32 v12, v42, v12
; %bb.630:                              ;   in Loop: Header=BB2_130 Depth=2
	s_andn2_saveexec_b32 s14, s14
; %bb.631:                              ;   in Loop: Header=BB2_130 Depth=2
	v_bfe_u32 v10, v12, 23, 1
; %bb.632:                              ;   in Loop: Header=BB2_130 Depth=2
	s_or_b32 exec_lo, exec_lo, s14
	v_lshrrev_b32_e32 v12, 21, v12
	v_min_i32_e32 v42, 31, v10
	v_cmp_gt_i32_e32 vcc_lo, 32, v10
	v_and_b32_sdwa v11, v11, v97 dst_sel:DWORD dst_unused:UNUSED_PAD src0_sel:BYTE_3 src1_sel:DWORD
	v_lshlrev_b32_e32 v42, 2, v42
	v_cndmask_b32_e32 v12, 3, v12, vcc_lo
	v_and_b32_e32 v42, 0xfc, v42
	v_and_b32_e32 v43, 3, v12
	v_or_b32_e32 v10, v10, v12
	v_or3_b32 v11, v11, v42, v43
	v_cmp_ne_u32_e32 vcc_lo, 0, v10
	v_lshlrev_b32_e32 v11, 8, v11
	v_cndmask_b32_e32 v42, 0, v11, vcc_lo
.LBB2_633:                              ;   in Loop: Header=BB2_130 Depth=2
	s_or_b32 exec_lo, exec_lo, s41
.LBB2_634:                              ;   in Loop: Header=BB2_130 Depth=2
	s_or_b32 exec_lo, exec_lo, s40
	v_bfe_u32 v10, v13, 16, 2
	v_bfe_u32 v43, v13, 18, 5
	v_lshlrev_b32_e32 v44, 8, v13
	s_mov_b32 s40, -1
	v_ffbh_u32_e32 v11, v10
	v_cmp_eq_u32_e32 vcc_lo, 0, v43
	v_min_u32_e32 v11, 32, v11
	v_subrev_nc_u32_e32 v12, 29, v11
	v_sub_nc_u32_e32 v11, 30, v11
	v_lshlrev_b32_sdwa v12, v12, v13 dst_sel:DWORD dst_unused:UNUSED_PAD src0_sel:DWORD src1_sel:WORD_1
	v_cndmask_b32_e32 v11, v43, v11, vcc_lo
	v_and_b32_e32 v12, 3, v12
	v_lshl_add_u32 v43, v11, 23, 0x37800000
	v_and_b32_sdwa v11, v17, v100 dst_sel:DWORD dst_unused:UNUSED_PAD src0_sel:WORD_1 src1_sel:DWORD
	v_cndmask_b32_e32 v10, v10, v12, vcc_lo
	v_and_b32_e32 v12, 0x80000000, v44
	v_cmp_lt_i16_e64 s14, 0x7f, v11
	s_and_b32 vcc_lo, exec_lo, s29
	v_lshlrev_b32_e32 v10, 21, v10
	v_or3_b32 v10, v12, v43, v10
                                        ; implicit-def: $vgpr12
	s_cbranch_vccz .LBB2_648
; %bb.635:                              ;   in Loop: Header=BB2_130 Depth=2
	s_mov_b32 s40, 0
	s_and_saveexec_b32 s41, s14
	s_xor_b32 s14, exec_lo, s41
	s_cbranch_execz .LBB2_816
; %bb.636:                              ;   in Loop: Header=BB2_130 Depth=2
	s_mov_b32 s40, -1
	s_mov_b32 s41, exec_lo
	v_cmpx_eq_u16_e32 0x80, v11
; %bb.637:                              ;   in Loop: Header=BB2_130 Depth=2
	s_xor_b32 s40, exec_lo, -1
; %bb.638:                              ;   in Loop: Header=BB2_130 Depth=2
	s_or_b32 exec_lo, exec_lo, s41
	s_and_b32 s40, s40, exec_lo
	s_or_saveexec_b32 s14, s14
	v_mov_b32_e32 v12, 0x7f800001
	s_xor_b32 exec_lo, exec_lo, s14
	s_cbranch_execnz .LBB2_817
.LBB2_639:                              ;   in Loop: Header=BB2_130 Depth=2
	s_or_b32 exec_lo, exec_lo, s14
	s_and_saveexec_b32 s14, s40
	s_cbranch_execz .LBB2_641
.LBB2_640:                              ;   in Loop: Header=BB2_130 Depth=2
	v_bfe_u32 v12, v17, 16, 2
	v_bfe_u32 v45, v17, 18, 5
	v_lshlrev_b32_sdwa v46, v99, v17 dst_sel:DWORD dst_unused:UNUSED_PAD src0_sel:DWORD src1_sel:WORD_1
	v_ffbh_u32_e32 v43, v12
	v_cmp_eq_u32_e32 vcc_lo, 0, v45
	v_min_u32_e32 v43, 32, v43
	v_subrev_nc_u32_e32 v44, 29, v43
	v_sub_nc_u32_e32 v43, 30, v43
	v_lshlrev_b32_sdwa v44, v44, v17 dst_sel:DWORD dst_unused:UNUSED_PAD src0_sel:DWORD src1_sel:WORD_1
	v_cndmask_b32_e32 v43, v45, v43, vcc_lo
	v_and_b32_e32 v44, 3, v44
	v_lshl_add_u32 v43, v43, 23, 0x37800000
	v_cndmask_b32_e32 v12, v12, v44, vcc_lo
	v_and_b32_e32 v44, 0x80000000, v46
	v_lshlrev_b32_e32 v12, 21, v12
	v_or3_b32 v12, v44, v43, v12
.LBB2_641:                              ;   in Loop: Header=BB2_130 Depth=2
	s_or_b32 exec_lo, exec_lo, s14
	v_and_b32_sdwa v44, v13, v100 dst_sel:DWORD dst_unused:UNUSED_PAD src0_sel:WORD_1 src1_sel:DWORD
	s_mov_b32 s14, 0
	s_mov_b32 s40, exec_lo
	v_cmpx_lt_i16_e32 0x7f, v44
	s_xor_b32 s40, exec_lo, s40
	s_cbranch_execz .LBB2_818
; %bb.642:                              ;   in Loop: Header=BB2_130 Depth=2
	s_mov_b32 s14, -1
	s_mov_b32 s41, exec_lo
	v_cmpx_eq_u16_e32 0x80, v44
; %bb.643:                              ;   in Loop: Header=BB2_130 Depth=2
	s_xor_b32 s14, exec_lo, -1
; %bb.644:                              ;   in Loop: Header=BB2_130 Depth=2
	s_or_b32 exec_lo, exec_lo, s41
	s_and_b32 s14, s14, exec_lo
                                        ; implicit-def: $vgpr44
	s_or_saveexec_b32 s40, s40
	v_mov_b32_e32 v43, 0x7f800001
	s_xor_b32 exec_lo, exec_lo, s40
	s_cbranch_execnz .LBB2_819
.LBB2_645:                              ;   in Loop: Header=BB2_130 Depth=2
	s_or_b32 exec_lo, exec_lo, s40
	s_and_saveexec_b32 s40, s14
.LBB2_646:                              ;   in Loop: Header=BB2_130 Depth=2
	v_mov_b32_e32 v43, v10
.LBB2_647:                              ;   in Loop: Header=BB2_130 Depth=2
	s_or_b32 exec_lo, exec_lo, s40
	v_max_f32_e32 v43, v43, v43
	v_max_f32_e32 v12, v12, v12
	s_mov_b32 s40, 0
	v_max_f32_e32 v12, v12, v43
.LBB2_648:                              ;   in Loop: Header=BB2_130 Depth=2
	s_and_b32 vcc_lo, exec_lo, s40
	s_cbranch_vccz .LBB2_662
; %bb.649:                              ;   in Loop: Header=BB2_130 Depth=2
	s_mov_b32 s14, 0
	s_mov_b32 s40, exec_lo
	v_cmpx_lt_i16_e32 0x7f, v11
	s_xor_b32 s40, exec_lo, s40
	s_cbranch_execz .LBB2_820
; %bb.650:                              ;   in Loop: Header=BB2_130 Depth=2
	s_mov_b32 s14, -1
	s_mov_b32 s41, exec_lo
	v_cmpx_eq_u16_e32 0x80, v11
; %bb.651:                              ;   in Loop: Header=BB2_130 Depth=2
	s_xor_b32 s14, exec_lo, -1
; %bb.652:                              ;   in Loop: Header=BB2_130 Depth=2
	s_or_b32 exec_lo, exec_lo, s41
	s_and_b32 s14, s14, exec_lo
                                        ; implicit-def: $vgpr11
	s_or_saveexec_b32 s40, s40
	v_mov_b32_e32 v12, 0x7f800001
	s_xor_b32 exec_lo, exec_lo, s40
	s_cbranch_execnz .LBB2_821
.LBB2_653:                              ;   in Loop: Header=BB2_130 Depth=2
	s_or_b32 exec_lo, exec_lo, s40
	s_and_saveexec_b32 s40, s14
	s_cbranch_execz .LBB2_655
.LBB2_654:                              ;   in Loop: Header=BB2_130 Depth=2
	v_bfe_u32 v11, v17, 16, 2
	v_bfe_u32 v44, v17, 18, 5
	v_lshlrev_b32_sdwa v45, v99, v17 dst_sel:DWORD dst_unused:UNUSED_PAD src0_sel:DWORD src1_sel:WORD_1
	v_ffbh_u32_e32 v12, v11
	v_cmp_eq_u32_e32 vcc_lo, 0, v44
	v_min_u32_e32 v12, 32, v12
	v_subrev_nc_u32_e32 v43, 29, v12
	v_sub_nc_u32_e32 v12, 30, v12
	v_lshlrev_b32_sdwa v43, v43, v17 dst_sel:DWORD dst_unused:UNUSED_PAD src0_sel:DWORD src1_sel:WORD_1
	v_cndmask_b32_e32 v12, v44, v12, vcc_lo
	v_and_b32_e32 v43, 3, v43
	v_lshl_add_u32 v12, v12, 23, 0x37800000
	v_cndmask_b32_e32 v11, v11, v43, vcc_lo
	v_and_b32_e32 v43, 0x80000000, v45
	v_lshlrev_b32_e32 v11, 21, v11
	v_or3_b32 v12, v43, v12, v11
.LBB2_655:                              ;   in Loop: Header=BB2_130 Depth=2
	s_or_b32 exec_lo, exec_lo, s40
	v_and_b32_sdwa v43, v13, v100 dst_sel:DWORD dst_unused:UNUSED_PAD src0_sel:WORD_1 src1_sel:DWORD
	s_mov_b32 s14, 0
	s_mov_b32 s40, exec_lo
	v_cmpx_lt_i16_e32 0x7f, v43
	s_xor_b32 s40, exec_lo, s40
	s_cbranch_execz .LBB2_822
; %bb.656:                              ;   in Loop: Header=BB2_130 Depth=2
	s_mov_b32 s14, -1
	s_mov_b32 s41, exec_lo
	v_cmpx_eq_u16_e32 0x80, v43
; %bb.657:                              ;   in Loop: Header=BB2_130 Depth=2
	s_xor_b32 s14, exec_lo, -1
; %bb.658:                              ;   in Loop: Header=BB2_130 Depth=2
	s_or_b32 exec_lo, exec_lo, s41
	s_and_b32 s14, s14, exec_lo
                                        ; implicit-def: $vgpr43
	s_or_saveexec_b32 s40, s40
	v_mov_b32_e32 v11, 0x7f800001
	s_xor_b32 exec_lo, exec_lo, s40
	s_cbranch_execnz .LBB2_823
.LBB2_659:                              ;   in Loop: Header=BB2_130 Depth=2
	s_or_b32 exec_lo, exec_lo, s40
	s_and_saveexec_b32 s40, s14
.LBB2_660:                              ;   in Loop: Header=BB2_130 Depth=2
	v_mov_b32_e32 v11, v10
.LBB2_661:                              ;   in Loop: Header=BB2_130 Depth=2
	s_or_b32 exec_lo, exec_lo, s40
	v_max_f32_e32 v10, v11, v11
	v_max_f32_e32 v11, v12, v12
	v_min_f32_e32 v12, v11, v10
.LBB2_662:                              ;   in Loop: Header=BB2_130 Depth=2
	v_and_b32_e32 v10, 0x7f800000, v12
	v_mov_b32_e32 v43, 0x80
	s_mov_b32 s40, exec_lo
	v_cmpx_ne_u32_e32 0x7f800000, v10
	s_cbranch_execz .LBB2_670
; %bb.663:                              ;   in Loop: Header=BB2_130 Depth=2
	v_mov_b32_e32 v43, 0
	s_mov_b32 s41, exec_lo
	v_cmpx_ne_u32_e32 0, v12
	s_cbranch_execz .LBB2_669
; %bb.664:                              ;   in Loop: Header=BB2_130 Depth=2
	v_bfe_u32 v10, v12, 23, 8
	v_and_b32_e32 v11, 0x7fffff, v12
	v_sub_nc_u32_e32 v43, 0x70, v10
	v_cmp_gt_u32_e32 vcc_lo, 0x71, v10
	v_or_b32_e32 v44, 0x800000, v11
	v_cndmask_b32_e32 v43, 0, v43, vcc_lo
	v_cmp_eq_u32_e32 vcc_lo, 0, v10
	v_add_nc_u32_e32 v10, 0xffffff91, v10
	v_cndmask_b32_e64 v43, v43, 0x6f, vcc_lo
	v_cndmask_b32_e32 v11, v44, v11, vcc_lo
	v_cndmask_b32_e64 v10, v10, 0xffffff92, vcc_lo
	v_lshl_add_u32 v44, 0x200000, v43, -1
	v_lshrrev_b32_e32 v45, v43, v11
	v_lshlrev_b32_e64 v47, v43, 0x100000
	v_add_nc_u32_e32 v43, v43, v10
	v_and_b32_e32 v11, v44, v11
	v_bfe_u32 v46, v45, 21, 1
	v_cmp_eq_u32_e64 s14, v11, v47
	v_add_nc_u32_e32 v44, -1, v46
	v_cndmask_b32_e64 v11, 0, v44, s14
	v_lshrrev_b32_e32 v44, 23, v45
	s_mov_b32 s14, exec_lo
	v_add_nc_u32_e32 v11, v11, v45
	v_xor_b32_e32 v44, 1, v44
	v_and_b32_e32 v10, 0x1fffff, v11
	v_add_nc_u32_e32 v11, v10, v45
                                        ; implicit-def: $vgpr10
	v_cmpx_ne_u32_e64 v43, v44
	s_xor_b32 s14, exec_lo, s14
; %bb.665:                              ;   in Loop: Header=BB2_130 Depth=2
	v_cmp_lt_u32_e32 vcc_lo, 0xffffff, v11
	v_sub_nc_u32_e32 v10, v43, v44
	v_cndmask_b32_e64 v43, 0, 1, vcc_lo
	v_add_co_ci_u32_e64 v10, null, 0, v10, vcc_lo
	v_lshrrev_b32_e32 v11, v43, v11
; %bb.666:                              ;   in Loop: Header=BB2_130 Depth=2
	s_andn2_saveexec_b32 s14, s14
; %bb.667:                              ;   in Loop: Header=BB2_130 Depth=2
	v_bfe_u32 v10, v11, 23, 1
; %bb.668:                              ;   in Loop: Header=BB2_130 Depth=2
	s_or_b32 exec_lo, exec_lo, s14
	v_lshrrev_b32_e32 v11, 21, v11
	v_min_i32_e32 v43, 31, v10
	v_cmp_gt_i32_e32 vcc_lo, 32, v10
	v_and_b32_sdwa v12, v12, v97 dst_sel:DWORD dst_unused:UNUSED_PAD src0_sel:BYTE_3 src1_sel:DWORD
	v_lshlrev_b32_e32 v43, 2, v43
	v_cndmask_b32_e32 v11, 3, v11, vcc_lo
	v_and_b32_e32 v43, 0xfc, v43
	v_and_b32_e32 v44, 3, v11
	v_or_b32_e32 v10, v10, v11
	v_or3_b32 v11, v43, v12, v44
	v_cmp_ne_u32_e32 vcc_lo, 0, v10
	v_cndmask_b32_e32 v43, 0, v11, vcc_lo
.LBB2_669:                              ;   in Loop: Header=BB2_130 Depth=2
	s_or_b32 exec_lo, exec_lo, s41
.LBB2_670:                              ;   in Loop: Header=BB2_130 Depth=2
	s_or_b32 exec_lo, exec_lo, s40
	v_bfe_u32 v10, v13, 24, 2
	v_bfe_u32 v44, v13, 26, 5
	v_cmp_gt_i16_sdwa s40, v17, v96 src0_sel:BYTE_3 src1_sel:DWORD
	s_mov_b32 s14, -1
	v_ffbh_u32_e32 v11, v10
	v_cmp_eq_u32_e32 vcc_lo, 0, v44
	v_min_u32_e32 v11, 32, v11
	v_subrev_nc_u32_e32 v12, 29, v11
	v_sub_nc_u32_e32 v11, 30, v11
	v_lshlrev_b32_sdwa v12, v12, v13 dst_sel:DWORD dst_unused:UNUSED_PAD src0_sel:DWORD src1_sel:BYTE_3
	v_cndmask_b32_e32 v11, v44, v11, vcc_lo
	v_and_b32_e32 v12, 3, v12
	v_lshl_add_u32 v11, v11, 23, 0x37800000
	v_cndmask_b32_e32 v10, v10, v12, vcc_lo
	v_and_b32_e32 v12, 0x80000000, v13
	s_and_b32 vcc_lo, exec_lo, s29
	v_lshlrev_b32_e32 v10, 21, v10
	v_or3_b32 v44, v12, v11, v10
                                        ; implicit-def: $vgpr10
	s_cbranch_vccz .LBB2_684
; %bb.671:                              ;   in Loop: Header=BB2_130 Depth=2
	s_mov_b32 s14, 0
	s_and_saveexec_b32 s41, s40
	s_xor_b32 s40, exec_lo, s41
	s_cbranch_execz .LBB2_824
; %bb.672:                              ;   in Loop: Header=BB2_130 Depth=2
	v_cmp_eq_u16_sdwa s42, v17, v97 src0_sel:BYTE_3 src1_sel:DWORD
	s_mov_b32 s14, -1
	s_and_saveexec_b32 s41, s42
; %bb.673:                              ;   in Loop: Header=BB2_130 Depth=2
	s_xor_b32 s14, exec_lo, -1
; %bb.674:                              ;   in Loop: Header=BB2_130 Depth=2
	s_or_b32 exec_lo, exec_lo, s41
	s_and_b32 s14, s14, exec_lo
	s_or_saveexec_b32 s40, s40
	v_mov_b32_e32 v10, 0x7f800001
	s_xor_b32 exec_lo, exec_lo, s40
	s_cbranch_execnz .LBB2_825
.LBB2_675:                              ;   in Loop: Header=BB2_130 Depth=2
	s_or_b32 exec_lo, exec_lo, s40
	s_and_saveexec_b32 s40, s14
	s_cbranch_execz .LBB2_677
.LBB2_676:                              ;   in Loop: Header=BB2_130 Depth=2
	v_bfe_u32 v10, v17, 24, 2
	v_bfe_u32 v45, v17, 26, 5
	v_ffbh_u32_e32 v11, v10
	v_cmp_eq_u32_e32 vcc_lo, 0, v45
	v_min_u32_e32 v11, 32, v11
	v_subrev_nc_u32_e32 v12, 29, v11
	v_sub_nc_u32_e32 v11, 30, v11
	v_lshlrev_b32_sdwa v12, v12, v17 dst_sel:DWORD dst_unused:UNUSED_PAD src0_sel:DWORD src1_sel:BYTE_3
	v_cndmask_b32_e32 v11, v45, v11, vcc_lo
	v_and_b32_e32 v12, 3, v12
	v_lshl_add_u32 v11, v11, 23, 0x37800000
	v_cndmask_b32_e32 v10, v10, v12, vcc_lo
	v_and_b32_e32 v12, 0x80000000, v17
	v_lshlrev_b32_e32 v10, 21, v10
	v_or3_b32 v10, v12, v11, v10
.LBB2_677:                              ;   in Loop: Header=BB2_130 Depth=2
	s_or_b32 exec_lo, exec_lo, s40
	v_cmp_gt_i16_sdwa s40, v13, v96 src0_sel:BYTE_3 src1_sel:DWORD
	s_mov_b32 s14, 0
	s_and_saveexec_b32 s41, s40
	s_xor_b32 s40, exec_lo, s41
	s_cbranch_execz .LBB2_826
; %bb.678:                              ;   in Loop: Header=BB2_130 Depth=2
	v_cmp_eq_u16_sdwa s42, v13, v97 src0_sel:BYTE_3 src1_sel:DWORD
	s_mov_b32 s14, -1
	s_and_saveexec_b32 s41, s42
; %bb.679:                              ;   in Loop: Header=BB2_130 Depth=2
	s_xor_b32 s14, exec_lo, -1
; %bb.680:                              ;   in Loop: Header=BB2_130 Depth=2
	s_or_b32 exec_lo, exec_lo, s41
	s_and_b32 s14, s14, exec_lo
	s_or_saveexec_b32 s40, s40
	v_mov_b32_e32 v11, 0x7f800001
	s_xor_b32 exec_lo, exec_lo, s40
	s_cbranch_execnz .LBB2_827
.LBB2_681:                              ;   in Loop: Header=BB2_130 Depth=2
	s_or_b32 exec_lo, exec_lo, s40
	s_and_saveexec_b32 s40, s14
.LBB2_682:                              ;   in Loop: Header=BB2_130 Depth=2
	v_mov_b32_e32 v11, v44
.LBB2_683:                              ;   in Loop: Header=BB2_130 Depth=2
	s_or_b32 exec_lo, exec_lo, s40
	v_max_f32_e32 v11, v11, v11
	v_max_f32_e32 v10, v10, v10
	s_mov_b32 s14, 0
	v_max_f32_e32 v10, v10, v11
.LBB2_684:                              ;   in Loop: Header=BB2_130 Depth=2
	s_and_b32 vcc_lo, exec_lo, s14
	s_cbranch_vccz .LBB2_698
; %bb.685:                              ;   in Loop: Header=BB2_130 Depth=2
	v_cmp_gt_i16_sdwa s40, v17, v96 src0_sel:BYTE_3 src1_sel:DWORD
	s_mov_b32 s14, 0
	s_and_saveexec_b32 s41, s40
	s_xor_b32 s40, exec_lo, s41
	s_cbranch_execz .LBB2_828
; %bb.686:                              ;   in Loop: Header=BB2_130 Depth=2
	v_cmp_eq_u16_sdwa s42, v17, v97 src0_sel:BYTE_3 src1_sel:DWORD
	s_mov_b32 s14, -1
	s_and_saveexec_b32 s41, s42
; %bb.687:                              ;   in Loop: Header=BB2_130 Depth=2
	s_xor_b32 s14, exec_lo, -1
; %bb.688:                              ;   in Loop: Header=BB2_130 Depth=2
	s_or_b32 exec_lo, exec_lo, s41
	s_and_b32 s14, s14, exec_lo
	s_or_saveexec_b32 s40, s40
	v_mov_b32_e32 v45, 0x7f800001
	s_xor_b32 exec_lo, exec_lo, s40
	s_cbranch_execnz .LBB2_829
.LBB2_689:                              ;   in Loop: Header=BB2_130 Depth=2
	s_or_b32 exec_lo, exec_lo, s40
	s_and_saveexec_b32 s40, s14
	s_cbranch_execz .LBB2_691
.LBB2_690:                              ;   in Loop: Header=BB2_130 Depth=2
	v_bfe_u32 v10, v17, 24, 2
	v_bfe_u32 v45, v17, 26, 5
	v_ffbh_u32_e32 v11, v10
	v_cmp_eq_u32_e32 vcc_lo, 0, v45
	v_min_u32_e32 v11, 32, v11
	v_subrev_nc_u32_e32 v12, 29, v11
	v_sub_nc_u32_e32 v11, 30, v11
	v_lshlrev_b32_sdwa v12, v12, v17 dst_sel:DWORD dst_unused:UNUSED_PAD src0_sel:DWORD src1_sel:BYTE_3
	v_cndmask_b32_e32 v11, v45, v11, vcc_lo
	v_and_b32_e32 v12, 3, v12
	v_lshl_add_u32 v11, v11, 23, 0x37800000
	v_cndmask_b32_e32 v10, v10, v12, vcc_lo
	v_and_b32_e32 v12, 0x80000000, v17
	v_lshlrev_b32_e32 v10, 21, v10
	v_or3_b32 v45, v12, v11, v10
.LBB2_691:                              ;   in Loop: Header=BB2_130 Depth=2
	s_or_b32 exec_lo, exec_lo, s40
	v_cmp_gt_i16_sdwa s40, v13, v96 src0_sel:BYTE_3 src1_sel:DWORD
	s_mov_b32 s14, 0
	s_and_saveexec_b32 s41, s40
	s_xor_b32 s40, exec_lo, s41
	s_cbranch_execz .LBB2_830
; %bb.692:                              ;   in Loop: Header=BB2_130 Depth=2
	v_cmp_eq_u16_sdwa s42, v13, v97 src0_sel:BYTE_3 src1_sel:DWORD
	s_mov_b32 s14, -1
	s_and_saveexec_b32 s41, s42
; %bb.693:                              ;   in Loop: Header=BB2_130 Depth=2
	s_xor_b32 s14, exec_lo, -1
; %bb.694:                              ;   in Loop: Header=BB2_130 Depth=2
	s_or_b32 exec_lo, exec_lo, s41
	s_and_b32 s14, s14, exec_lo
                                        ; implicit-def: $vgpr10_vgpr11_vgpr12_vgpr13
	s_or_saveexec_b32 s40, s40
	v_mov_b32_e32 v10, 0x7f800001
	s_xor_b32 exec_lo, exec_lo, s40
	s_cbranch_execnz .LBB2_831
.LBB2_695:                              ;   in Loop: Header=BB2_130 Depth=2
	s_or_b32 exec_lo, exec_lo, s40
	s_and_saveexec_b32 s40, s14
.LBB2_696:                              ;   in Loop: Header=BB2_130 Depth=2
	v_mov_b32_e32 v10, v44
.LBB2_697:                              ;   in Loop: Header=BB2_130 Depth=2
	s_or_b32 exec_lo, exec_lo, s40
	v_max_f32_e32 v10, v10, v10
	v_max_f32_e32 v11, v45, v45
	v_min_f32_e32 v10, v11, v10
.LBB2_698:                              ;   in Loop: Header=BB2_130 Depth=2
	v_and_b32_e32 v11, 0x7f800000, v10
	v_cmp_ne_u32_e32 vcc_lo, 0x7f800000, v11
	v_mov_b32_e32 v11, 0x8000
	s_and_saveexec_b32 s40, vcc_lo
	s_cbranch_execz .LBB2_129
; %bb.699:                              ;   in Loop: Header=BB2_130 Depth=2
	v_mov_b32_e32 v11, 0
	s_mov_b32 s41, exec_lo
	v_cmpx_ne_u32_e32 0, v10
	s_cbranch_execz .LBB2_128
; %bb.700:                              ;   in Loop: Header=BB2_130 Depth=2
	v_bfe_u32 v11, v10, 23, 8
	v_and_b32_e32 v12, 0x7fffff, v10
	v_sub_nc_u32_e32 v13, 0x70, v11
	v_cmp_gt_u32_e32 vcc_lo, 0x71, v11
	v_or_b32_e32 v17, 0x800000, v12
	v_cndmask_b32_e32 v13, 0, v13, vcc_lo
	v_cmp_eq_u32_e32 vcc_lo, 0, v11
	v_add_nc_u32_e32 v11, 0xffffff91, v11
	v_cndmask_b32_e64 v13, v13, 0x6f, vcc_lo
	v_cndmask_b32_e32 v12, v17, v12, vcc_lo
	v_cndmask_b32_e64 v11, v11, 0xffffff92, vcc_lo
	v_lshl_add_u32 v17, 0x200000, v13, -1
	v_lshrrev_b32_e32 v44, v13, v12
	v_lshlrev_b32_e64 v46, v13, 0x100000
	v_add_nc_u32_e32 v13, v13, v11
	v_and_b32_e32 v12, v17, v12
	v_bfe_u32 v45, v44, 21, 1
	v_cmp_eq_u32_e64 s14, v12, v46
	v_add_nc_u32_e32 v17, -1, v45
	v_cndmask_b32_e64 v12, 0, v17, s14
	v_lshrrev_b32_e32 v17, 23, v44
	s_mov_b32 s14, exec_lo
	v_add_nc_u32_e32 v12, v12, v44
	v_xor_b32_e32 v17, 1, v17
	v_and_b32_e32 v11, 0x1fffff, v12
	v_add_nc_u32_e32 v12, v11, v44
                                        ; implicit-def: $vgpr11
	v_cmpx_ne_u32_e64 v13, v17
	s_xor_b32 s14, exec_lo, s14
; %bb.701:                              ;   in Loop: Header=BB2_130 Depth=2
	v_cmp_lt_u32_e32 vcc_lo, 0xffffff, v12
	v_sub_nc_u32_e32 v11, v13, v17
	v_cndmask_b32_e64 v13, 0, 1, vcc_lo
	v_add_co_ci_u32_e64 v11, null, 0, v11, vcc_lo
	v_lshrrev_b32_e32 v12, v13, v12
; %bb.702:                              ;   in Loop: Header=BB2_130 Depth=2
	s_andn2_saveexec_b32 s14, s14
	s_cbranch_execz .LBB2_127
; %bb.703:                              ;   in Loop: Header=BB2_130 Depth=2
	v_bfe_u32 v11, v12, 23, 1
	s_branch .LBB2_127
.LBB2_704:                              ;   in Loop: Header=BB2_130 Depth=2
	s_or_saveexec_b32 s40, s40
	v_mov_b32_e32 v113, 0x7f800001
	s_xor_b32 exec_lo, exec_lo, s40
	s_cbranch_execz .LBB2_135
.LBB2_705:                              ;   in Loop: Header=BB2_130 Depth=2
	v_cmp_ne_u16_sdwa s41, v14, v36 src0_sel:BYTE_0 src1_sel:DWORD
	v_mov_b32_e32 v113, 0
	s_andn2_b32 s14, s14, exec_lo
	s_and_b32 s41, s41, exec_lo
	s_or_b32 s14, s14, s41
	s_or_b32 exec_lo, exec_lo, s40
	s_and_saveexec_b32 s40, s14
	s_cbranch_execnz .LBB2_136
	s_branch .LBB2_137
.LBB2_706:                              ;   in Loop: Header=BB2_130 Depth=2
	s_or_saveexec_b32 s40, s40
	v_mov_b32_e32 v114, 0x7f800001
	s_xor_b32 exec_lo, exec_lo, s40
	s_cbranch_execz .LBB2_141
.LBB2_707:                              ;   in Loop: Header=BB2_130 Depth=2
	v_cmp_ne_u16_sdwa s41, v10, v36 src0_sel:BYTE_0 src1_sel:DWORD
	v_mov_b32_e32 v114, 0
	s_andn2_b32 s14, s14, exec_lo
	s_and_b32 s41, s41, exec_lo
	s_or_b32 s14, s14, s41
	s_or_b32 exec_lo, exec_lo, s40
	s_and_saveexec_b32 s40, s14
	s_cbranch_execnz .LBB2_142
	s_branch .LBB2_143
.LBB2_708:                              ;   in Loop: Header=BB2_130 Depth=2
	s_or_saveexec_b32 s40, s40
	v_mov_b32_e32 v113, 0x7f800001
	s_xor_b32 exec_lo, exec_lo, s40
	s_cbranch_execz .LBB2_149
.LBB2_709:                              ;   in Loop: Header=BB2_130 Depth=2
	v_cmp_ne_u16_sdwa s41, v14, v36 src0_sel:BYTE_0 src1_sel:DWORD
	v_mov_b32_e32 v113, 0
	s_andn2_b32 s14, s14, exec_lo
	s_and_b32 s41, s41, exec_lo
	s_or_b32 s14, s14, s41
	s_or_b32 exec_lo, exec_lo, s40
	s_and_saveexec_b32 s40, s14
	s_cbranch_execnz .LBB2_150
	s_branch .LBB2_151
.LBB2_710:                              ;   in Loop: Header=BB2_130 Depth=2
	s_or_saveexec_b32 s40, s40
	v_mov_b32_e32 v114, 0x7f800001
	s_xor_b32 exec_lo, exec_lo, s40
	s_cbranch_execz .LBB2_155
.LBB2_711:                              ;   in Loop: Header=BB2_130 Depth=2
	v_cmp_ne_u16_sdwa s41, v10, v36 src0_sel:BYTE_0 src1_sel:DWORD
	v_mov_b32_e32 v114, 0
	s_andn2_b32 s14, s14, exec_lo
	s_and_b32 s41, s41, exec_lo
	s_or_b32 s14, s14, s41
	s_or_b32 exec_lo, exec_lo, s40
	s_and_saveexec_b32 s40, s14
	s_cbranch_execnz .LBB2_156
	s_branch .LBB2_157
.LBB2_712:                              ;   in Loop: Header=BB2_130 Depth=2
	s_or_saveexec_b32 s40, s40
	v_mov_b32_e32 v114, 0x7f800001
	s_xor_b32 exec_lo, exec_lo, s40
	s_cbranch_execz .LBB2_171
.LBB2_713:                              ;   in Loop: Header=BB2_130 Depth=2
	v_cmp_ne_u16_sdwa s41, v14, v36 src0_sel:BYTE_1 src1_sel:DWORD
	v_mov_b32_e32 v114, 0
	s_andn2_b32 s14, s14, exec_lo
	s_and_b32 s41, s41, exec_lo
	s_or_b32 s14, s14, s41
	s_or_b32 exec_lo, exec_lo, s40
	s_and_saveexec_b32 s40, s14
	s_cbranch_execnz .LBB2_172
	s_branch .LBB2_173
.LBB2_714:                              ;   in Loop: Header=BB2_130 Depth=2
	s_or_saveexec_b32 s40, s40
	v_mov_b32_e32 v115, 0x7f800001
	s_xor_b32 exec_lo, exec_lo, s40
	s_cbranch_execz .LBB2_177
.LBB2_715:                              ;   in Loop: Header=BB2_130 Depth=2
	v_cmp_ne_u16_sdwa s41, v10, v36 src0_sel:BYTE_1 src1_sel:DWORD
	v_mov_b32_e32 v115, 0
	s_andn2_b32 s14, s14, exec_lo
	s_and_b32 s41, s41, exec_lo
	s_or_b32 s14, s14, s41
	s_or_b32 exec_lo, exec_lo, s40
	s_and_saveexec_b32 s40, s14
	s_cbranch_execnz .LBB2_178
	s_branch .LBB2_179
.LBB2_716:                              ;   in Loop: Header=BB2_130 Depth=2
	s_or_saveexec_b32 s40, s40
	v_mov_b32_e32 v114, 0x7f800001
	s_xor_b32 exec_lo, exec_lo, s40
	s_cbranch_execz .LBB2_185
.LBB2_717:                              ;   in Loop: Header=BB2_130 Depth=2
	v_cmp_ne_u16_sdwa s41, v14, v36 src0_sel:BYTE_1 src1_sel:DWORD
	v_mov_b32_e32 v114, 0
	s_andn2_b32 s14, s14, exec_lo
	s_and_b32 s41, s41, exec_lo
	s_or_b32 s14, s14, s41
	s_or_b32 exec_lo, exec_lo, s40
	s_and_saveexec_b32 s40, s14
	s_cbranch_execnz .LBB2_186
	s_branch .LBB2_187
.LBB2_718:                              ;   in Loop: Header=BB2_130 Depth=2
	s_or_saveexec_b32 s40, s40
	v_mov_b32_e32 v115, 0x7f800001
	s_xor_b32 exec_lo, exec_lo, s40
	s_cbranch_execz .LBB2_191
.LBB2_719:                              ;   in Loop: Header=BB2_130 Depth=2
	v_cmp_ne_u16_sdwa s41, v10, v36 src0_sel:BYTE_1 src1_sel:DWORD
	v_mov_b32_e32 v115, 0
	s_andn2_b32 s14, s14, exec_lo
	s_and_b32 s41, s41, exec_lo
	s_or_b32 s14, s14, s41
	s_or_b32 exec_lo, exec_lo, s40
	s_and_saveexec_b32 s40, s14
	s_cbranch_execnz .LBB2_192
	s_branch .LBB2_193
.LBB2_720:                              ;   in Loop: Header=BB2_130 Depth=2
	s_or_saveexec_b32 s14, s14
	v_mov_b32_e32 v116, 0x7f800001
	s_xor_b32 exec_lo, exec_lo, s14
	s_cbranch_execz .LBB2_207
.LBB2_721:                              ;   in Loop: Header=BB2_130 Depth=2
	v_cmp_ne_u16_e32 vcc_lo, 0, v115
	v_mov_b32_e32 v116, 0
	s_andn2_b32 s40, s40, exec_lo
	s_and_b32 s41, vcc_lo, exec_lo
	s_or_b32 s40, s40, s41
	s_or_b32 exec_lo, exec_lo, s14
	s_and_saveexec_b32 s14, s40
	s_cbranch_execnz .LBB2_208
	s_branch .LBB2_209
.LBB2_722:                              ;   in Loop: Header=BB2_130 Depth=2
	s_or_saveexec_b32 s40, s40
	v_mov_b32_e32 v117, 0x7f800001
	s_xor_b32 exec_lo, exec_lo, s40
	s_cbranch_execz .LBB2_213
.LBB2_723:                              ;   in Loop: Header=BB2_130 Depth=2
	v_cmp_ne_u16_e32 vcc_lo, 0, v118
	v_mov_b32_e32 v117, 0
	s_andn2_b32 s14, s14, exec_lo
	s_and_b32 s41, vcc_lo, exec_lo
	s_or_b32 s14, s14, s41
	s_or_b32 exec_lo, exec_lo, s40
	s_and_saveexec_b32 s40, s14
	s_cbranch_execnz .LBB2_214
	s_branch .LBB2_215
.LBB2_724:                              ;   in Loop: Header=BB2_130 Depth=2
	s_or_saveexec_b32 s40, s40
	v_mov_b32_e32 v116, 0x7f800001
	s_xor_b32 exec_lo, exec_lo, s40
	s_cbranch_execz .LBB2_221
.LBB2_725:                              ;   in Loop: Header=BB2_130 Depth=2
	v_cmp_ne_u16_e32 vcc_lo, 0, v115
	v_mov_b32_e32 v116, 0
	s_andn2_b32 s14, s14, exec_lo
	s_and_b32 s41, vcc_lo, exec_lo
	s_or_b32 s14, s14, s41
	s_or_b32 exec_lo, exec_lo, s40
	s_and_saveexec_b32 s40, s14
	s_cbranch_execnz .LBB2_222
	s_branch .LBB2_223
.LBB2_726:                              ;   in Loop: Header=BB2_130 Depth=2
	s_or_saveexec_b32 s40, s40
	v_mov_b32_e32 v115, 0x7f800001
	s_xor_b32 exec_lo, exec_lo, s40
	s_cbranch_execz .LBB2_227
.LBB2_727:                              ;   in Loop: Header=BB2_130 Depth=2
	v_cmp_ne_u16_e32 vcc_lo, 0, v117
	v_mov_b32_e32 v115, 0
	s_andn2_b32 s14, s14, exec_lo
	s_and_b32 s41, vcc_lo, exec_lo
	s_or_b32 s14, s14, s41
	s_or_b32 exec_lo, exec_lo, s40
	s_and_saveexec_b32 s40, s14
	s_cbranch_execnz .LBB2_228
	s_branch .LBB2_229
.LBB2_728:                              ;   in Loop: Header=BB2_130 Depth=2
	s_or_saveexec_b32 s40, s40
	v_mov_b32_e32 v116, 0x7f800001
	s_xor_b32 exec_lo, exec_lo, s40
	s_cbranch_execz .LBB2_243
.LBB2_729:                              ;   in Loop: Header=BB2_130 Depth=2
	v_cmp_ne_u16_sdwa s41, v14, v36 src0_sel:BYTE_3 src1_sel:DWORD
	v_mov_b32_e32 v116, 0
	s_andn2_b32 s14, s14, exec_lo
	s_and_b32 s41, s41, exec_lo
	s_or_b32 s14, s14, s41
	s_or_b32 exec_lo, exec_lo, s40
	s_and_saveexec_b32 s40, s14
	s_cbranch_execnz .LBB2_244
	s_branch .LBB2_245
.LBB2_730:                              ;   in Loop: Header=BB2_130 Depth=2
	s_or_saveexec_b32 s40, s40
	v_mov_b32_e32 v117, 0x7f800001
	s_xor_b32 exec_lo, exec_lo, s40
	s_cbranch_execz .LBB2_249
.LBB2_731:                              ;   in Loop: Header=BB2_130 Depth=2
	v_cmp_ne_u16_sdwa s41, v10, v36 src0_sel:BYTE_3 src1_sel:DWORD
	v_mov_b32_e32 v117, 0
	s_andn2_b32 s14, s14, exec_lo
	s_and_b32 s41, s41, exec_lo
	s_or_b32 s14, s14, s41
	s_or_b32 exec_lo, exec_lo, s40
	s_and_saveexec_b32 s40, s14
	s_cbranch_execnz .LBB2_250
	s_branch .LBB2_251
.LBB2_732:                              ;   in Loop: Header=BB2_130 Depth=2
	s_or_saveexec_b32 s40, s40
	v_mov_b32_e32 v116, 0x7f800001
	s_xor_b32 exec_lo, exec_lo, s40
	s_cbranch_execz .LBB2_257
.LBB2_733:                              ;   in Loop: Header=BB2_130 Depth=2
	v_cmp_ne_u16_sdwa s41, v14, v36 src0_sel:BYTE_3 src1_sel:DWORD
	v_mov_b32_e32 v116, 0
	s_andn2_b32 s14, s14, exec_lo
	s_and_b32 s41, s41, exec_lo
	s_or_b32 s14, s14, s41
	s_or_b32 exec_lo, exec_lo, s40
	s_and_saveexec_b32 s40, s14
	s_cbranch_execnz .LBB2_258
	s_branch .LBB2_259
.LBB2_734:                              ;   in Loop: Header=BB2_130 Depth=2
	s_or_saveexec_b32 s40, s40
	v_mov_b32_e32 v14, 0x7f800001
	s_xor_b32 exec_lo, exec_lo, s40
	s_cbranch_execz .LBB2_263
.LBB2_735:                              ;   in Loop: Header=BB2_130 Depth=2
	v_cmp_ne_u16_sdwa s41, v10, v36 src0_sel:BYTE_3 src1_sel:DWORD
	v_mov_b32_e32 v14, 0
	s_andn2_b32 s14, s14, exec_lo
	s_and_b32 s41, s41, exec_lo
	s_or_b32 s14, s14, s41
	s_or_b32 exec_lo, exec_lo, s40
	s_and_saveexec_b32 s40, s14
	s_cbranch_execnz .LBB2_264
	s_branch .LBB2_265
.LBB2_736:                              ;   in Loop: Header=BB2_130 Depth=2
	s_or_saveexec_b32 s40, s40
	v_mov_b32_e32 v115, 0x7f800001
	s_xor_b32 exec_lo, exec_lo, s40
	s_cbranch_execz .LBB2_279
.LBB2_737:                              ;   in Loop: Header=BB2_130 Depth=2
	v_cmp_ne_u16_sdwa s41, v15, v36 src0_sel:BYTE_0 src1_sel:DWORD
	v_mov_b32_e32 v115, 0
	s_andn2_b32 s14, s14, exec_lo
	s_and_b32 s41, s41, exec_lo
	s_or_b32 s14, s14, s41
	s_or_b32 exec_lo, exec_lo, s40
	s_and_saveexec_b32 s40, s14
	s_cbranch_execnz .LBB2_280
	s_branch .LBB2_281
.LBB2_738:                              ;   in Loop: Header=BB2_130 Depth=2
	s_or_saveexec_b32 s40, s40
	v_mov_b32_e32 v116, 0x7f800001
	s_xor_b32 exec_lo, exec_lo, s40
	s_cbranch_execz .LBB2_285
.LBB2_739:                              ;   in Loop: Header=BB2_130 Depth=2
	v_cmp_ne_u16_sdwa s41, v11, v36 src0_sel:BYTE_0 src1_sel:DWORD
	v_mov_b32_e32 v116, 0
	s_andn2_b32 s14, s14, exec_lo
	s_and_b32 s41, s41, exec_lo
	s_or_b32 s14, s14, s41
	s_or_b32 exec_lo, exec_lo, s40
	s_and_saveexec_b32 s40, s14
	s_cbranch_execnz .LBB2_286
	s_branch .LBB2_287
.LBB2_740:                              ;   in Loop: Header=BB2_130 Depth=2
	s_or_saveexec_b32 s40, s40
	v_mov_b32_e32 v115, 0x7f800001
	s_xor_b32 exec_lo, exec_lo, s40
	s_cbranch_execz .LBB2_293
.LBB2_741:                              ;   in Loop: Header=BB2_130 Depth=2
	v_cmp_ne_u16_sdwa s41, v15, v36 src0_sel:BYTE_0 src1_sel:DWORD
	v_mov_b32_e32 v115, 0
	s_andn2_b32 s14, s14, exec_lo
	s_and_b32 s41, s41, exec_lo
	s_or_b32 s14, s14, s41
	s_or_b32 exec_lo, exec_lo, s40
	s_and_saveexec_b32 s40, s14
	s_cbranch_execnz .LBB2_294
	s_branch .LBB2_295
.LBB2_742:                              ;   in Loop: Header=BB2_130 Depth=2
	s_or_saveexec_b32 s40, s40
	v_mov_b32_e32 v116, 0x7f800001
	s_xor_b32 exec_lo, exec_lo, s40
	s_cbranch_execz .LBB2_299
.LBB2_743:                              ;   in Loop: Header=BB2_130 Depth=2
	v_cmp_ne_u16_sdwa s41, v11, v36 src0_sel:BYTE_0 src1_sel:DWORD
	v_mov_b32_e32 v116, 0
	s_andn2_b32 s14, s14, exec_lo
	s_and_b32 s41, s41, exec_lo
	s_or_b32 s14, s14, s41
	s_or_b32 exec_lo, exec_lo, s40
	s_and_saveexec_b32 s40, s14
	s_cbranch_execnz .LBB2_300
	s_branch .LBB2_301
.LBB2_744:                              ;   in Loop: Header=BB2_130 Depth=2
	s_or_saveexec_b32 s40, s40
	v_mov_b32_e32 v116, 0x7f800001
	s_xor_b32 exec_lo, exec_lo, s40
	s_cbranch_execz .LBB2_315
.LBB2_745:                              ;   in Loop: Header=BB2_130 Depth=2
	v_cmp_ne_u16_sdwa s41, v15, v36 src0_sel:BYTE_1 src1_sel:DWORD
	v_mov_b32_e32 v116, 0
	s_andn2_b32 s14, s14, exec_lo
	s_and_b32 s41, s41, exec_lo
	s_or_b32 s14, s14, s41
	s_or_b32 exec_lo, exec_lo, s40
	s_and_saveexec_b32 s40, s14
	s_cbranch_execnz .LBB2_316
	s_branch .LBB2_317
.LBB2_746:                              ;   in Loop: Header=BB2_130 Depth=2
	s_or_saveexec_b32 s40, s40
	v_mov_b32_e32 v117, 0x7f800001
	s_xor_b32 exec_lo, exec_lo, s40
	s_cbranch_execz .LBB2_321
.LBB2_747:                              ;   in Loop: Header=BB2_130 Depth=2
	v_cmp_ne_u16_sdwa s41, v11, v36 src0_sel:BYTE_1 src1_sel:DWORD
	v_mov_b32_e32 v117, 0
	s_andn2_b32 s14, s14, exec_lo
	s_and_b32 s41, s41, exec_lo
	s_or_b32 s14, s14, s41
	s_or_b32 exec_lo, exec_lo, s40
	s_and_saveexec_b32 s40, s14
	s_cbranch_execnz .LBB2_322
	s_branch .LBB2_323
.LBB2_748:                              ;   in Loop: Header=BB2_130 Depth=2
	s_or_saveexec_b32 s40, s40
	v_mov_b32_e32 v116, 0x7f800001
	s_xor_b32 exec_lo, exec_lo, s40
	s_cbranch_execz .LBB2_329
.LBB2_749:                              ;   in Loop: Header=BB2_130 Depth=2
	v_cmp_ne_u16_sdwa s41, v15, v36 src0_sel:BYTE_1 src1_sel:DWORD
	v_mov_b32_e32 v116, 0
	s_andn2_b32 s14, s14, exec_lo
	s_and_b32 s41, s41, exec_lo
	s_or_b32 s14, s14, s41
	s_or_b32 exec_lo, exec_lo, s40
	s_and_saveexec_b32 s40, s14
	s_cbranch_execnz .LBB2_330
	s_branch .LBB2_331
.LBB2_750:                              ;   in Loop: Header=BB2_130 Depth=2
	s_or_saveexec_b32 s40, s40
	v_mov_b32_e32 v117, 0x7f800001
	s_xor_b32 exec_lo, exec_lo, s40
	s_cbranch_execz .LBB2_335
.LBB2_751:                              ;   in Loop: Header=BB2_130 Depth=2
	v_cmp_ne_u16_sdwa s41, v11, v36 src0_sel:BYTE_1 src1_sel:DWORD
	v_mov_b32_e32 v117, 0
	s_andn2_b32 s14, s14, exec_lo
	s_and_b32 s41, s41, exec_lo
	s_or_b32 s14, s14, s41
	s_or_b32 exec_lo, exec_lo, s40
	s_and_saveexec_b32 s40, s14
	s_cbranch_execnz .LBB2_336
	s_branch .LBB2_337
.LBB2_752:                              ;   in Loop: Header=BB2_130 Depth=2
	s_or_saveexec_b32 s14, s14
	v_mov_b32_e32 v118, 0x7f800001
	s_xor_b32 exec_lo, exec_lo, s14
	s_cbranch_execz .LBB2_351
.LBB2_753:                              ;   in Loop: Header=BB2_130 Depth=2
	v_cmp_ne_u16_e32 vcc_lo, 0, v117
	v_mov_b32_e32 v118, 0
	s_andn2_b32 s40, s40, exec_lo
	s_and_b32 s41, vcc_lo, exec_lo
	s_or_b32 s40, s40, s41
	s_or_b32 exec_lo, exec_lo, s14
	s_and_saveexec_b32 s14, s40
	s_cbranch_execnz .LBB2_352
	s_branch .LBB2_353
.LBB2_754:                              ;   in Loop: Header=BB2_130 Depth=2
	s_or_saveexec_b32 s40, s40
	v_mov_b32_e32 v119, 0x7f800001
	s_xor_b32 exec_lo, exec_lo, s40
	s_cbranch_execz .LBB2_357
.LBB2_755:                              ;   in Loop: Header=BB2_130 Depth=2
	v_cmp_ne_u16_e32 vcc_lo, 0, v40
	v_mov_b32_e32 v119, 0
	s_andn2_b32 s14, s14, exec_lo
	s_and_b32 s41, vcc_lo, exec_lo
	s_or_b32 s14, s14, s41
	s_or_b32 exec_lo, exec_lo, s40
	s_and_saveexec_b32 s40, s14
	s_cbranch_execnz .LBB2_358
	s_branch .LBB2_359
.LBB2_756:                              ;   in Loop: Header=BB2_130 Depth=2
	s_or_saveexec_b32 s40, s40
	v_mov_b32_e32 v118, 0x7f800001
	s_xor_b32 exec_lo, exec_lo, s40
	s_cbranch_execz .LBB2_365
.LBB2_757:                              ;   in Loop: Header=BB2_130 Depth=2
	v_cmp_ne_u16_e32 vcc_lo, 0, v117
	v_mov_b32_e32 v118, 0
	s_andn2_b32 s14, s14, exec_lo
	s_and_b32 s41, vcc_lo, exec_lo
	s_or_b32 s14, s14, s41
	s_or_b32 exec_lo, exec_lo, s40
	s_and_saveexec_b32 s40, s14
	s_cbranch_execnz .LBB2_366
	s_branch .LBB2_367
.LBB2_758:                              ;   in Loop: Header=BB2_130 Depth=2
	s_or_saveexec_b32 s40, s40
	v_mov_b32_e32 v117, 0x7f800001
	s_xor_b32 exec_lo, exec_lo, s40
	s_cbranch_execz .LBB2_371
.LBB2_759:                              ;   in Loop: Header=BB2_130 Depth=2
	v_cmp_ne_u16_e32 vcc_lo, 0, v119
	v_mov_b32_e32 v117, 0
	s_andn2_b32 s14, s14, exec_lo
	s_and_b32 s41, vcc_lo, exec_lo
	s_or_b32 s14, s14, s41
	s_or_b32 exec_lo, exec_lo, s40
	s_and_saveexec_b32 s40, s14
	s_cbranch_execnz .LBB2_372
	s_branch .LBB2_373
.LBB2_760:                              ;   in Loop: Header=BB2_130 Depth=2
	s_or_saveexec_b32 s40, s40
	v_mov_b32_e32 v118, 0x7f800001
	s_xor_b32 exec_lo, exec_lo, s40
	s_cbranch_execz .LBB2_387
.LBB2_761:                              ;   in Loop: Header=BB2_130 Depth=2
	v_cmp_ne_u16_sdwa s41, v15, v36 src0_sel:BYTE_3 src1_sel:DWORD
	v_mov_b32_e32 v118, 0
	s_andn2_b32 s14, s14, exec_lo
	s_and_b32 s41, s41, exec_lo
	s_or_b32 s14, s14, s41
	s_or_b32 exec_lo, exec_lo, s40
	s_and_saveexec_b32 s40, s14
	s_cbranch_execnz .LBB2_388
	s_branch .LBB2_389
.LBB2_762:                              ;   in Loop: Header=BB2_130 Depth=2
	s_or_saveexec_b32 s40, s40
	v_mov_b32_e32 v119, 0x7f800001
	s_xor_b32 exec_lo, exec_lo, s40
	s_cbranch_execz .LBB2_393
.LBB2_763:                              ;   in Loop: Header=BB2_130 Depth=2
	v_cmp_ne_u16_sdwa s41, v11, v36 src0_sel:BYTE_3 src1_sel:DWORD
	v_mov_b32_e32 v119, 0
	s_andn2_b32 s14, s14, exec_lo
	s_and_b32 s41, s41, exec_lo
	s_or_b32 s14, s14, s41
	s_or_b32 exec_lo, exec_lo, s40
	s_and_saveexec_b32 s40, s14
	s_cbranch_execnz .LBB2_394
	s_branch .LBB2_395
.LBB2_764:                              ;   in Loop: Header=BB2_130 Depth=2
	s_or_saveexec_b32 s40, s40
	v_mov_b32_e32 v118, 0x7f800001
	s_xor_b32 exec_lo, exec_lo, s40
	s_cbranch_execz .LBB2_401
.LBB2_765:                              ;   in Loop: Header=BB2_130 Depth=2
	v_cmp_ne_u16_sdwa s41, v15, v36 src0_sel:BYTE_3 src1_sel:DWORD
	v_mov_b32_e32 v118, 0
	s_andn2_b32 s14, s14, exec_lo
	s_and_b32 s41, s41, exec_lo
	s_or_b32 s14, s14, s41
	s_or_b32 exec_lo, exec_lo, s40
	s_and_saveexec_b32 s40, s14
	s_cbranch_execnz .LBB2_402
	s_branch .LBB2_403
.LBB2_766:                              ;   in Loop: Header=BB2_130 Depth=2
	s_or_saveexec_b32 s40, s40
	v_mov_b32_e32 v15, 0x7f800001
	s_xor_b32 exec_lo, exec_lo, s40
	s_cbranch_execz .LBB2_407
.LBB2_767:                              ;   in Loop: Header=BB2_130 Depth=2
	v_cmp_ne_u16_sdwa s41, v11, v36 src0_sel:BYTE_3 src1_sel:DWORD
	v_mov_b32_e32 v15, 0
	s_andn2_b32 s14, s14, exec_lo
	s_and_b32 s41, s41, exec_lo
	s_or_b32 s14, s14, s41
	s_or_b32 exec_lo, exec_lo, s40
	s_and_saveexec_b32 s40, s14
	s_cbranch_execnz .LBB2_408
	s_branch .LBB2_409
.LBB2_768:                              ;   in Loop: Header=BB2_130 Depth=2
	s_or_saveexec_b32 s40, s40
	v_mov_b32_e32 v11, 0x7f800001
	s_xor_b32 exec_lo, exec_lo, s40
	s_cbranch_execz .LBB2_423
.LBB2_769:                              ;   in Loop: Header=BB2_130 Depth=2
	v_cmp_ne_u16_sdwa s41, v16, v36 src0_sel:BYTE_0 src1_sel:DWORD
	v_mov_b32_e32 v11, 0
	s_andn2_b32 s14, s14, exec_lo
	s_and_b32 s41, s41, exec_lo
	s_or_b32 s14, s14, s41
	s_or_b32 exec_lo, exec_lo, s40
	s_and_saveexec_b32 s40, s14
	s_cbranch_execnz .LBB2_424
	s_branch .LBB2_425
.LBB2_770:                              ;   in Loop: Header=BB2_130 Depth=2
	s_or_saveexec_b32 s40, s40
	v_mov_b32_e32 v118, 0x7f800001
	s_xor_b32 exec_lo, exec_lo, s40
	s_cbranch_execz .LBB2_429
.LBB2_771:                              ;   in Loop: Header=BB2_130 Depth=2
	v_cmp_ne_u16_sdwa s41, v12, v36 src0_sel:BYTE_0 src1_sel:DWORD
	v_mov_b32_e32 v118, 0
	s_andn2_b32 s14, s14, exec_lo
	s_and_b32 s41, s41, exec_lo
	s_or_b32 s14, s14, s41
	s_or_b32 exec_lo, exec_lo, s40
	s_and_saveexec_b32 s40, s14
	s_cbranch_execnz .LBB2_430
	s_branch .LBB2_431
.LBB2_772:                              ;   in Loop: Header=BB2_130 Depth=2
	s_or_saveexec_b32 s40, s40
	v_mov_b32_e32 v11, 0x7f800001
	s_xor_b32 exec_lo, exec_lo, s40
	s_cbranch_execz .LBB2_437
.LBB2_773:                              ;   in Loop: Header=BB2_130 Depth=2
	v_cmp_ne_u16_sdwa s41, v16, v36 src0_sel:BYTE_0 src1_sel:DWORD
	v_mov_b32_e32 v11, 0
	s_andn2_b32 s14, s14, exec_lo
	s_and_b32 s41, s41, exec_lo
	s_or_b32 s14, s14, s41
	s_or_b32 exec_lo, exec_lo, s40
	s_and_saveexec_b32 s40, s14
	s_cbranch_execnz .LBB2_438
	s_branch .LBB2_439
.LBB2_774:                              ;   in Loop: Header=BB2_130 Depth=2
	s_or_saveexec_b32 s40, s40
	v_mov_b32_e32 v118, 0x7f800001
	s_xor_b32 exec_lo, exec_lo, s40
	s_cbranch_execz .LBB2_443
.LBB2_775:                              ;   in Loop: Header=BB2_130 Depth=2
	v_cmp_ne_u16_sdwa s41, v12, v36 src0_sel:BYTE_0 src1_sel:DWORD
	v_mov_b32_e32 v118, 0
	s_andn2_b32 s14, s14, exec_lo
	s_and_b32 s41, s41, exec_lo
	s_or_b32 s14, s14, s41
	s_or_b32 exec_lo, exec_lo, s40
	s_and_saveexec_b32 s40, s14
	s_cbranch_execnz .LBB2_444
	s_branch .LBB2_445
.LBB2_776:                              ;   in Loop: Header=BB2_130 Depth=2
	s_or_saveexec_b32 s40, s40
	v_mov_b32_e32 v11, 0x7f800001
	s_xor_b32 exec_lo, exec_lo, s40
	s_cbranch_execz .LBB2_459
.LBB2_777:                              ;   in Loop: Header=BB2_130 Depth=2
	v_cmp_ne_u16_sdwa s41, v16, v36 src0_sel:BYTE_1 src1_sel:DWORD
	v_mov_b32_e32 v11, 0
	s_andn2_b32 s14, s14, exec_lo
	s_and_b32 s41, s41, exec_lo
	s_or_b32 s14, s14, s41
	s_or_b32 exec_lo, exec_lo, s40
	s_and_saveexec_b32 s40, s14
	s_cbranch_execnz .LBB2_460
	s_branch .LBB2_461
.LBB2_778:                              ;   in Loop: Header=BB2_130 Depth=2
	s_or_saveexec_b32 s40, s40
	v_mov_b32_e32 v119, 0x7f800001
	s_xor_b32 exec_lo, exec_lo, s40
	s_cbranch_execz .LBB2_465
.LBB2_779:                              ;   in Loop: Header=BB2_130 Depth=2
	v_cmp_ne_u16_sdwa s41, v12, v36 src0_sel:BYTE_1 src1_sel:DWORD
	v_mov_b32_e32 v119, 0
	s_andn2_b32 s14, s14, exec_lo
	s_and_b32 s41, s41, exec_lo
	s_or_b32 s14, s14, s41
	s_or_b32 exec_lo, exec_lo, s40
	s_and_saveexec_b32 s40, s14
	s_cbranch_execnz .LBB2_466
	s_branch .LBB2_467
.LBB2_780:                              ;   in Loop: Header=BB2_130 Depth=2
	s_or_saveexec_b32 s40, s40
	v_mov_b32_e32 v11, 0x7f800001
	s_xor_b32 exec_lo, exec_lo, s40
	s_cbranch_execz .LBB2_473
.LBB2_781:                              ;   in Loop: Header=BB2_130 Depth=2
	v_cmp_ne_u16_sdwa s41, v16, v36 src0_sel:BYTE_1 src1_sel:DWORD
	v_mov_b32_e32 v11, 0
	s_andn2_b32 s14, s14, exec_lo
	s_and_b32 s41, s41, exec_lo
	s_or_b32 s14, s14, s41
	s_or_b32 exec_lo, exec_lo, s40
	s_and_saveexec_b32 s40, s14
	s_cbranch_execnz .LBB2_474
	s_branch .LBB2_475
.LBB2_782:                              ;   in Loop: Header=BB2_130 Depth=2
	s_or_saveexec_b32 s40, s40
	v_mov_b32_e32 v119, 0x7f800001
	s_xor_b32 exec_lo, exec_lo, s40
	s_cbranch_execz .LBB2_479
.LBB2_783:                              ;   in Loop: Header=BB2_130 Depth=2
	v_cmp_ne_u16_sdwa s41, v12, v36 src0_sel:BYTE_1 src1_sel:DWORD
	v_mov_b32_e32 v119, 0
	s_andn2_b32 s14, s14, exec_lo
	s_and_b32 s41, s41, exec_lo
	s_or_b32 s14, s14, s41
	s_or_b32 exec_lo, exec_lo, s40
	s_and_saveexec_b32 s40, s14
	s_cbranch_execnz .LBB2_480
	s_branch .LBB2_481
.LBB2_784:                              ;   in Loop: Header=BB2_130 Depth=2
	s_or_saveexec_b32 s14, s14
	v_mov_b32_e32 v40, 0x7f800001
	s_xor_b32 exec_lo, exec_lo, s14
	s_cbranch_execz .LBB2_495
.LBB2_785:                              ;   in Loop: Header=BB2_130 Depth=2
	v_cmp_ne_u16_e32 vcc_lo, 0, v11
	v_mov_b32_e32 v40, 0
	s_andn2_b32 s40, s40, exec_lo
	s_and_b32 s41, vcc_lo, exec_lo
	s_or_b32 s40, s40, s41
	s_or_b32 exec_lo, exec_lo, s14
	s_and_saveexec_b32 s14, s40
	s_cbranch_execnz .LBB2_496
	s_branch .LBB2_497
.LBB2_786:                              ;   in Loop: Header=BB2_130 Depth=2
	s_or_saveexec_b32 s40, s40
	v_mov_b32_e32 v41, 0x7f800001
	s_xor_b32 exec_lo, exec_lo, s40
	s_cbranch_execz .LBB2_501
.LBB2_787:                              ;   in Loop: Header=BB2_130 Depth=2
	v_cmp_ne_u16_e32 vcc_lo, 0, v42
	v_mov_b32_e32 v41, 0
	s_andn2_b32 s14, s14, exec_lo
	s_and_b32 s41, vcc_lo, exec_lo
	s_or_b32 s14, s14, s41
	s_or_b32 exec_lo, exec_lo, s40
	s_and_saveexec_b32 s40, s14
	s_cbranch_execnz .LBB2_502
	s_branch .LBB2_503
.LBB2_788:                              ;   in Loop: Header=BB2_130 Depth=2
	s_or_saveexec_b32 s40, s40
	v_mov_b32_e32 v40, 0x7f800001
	s_xor_b32 exec_lo, exec_lo, s40
	s_cbranch_execz .LBB2_509
.LBB2_789:                              ;   in Loop: Header=BB2_130 Depth=2
	v_cmp_ne_u16_e32 vcc_lo, 0, v11
	v_mov_b32_e32 v40, 0
	s_andn2_b32 s14, s14, exec_lo
	s_and_b32 s41, vcc_lo, exec_lo
	s_or_b32 s14, s14, s41
	s_or_b32 exec_lo, exec_lo, s40
	s_and_saveexec_b32 s40, s14
	s_cbranch_execnz .LBB2_510
	s_branch .LBB2_511
.LBB2_790:                              ;   in Loop: Header=BB2_130 Depth=2
	s_or_saveexec_b32 s40, s40
	v_mov_b32_e32 v11, 0x7f800001
	s_xor_b32 exec_lo, exec_lo, s40
	s_cbranch_execz .LBB2_515
.LBB2_791:                              ;   in Loop: Header=BB2_130 Depth=2
	v_cmp_ne_u16_e32 vcc_lo, 0, v41
	v_mov_b32_e32 v11, 0
	s_andn2_b32 s14, s14, exec_lo
	s_and_b32 s41, vcc_lo, exec_lo
	s_or_b32 s14, s14, s41
	s_or_b32 exec_lo, exec_lo, s40
	s_and_saveexec_b32 s40, s14
	s_cbranch_execnz .LBB2_516
	s_branch .LBB2_517
.LBB2_792:                              ;   in Loop: Header=BB2_130 Depth=2
	s_or_saveexec_b32 s40, s40
	v_mov_b32_e32 v11, 0x7f800001
	s_xor_b32 exec_lo, exec_lo, s40
	s_cbranch_execz .LBB2_531
.LBB2_793:                              ;   in Loop: Header=BB2_130 Depth=2
	v_cmp_ne_u16_sdwa s41, v16, v36 src0_sel:BYTE_3 src1_sel:DWORD
	v_mov_b32_e32 v11, 0
	s_andn2_b32 s14, s14, exec_lo
	s_and_b32 s41, s41, exec_lo
	s_or_b32 s14, s14, s41
	s_or_b32 exec_lo, exec_lo, s40
	s_and_saveexec_b32 s40, s14
	s_cbranch_execnz .LBB2_532
	s_branch .LBB2_533
.LBB2_794:                              ;   in Loop: Header=BB2_130 Depth=2
	s_or_saveexec_b32 s40, s40
	v_mov_b32_e32 v41, 0x7f800001
	s_xor_b32 exec_lo, exec_lo, s40
	s_cbranch_execz .LBB2_537
.LBB2_795:                              ;   in Loop: Header=BB2_130 Depth=2
	v_cmp_ne_u16_sdwa s41, v12, v36 src0_sel:BYTE_3 src1_sel:DWORD
	v_mov_b32_e32 v41, 0
	s_andn2_b32 s14, s14, exec_lo
	s_and_b32 s41, s41, exec_lo
	s_or_b32 s14, s14, s41
	s_or_b32 exec_lo, exec_lo, s40
	s_and_saveexec_b32 s40, s14
	s_cbranch_execnz .LBB2_538
	s_branch .LBB2_539
.LBB2_796:                              ;   in Loop: Header=BB2_130 Depth=2
	s_or_saveexec_b32 s40, s40
	v_mov_b32_e32 v11, 0x7f800001
	s_xor_b32 exec_lo, exec_lo, s40
	s_cbranch_execz .LBB2_545
.LBB2_797:                              ;   in Loop: Header=BB2_130 Depth=2
	v_cmp_ne_u16_sdwa s41, v16, v36 src0_sel:BYTE_3 src1_sel:DWORD
	v_mov_b32_e32 v11, 0
	s_andn2_b32 s14, s14, exec_lo
	s_and_b32 s41, s41, exec_lo
	s_or_b32 s14, s14, s41
	s_or_b32 exec_lo, exec_lo, s40
	s_and_saveexec_b32 s40, s14
	s_cbranch_execnz .LBB2_546
	s_branch .LBB2_547
.LBB2_798:                              ;   in Loop: Header=BB2_130 Depth=2
	s_or_saveexec_b32 s40, s40
	v_mov_b32_e32 v16, 0x7f800001
	s_xor_b32 exec_lo, exec_lo, s40
	s_cbranch_execz .LBB2_551
.LBB2_799:                              ;   in Loop: Header=BB2_130 Depth=2
	v_cmp_ne_u16_sdwa s41, v12, v36 src0_sel:BYTE_3 src1_sel:DWORD
	v_mov_b32_e32 v16, 0
	s_andn2_b32 s14, s14, exec_lo
	s_and_b32 s41, s41, exec_lo
	s_or_b32 s14, s14, s41
	s_or_b32 exec_lo, exec_lo, s40
	s_and_saveexec_b32 s40, s14
	s_cbranch_execnz .LBB2_552
	s_branch .LBB2_553
.LBB2_800:                              ;   in Loop: Header=BB2_130 Depth=2
	s_or_saveexec_b32 s40, s40
	v_mov_b32_e32 v11, 0x7f800001
	s_xor_b32 exec_lo, exec_lo, s40
	s_cbranch_execz .LBB2_567
.LBB2_801:                              ;   in Loop: Header=BB2_130 Depth=2
	v_cmp_ne_u16_sdwa s41, v17, v36 src0_sel:BYTE_0 src1_sel:DWORD
	v_mov_b32_e32 v11, 0
	s_andn2_b32 s14, s14, exec_lo
	s_and_b32 s41, s41, exec_lo
	s_or_b32 s14, s14, s41
	s_or_b32 exec_lo, exec_lo, s40
	s_and_saveexec_b32 s40, s14
	s_cbranch_execnz .LBB2_568
	s_branch .LBB2_569
.LBB2_802:                              ;   in Loop: Header=BB2_130 Depth=2
	s_or_saveexec_b32 s40, s40
	v_mov_b32_e32 v12, 0x7f800001
	s_xor_b32 exec_lo, exec_lo, s40
	s_cbranch_execz .LBB2_573
.LBB2_803:                              ;   in Loop: Header=BB2_130 Depth=2
	v_cmp_ne_u16_sdwa s41, v13, v36 src0_sel:BYTE_0 src1_sel:DWORD
	v_mov_b32_e32 v12, 0
	s_andn2_b32 s14, s14, exec_lo
	s_and_b32 s41, s41, exec_lo
	s_or_b32 s14, s14, s41
	s_or_b32 exec_lo, exec_lo, s40
	s_and_saveexec_b32 s40, s14
	s_cbranch_execnz .LBB2_574
	s_branch .LBB2_575
.LBB2_804:                              ;   in Loop: Header=BB2_130 Depth=2
	s_or_saveexec_b32 s40, s40
	v_mov_b32_e32 v11, 0x7f800001
	s_xor_b32 exec_lo, exec_lo, s40
	s_cbranch_execz .LBB2_581
.LBB2_805:                              ;   in Loop: Header=BB2_130 Depth=2
	v_cmp_ne_u16_sdwa s41, v17, v36 src0_sel:BYTE_0 src1_sel:DWORD
	v_mov_b32_e32 v11, 0
	s_andn2_b32 s14, s14, exec_lo
	s_and_b32 s41, s41, exec_lo
	s_or_b32 s14, s14, s41
	s_or_b32 exec_lo, exec_lo, s40
	s_and_saveexec_b32 s40, s14
	s_cbranch_execnz .LBB2_582
	s_branch .LBB2_583
.LBB2_806:                              ;   in Loop: Header=BB2_130 Depth=2
	s_or_saveexec_b32 s40, s40
	v_mov_b32_e32 v12, 0x7f800001
	s_xor_b32 exec_lo, exec_lo, s40
	s_cbranch_execz .LBB2_587
.LBB2_807:                              ;   in Loop: Header=BB2_130 Depth=2
	v_cmp_ne_u16_sdwa s41, v13, v36 src0_sel:BYTE_0 src1_sel:DWORD
	v_mov_b32_e32 v12, 0
	s_andn2_b32 s14, s14, exec_lo
	s_and_b32 s41, s41, exec_lo
	s_or_b32 s14, s14, s41
	s_or_b32 exec_lo, exec_lo, s40
	s_and_saveexec_b32 s40, s14
	s_cbranch_execnz .LBB2_588
	s_branch .LBB2_589
.LBB2_808:                              ;   in Loop: Header=BB2_130 Depth=2
	s_or_saveexec_b32 s40, s40
	v_mov_b32_e32 v11, 0x7f800001
	s_xor_b32 exec_lo, exec_lo, s40
	s_cbranch_execz .LBB2_603
.LBB2_809:                              ;   in Loop: Header=BB2_130 Depth=2
	v_cmp_ne_u16_sdwa s41, v17, v36 src0_sel:BYTE_1 src1_sel:DWORD
	v_mov_b32_e32 v11, 0
	s_andn2_b32 s14, s14, exec_lo
	s_and_b32 s41, s41, exec_lo
	s_or_b32 s14, s14, s41
	s_or_b32 exec_lo, exec_lo, s40
	s_and_saveexec_b32 s40, s14
	s_cbranch_execnz .LBB2_604
	s_branch .LBB2_605
.LBB2_810:                              ;   in Loop: Header=BB2_130 Depth=2
	s_or_saveexec_b32 s40, s40
	v_mov_b32_e32 v12, 0x7f800001
	s_xor_b32 exec_lo, exec_lo, s40
	s_cbranch_execz .LBB2_609
.LBB2_811:                              ;   in Loop: Header=BB2_130 Depth=2
	v_cmp_ne_u16_sdwa s41, v13, v36 src0_sel:BYTE_1 src1_sel:DWORD
	v_mov_b32_e32 v12, 0
	s_andn2_b32 s14, s14, exec_lo
	s_and_b32 s41, s41, exec_lo
	s_or_b32 s14, s14, s41
	s_or_b32 exec_lo, exec_lo, s40
	s_and_saveexec_b32 s40, s14
	s_cbranch_execnz .LBB2_610
	s_branch .LBB2_611
.LBB2_812:                              ;   in Loop: Header=BB2_130 Depth=2
	s_or_saveexec_b32 s40, s40
	v_mov_b32_e32 v11, 0x7f800001
	s_xor_b32 exec_lo, exec_lo, s40
	s_cbranch_execz .LBB2_617
.LBB2_813:                              ;   in Loop: Header=BB2_130 Depth=2
	v_cmp_ne_u16_sdwa s41, v17, v36 src0_sel:BYTE_1 src1_sel:DWORD
	v_mov_b32_e32 v11, 0
	s_andn2_b32 s14, s14, exec_lo
	s_and_b32 s41, s41, exec_lo
	s_or_b32 s14, s14, s41
	s_or_b32 exec_lo, exec_lo, s40
	s_and_saveexec_b32 s40, s14
	s_cbranch_execnz .LBB2_618
	s_branch .LBB2_619
.LBB2_814:                              ;   in Loop: Header=BB2_130 Depth=2
	s_or_saveexec_b32 s40, s40
	v_mov_b32_e32 v12, 0x7f800001
	s_xor_b32 exec_lo, exec_lo, s40
	s_cbranch_execz .LBB2_623
.LBB2_815:                              ;   in Loop: Header=BB2_130 Depth=2
	v_cmp_ne_u16_sdwa s41, v13, v36 src0_sel:BYTE_1 src1_sel:DWORD
	v_mov_b32_e32 v12, 0
	s_andn2_b32 s14, s14, exec_lo
	s_and_b32 s41, s41, exec_lo
	s_or_b32 s14, s14, s41
	s_or_b32 exec_lo, exec_lo, s40
	s_and_saveexec_b32 s40, s14
	s_cbranch_execnz .LBB2_624
	s_branch .LBB2_625
.LBB2_816:                              ;   in Loop: Header=BB2_130 Depth=2
	s_or_saveexec_b32 s14, s14
	v_mov_b32_e32 v12, 0x7f800001
	s_xor_b32 exec_lo, exec_lo, s14
	s_cbranch_execz .LBB2_639
.LBB2_817:                              ;   in Loop: Header=BB2_130 Depth=2
	v_cmp_ne_u16_e32 vcc_lo, 0, v11
	v_mov_b32_e32 v12, 0
	s_andn2_b32 s40, s40, exec_lo
	s_and_b32 s41, vcc_lo, exec_lo
	s_or_b32 s40, s40, s41
	s_or_b32 exec_lo, exec_lo, s14
	s_and_saveexec_b32 s14, s40
	s_cbranch_execnz .LBB2_640
	s_branch .LBB2_641
.LBB2_818:                              ;   in Loop: Header=BB2_130 Depth=2
	s_or_saveexec_b32 s40, s40
	v_mov_b32_e32 v43, 0x7f800001
	s_xor_b32 exec_lo, exec_lo, s40
	s_cbranch_execz .LBB2_645
.LBB2_819:                              ;   in Loop: Header=BB2_130 Depth=2
	v_cmp_ne_u16_e32 vcc_lo, 0, v44
	v_mov_b32_e32 v43, 0
	s_andn2_b32 s14, s14, exec_lo
	s_and_b32 s41, vcc_lo, exec_lo
	s_or_b32 s14, s14, s41
	s_or_b32 exec_lo, exec_lo, s40
	s_and_saveexec_b32 s40, s14
	s_cbranch_execnz .LBB2_646
	s_branch .LBB2_647
.LBB2_820:                              ;   in Loop: Header=BB2_130 Depth=2
	s_or_saveexec_b32 s40, s40
	v_mov_b32_e32 v12, 0x7f800001
	s_xor_b32 exec_lo, exec_lo, s40
	s_cbranch_execz .LBB2_653
.LBB2_821:                              ;   in Loop: Header=BB2_130 Depth=2
	v_cmp_ne_u16_e32 vcc_lo, 0, v11
	v_mov_b32_e32 v12, 0
	s_andn2_b32 s14, s14, exec_lo
	s_and_b32 s41, vcc_lo, exec_lo
	s_or_b32 s14, s14, s41
	s_or_b32 exec_lo, exec_lo, s40
	s_and_saveexec_b32 s40, s14
	s_cbranch_execnz .LBB2_654
	s_branch .LBB2_655
.LBB2_822:                              ;   in Loop: Header=BB2_130 Depth=2
	s_or_saveexec_b32 s40, s40
	v_mov_b32_e32 v11, 0x7f800001
	s_xor_b32 exec_lo, exec_lo, s40
	s_cbranch_execz .LBB2_659
.LBB2_823:                              ;   in Loop: Header=BB2_130 Depth=2
	v_cmp_ne_u16_e32 vcc_lo, 0, v43
	v_mov_b32_e32 v11, 0
	s_andn2_b32 s14, s14, exec_lo
	s_and_b32 s41, vcc_lo, exec_lo
	s_or_b32 s14, s14, s41
	s_or_b32 exec_lo, exec_lo, s40
	s_and_saveexec_b32 s40, s14
	s_cbranch_execnz .LBB2_660
	s_branch .LBB2_661
.LBB2_824:                              ;   in Loop: Header=BB2_130 Depth=2
	s_or_saveexec_b32 s40, s40
	v_mov_b32_e32 v10, 0x7f800001
	s_xor_b32 exec_lo, exec_lo, s40
	s_cbranch_execz .LBB2_675
.LBB2_825:                              ;   in Loop: Header=BB2_130 Depth=2
	v_cmp_ne_u16_sdwa s41, v17, v36 src0_sel:BYTE_3 src1_sel:DWORD
	v_mov_b32_e32 v10, 0
	s_andn2_b32 s14, s14, exec_lo
	s_and_b32 s41, s41, exec_lo
	s_or_b32 s14, s14, s41
	s_or_b32 exec_lo, exec_lo, s40
	s_and_saveexec_b32 s40, s14
	s_cbranch_execnz .LBB2_676
	s_branch .LBB2_677
.LBB2_826:                              ;   in Loop: Header=BB2_130 Depth=2
	s_or_saveexec_b32 s40, s40
	v_mov_b32_e32 v11, 0x7f800001
	s_xor_b32 exec_lo, exec_lo, s40
	s_cbranch_execz .LBB2_681
.LBB2_827:                              ;   in Loop: Header=BB2_130 Depth=2
	v_cmp_ne_u16_sdwa s41, v13, v36 src0_sel:BYTE_3 src1_sel:DWORD
	v_mov_b32_e32 v11, 0
	s_andn2_b32 s14, s14, exec_lo
	s_and_b32 s41, s41, exec_lo
	s_or_b32 s14, s14, s41
	s_or_b32 exec_lo, exec_lo, s40
	s_and_saveexec_b32 s40, s14
	s_cbranch_execnz .LBB2_682
	s_branch .LBB2_683
.LBB2_828:                              ;   in Loop: Header=BB2_130 Depth=2
	s_or_saveexec_b32 s40, s40
	v_mov_b32_e32 v45, 0x7f800001
	s_xor_b32 exec_lo, exec_lo, s40
	s_cbranch_execz .LBB2_689
.LBB2_829:                              ;   in Loop: Header=BB2_130 Depth=2
	v_cmp_ne_u16_sdwa s41, v17, v36 src0_sel:BYTE_3 src1_sel:DWORD
	v_mov_b32_e32 v45, 0
	s_andn2_b32 s14, s14, exec_lo
	s_and_b32 s41, s41, exec_lo
	s_or_b32 s14, s14, s41
	s_or_b32 exec_lo, exec_lo, s40
	s_and_saveexec_b32 s40, s14
	s_cbranch_execnz .LBB2_690
	s_branch .LBB2_691
.LBB2_830:                              ;   in Loop: Header=BB2_130 Depth=2
	s_or_saveexec_b32 s40, s40
	v_mov_b32_e32 v10, 0x7f800001
	s_xor_b32 exec_lo, exec_lo, s40
	s_cbranch_execz .LBB2_695
.LBB2_831:                              ;   in Loop: Header=BB2_130 Depth=2
	v_cmp_ne_u16_sdwa s41, v13, v36 src0_sel:BYTE_3 src1_sel:DWORD
	v_mov_b32_e32 v10, 0
	s_andn2_b32 s14, s14, exec_lo
	s_and_b32 s41, s41, exec_lo
	s_or_b32 s14, s14, s41
	s_or_b32 exec_lo, exec_lo, s40
	s_and_saveexec_b32 s40, s14
	s_cbranch_execnz .LBB2_696
	s_branch .LBB2_697
.LBB2_832:                              ;   in Loop: Header=BB2_49 Depth=1
	s_or_b32 exec_lo, exec_lo, s28
.LBB2_833:                              ;   in Loop: Header=BB2_49 Depth=1
	s_or_b32 exec_lo, exec_lo, s27
	v_and_b32_e32 v10, 15, v37
	s_mov_b32 s27, 0
	s_mov_b32 s14, exec_lo
                                        ; implicit-def: $vgpr16
	v_cndmask_b32_e64 v102, v101, v10, s13
	v_mov_b32_e32 v101, 0
	v_cmpx_ne_u32_e32 0, v102
	s_cbranch_execz .LBB2_1543
; %bb.834:                              ;   in Loop: Header=BB2_49 Depth=1
	v_cmp_lt_i32_e32 vcc_lo, 0, v103
	s_mov_b32 s27, exec_lo
	v_cndmask_b32_e32 v10, 0, v80, vcc_lo
	v_sub_nc_u32_e32 v10, v10, v103
	v_lshl_or_b32 v10, v10, 5, v71
	v_ashrrev_i32_e32 v11, 31, v10
	v_lshrrev_b32_e32 v11, 27, v11
	v_add_nc_u32_e32 v11, v10, v11
	v_and_b32_e32 v12, 0xffffffe0, v11
	v_ashrrev_i32_e32 v11, 5, v11
	v_sub_nc_u32_e32 v103, v10, v12
	v_and_b32_e32 v12, 0x1f0, v37
	v_sub_nc_u32_e32 v112, 0, v11
	v_lshlrev_b32_e32 v10, 4, v103
	v_cndmask_b32_e64 v12, 0, v12, s13
	v_lshl_add_u32 v10, v11, 9, v10
	v_and_or_b32 v101, 0x3ffffe00, v37, v12
	v_sub_nc_u32_e32 v113, v102, v10
	v_cmpx_lt_i32_e32 15, v113
	s_cbranch_execz .LBB2_1542
; %bb.835:                              ;   in Loop: Header=BB2_49 Depth=1
	s_trap 2
	ds_read_b64 v[11:12], v0
	v_add_nc_u32_e32 v10, v10, v101
	s_bitcmp1_b32 s26, 0
	s_mov_b32 s28, 0
	s_cselect_b32 s29, -1, 0
	v_ashrrev_i32_e32 v13, 31, v10
	v_add_co_u32 v54, vcc_lo, v10, v50
	v_add_co_ci_u32_e64 v55, null, v13, v51, vcc_lo
	s_waitcnt lgkmcnt(0)
	v_add_co_u32 v64, vcc_lo, v11, v10
	v_add_co_ci_u32_e64 v65, null, v12, v13, vcc_lo
	v_add_co_u32 v66, vcc_lo, v10, v52
	v_add_co_ci_u32_e64 v67, null, v13, v53, vcc_lo
	s_branch .LBB2_839
.LBB2_836:                              ;   in Loop: Header=BB2_839 Depth=2
	s_or_b32 exec_lo, exec_lo, s13
	v_lshrrev_b32_e32 v12, 21, v12
	v_min_i32_e32 v13, 31, v11
	v_cmp_gt_i32_e32 vcc_lo, 32, v11
	v_and_b32_sdwa v10, v10, v97 dst_sel:DWORD dst_unused:UNUSED_PAD src0_sel:BYTE_3 src1_sel:DWORD
	v_lshlrev_b32_e32 v13, 2, v13
	v_cndmask_b32_e32 v12, 3, v12, vcc_lo
	v_and_b32_e32 v13, 0xfc, v13
	v_and_b32_e32 v17, 3, v12
	v_or_b32_e32 v11, v11, v12
	v_or3_b32 v10, v10, v13, v17
	v_cmp_ne_u32_e32 vcc_lo, 0, v11
	v_lshlrev_b32_e32 v10, 8, v10
	v_cndmask_b32_e32 v11, 0, v10, vcc_lo
.LBB2_837:                              ;   in Loop: Header=BB2_839 Depth=2
	s_or_b32 exec_lo, exec_lo, s41
.LBB2_838:                              ;   in Loop: Header=BB2_839 Depth=2
	s_or_b32 exec_lo, exec_lo, s40
	v_or_b32_sdwa v10, v15, v119 dst_sel:WORD_1 dst_unused:UNUSED_PAD src0_sel:DWORD src1_sel:DWORD
	v_or_b32_sdwa v12, v14, v116 dst_sel:WORD_1 dst_unused:UNUSED_PAD src0_sel:DWORD src1_sel:DWORD
	;; [unrolled: 1-line block ×4, first 2 shown]
	v_sub_nc_u32_e32 v113, v113, v83
	v_or3_b32 v11, v118, v117, v10
	v_or3_b32 v10, v115, v114, v12
	;; [unrolled: 1-line block ×4, first 2 shown]
	v_add_co_u32 v54, vcc_lo, v54, v83
	v_add_co_ci_u32_e64 v55, null, 0, v55, vcc_lo
	v_add_co_u32 v64, vcc_lo, v64, v83
	global_store_dwordx4 v[66:67], v[10:13], off glc slc
	v_add_co_ci_u32_e64 v65, null, 0, v65, vcc_lo
	v_cmp_gt_i32_e32 vcc_lo, 16, v113
	v_add_co_u32 v66, s13, v66, v83
	v_add_co_ci_u32_e64 v67, null, 0, v67, s13
	v_sub_nc_u32_e32 v112, v112, v80
	s_or_b32 s28, vcc_lo, s28
	s_andn2_b32 exec_lo, exec_lo, s28
	s_cbranch_execz .LBB2_1541
.LBB2_839:                              ;   Parent Loop BB2_49 Depth=1
                                        ; =>  This Inner Loop Header: Depth=2
	global_load_dwordx4 v[10:13], v[64:65], off slc
	global_load_dwordx4 v[14:17], v[54:55], off slc
	s_mov_b32 s13, -1
	s_waitcnt vmcnt(1)
	v_and_b32_e32 v114, 3, v10
	v_bfe_u32 v117, v10, 2, 5
	v_lshlrev_b32_e32 v118, 24, v10
	s_waitcnt vmcnt(0)
	v_cmp_gt_i16_sdwa s40, v14, v96 src0_sel:BYTE_0 src1_sel:DWORD
	v_ffbh_u32_e32 v115, v114
	v_cmp_eq_u32_e32 vcc_lo, 0, v117
	v_min_u32_e32 v115, 32, v115
	v_subrev_nc_u32_e32 v116, 29, v115
	v_sub_nc_u32_e32 v115, 30, v115
	v_lshlrev_b32_e32 v116, v116, v10
	v_cndmask_b32_e32 v115, v117, v115, vcc_lo
	v_and_b32_e32 v116, 3, v116
	v_lshl_add_u32 v115, v115, 23, 0x37800000
	v_cndmask_b32_e32 v114, v114, v116, vcc_lo
	v_and_b32_e32 v116, 0x80000000, v118
	s_and_b32 vcc_lo, exec_lo, s29
	v_lshlrev_b32_e32 v114, 21, v114
	v_or3_b32 v114, v116, v115, v114
                                        ; implicit-def: $vgpr115
	s_cbranch_vccz .LBB2_853
; %bb.840:                              ;   in Loop: Header=BB2_839 Depth=2
	s_mov_b32 s13, 0
	s_and_saveexec_b32 s41, s40
	s_xor_b32 s40, exec_lo, s41
	s_cbranch_execz .LBB2_1413
; %bb.841:                              ;   in Loop: Header=BB2_839 Depth=2
	v_cmp_eq_u16_sdwa s42, v14, v97 src0_sel:BYTE_0 src1_sel:DWORD
	s_mov_b32 s13, -1
	s_and_saveexec_b32 s41, s42
; %bb.842:                              ;   in Loop: Header=BB2_839 Depth=2
	s_xor_b32 s13, exec_lo, -1
; %bb.843:                              ;   in Loop: Header=BB2_839 Depth=2
	s_or_b32 exec_lo, exec_lo, s41
	s_and_b32 s13, s13, exec_lo
	s_or_saveexec_b32 s40, s40
	v_mov_b32_e32 v115, 0x7f800001
	s_xor_b32 exec_lo, exec_lo, s40
	s_cbranch_execnz .LBB2_1414
.LBB2_844:                              ;   in Loop: Header=BB2_839 Depth=2
	s_or_b32 exec_lo, exec_lo, s40
	s_and_saveexec_b32 s40, s13
	s_cbranch_execz .LBB2_846
.LBB2_845:                              ;   in Loop: Header=BB2_839 Depth=2
	v_and_b32_e32 v115, 3, v14
	v_bfe_u32 v118, v14, 2, 5
	v_lshlrev_b32_e32 v119, 24, v14
	v_ffbh_u32_e32 v116, v115
	v_cmp_eq_u32_e32 vcc_lo, 0, v118
	v_min_u32_e32 v116, 32, v116
	v_subrev_nc_u32_e32 v117, 29, v116
	v_sub_nc_u32_e32 v116, 30, v116
	v_lshlrev_b32_e32 v117, v117, v14
	v_cndmask_b32_e32 v116, v118, v116, vcc_lo
	v_and_b32_e32 v117, 3, v117
	v_lshl_add_u32 v116, v116, 23, 0x37800000
	v_cndmask_b32_e32 v115, v115, v117, vcc_lo
	v_and_b32_e32 v117, 0x80000000, v119
	v_lshlrev_b32_e32 v115, 21, v115
	v_or3_b32 v115, v117, v116, v115
.LBB2_846:                              ;   in Loop: Header=BB2_839 Depth=2
	s_or_b32 exec_lo, exec_lo, s40
	v_cmp_gt_i16_sdwa s40, v10, v96 src0_sel:BYTE_0 src1_sel:DWORD
	s_mov_b32 s13, 0
	s_and_saveexec_b32 s41, s40
	s_xor_b32 s40, exec_lo, s41
	s_cbranch_execz .LBB2_1415
; %bb.847:                              ;   in Loop: Header=BB2_839 Depth=2
	v_cmp_eq_u16_sdwa s42, v10, v97 src0_sel:BYTE_0 src1_sel:DWORD
	s_mov_b32 s13, -1
	s_and_saveexec_b32 s41, s42
; %bb.848:                              ;   in Loop: Header=BB2_839 Depth=2
	s_xor_b32 s13, exec_lo, -1
; %bb.849:                              ;   in Loop: Header=BB2_839 Depth=2
	s_or_b32 exec_lo, exec_lo, s41
	s_and_b32 s13, s13, exec_lo
	s_or_saveexec_b32 s40, s40
	v_mov_b32_e32 v116, 0x7f800001
	s_xor_b32 exec_lo, exec_lo, s40
	s_cbranch_execnz .LBB2_1416
.LBB2_850:                              ;   in Loop: Header=BB2_839 Depth=2
	s_or_b32 exec_lo, exec_lo, s40
	s_and_saveexec_b32 s40, s13
.LBB2_851:                              ;   in Loop: Header=BB2_839 Depth=2
	v_mov_b32_e32 v116, v114
.LBB2_852:                              ;   in Loop: Header=BB2_839 Depth=2
	s_or_b32 exec_lo, exec_lo, s40
	v_max_f32_e32 v116, v116, v116
	v_max_f32_e32 v115, v115, v115
	s_mov_b32 s13, 0
	v_max_f32_e32 v115, v115, v116
.LBB2_853:                              ;   in Loop: Header=BB2_839 Depth=2
	s_and_b32 vcc_lo, exec_lo, s13
	s_cbranch_vccz .LBB2_867
; %bb.854:                              ;   in Loop: Header=BB2_839 Depth=2
	v_cmp_gt_i16_sdwa s40, v14, v96 src0_sel:BYTE_0 src1_sel:DWORD
	s_mov_b32 s13, 0
	s_and_saveexec_b32 s41, s40
	s_xor_b32 s40, exec_lo, s41
	s_cbranch_execz .LBB2_1417
; %bb.855:                              ;   in Loop: Header=BB2_839 Depth=2
	v_cmp_eq_u16_sdwa s42, v14, v97 src0_sel:BYTE_0 src1_sel:DWORD
	s_mov_b32 s13, -1
	s_and_saveexec_b32 s41, s42
; %bb.856:                              ;   in Loop: Header=BB2_839 Depth=2
	s_xor_b32 s13, exec_lo, -1
; %bb.857:                              ;   in Loop: Header=BB2_839 Depth=2
	s_or_b32 exec_lo, exec_lo, s41
	s_and_b32 s13, s13, exec_lo
	s_or_saveexec_b32 s40, s40
	v_mov_b32_e32 v115, 0x7f800001
	s_xor_b32 exec_lo, exec_lo, s40
	s_cbranch_execnz .LBB2_1418
.LBB2_858:                              ;   in Loop: Header=BB2_839 Depth=2
	s_or_b32 exec_lo, exec_lo, s40
	s_and_saveexec_b32 s40, s13
	s_cbranch_execz .LBB2_860
.LBB2_859:                              ;   in Loop: Header=BB2_839 Depth=2
	v_and_b32_e32 v115, 3, v14
	v_bfe_u32 v118, v14, 2, 5
	v_lshlrev_b32_e32 v119, 24, v14
	v_ffbh_u32_e32 v116, v115
	v_cmp_eq_u32_e32 vcc_lo, 0, v118
	v_min_u32_e32 v116, 32, v116
	v_subrev_nc_u32_e32 v117, 29, v116
	v_sub_nc_u32_e32 v116, 30, v116
	v_lshlrev_b32_e32 v117, v117, v14
	v_cndmask_b32_e32 v116, v118, v116, vcc_lo
	v_and_b32_e32 v117, 3, v117
	v_lshl_add_u32 v116, v116, 23, 0x37800000
	v_cndmask_b32_e32 v115, v115, v117, vcc_lo
	v_and_b32_e32 v117, 0x80000000, v119
	v_lshlrev_b32_e32 v115, 21, v115
	v_or3_b32 v115, v117, v116, v115
.LBB2_860:                              ;   in Loop: Header=BB2_839 Depth=2
	s_or_b32 exec_lo, exec_lo, s40
	v_cmp_gt_i16_sdwa s40, v10, v96 src0_sel:BYTE_0 src1_sel:DWORD
	s_mov_b32 s13, 0
	s_and_saveexec_b32 s41, s40
	s_xor_b32 s40, exec_lo, s41
	s_cbranch_execz .LBB2_1419
; %bb.861:                              ;   in Loop: Header=BB2_839 Depth=2
	v_cmp_eq_u16_sdwa s42, v10, v97 src0_sel:BYTE_0 src1_sel:DWORD
	s_mov_b32 s13, -1
	s_and_saveexec_b32 s41, s42
; %bb.862:                              ;   in Loop: Header=BB2_839 Depth=2
	s_xor_b32 s13, exec_lo, -1
; %bb.863:                              ;   in Loop: Header=BB2_839 Depth=2
	s_or_b32 exec_lo, exec_lo, s41
	s_and_b32 s13, s13, exec_lo
	s_or_saveexec_b32 s40, s40
	v_mov_b32_e32 v116, 0x7f800001
	s_xor_b32 exec_lo, exec_lo, s40
	s_cbranch_execnz .LBB2_1420
.LBB2_864:                              ;   in Loop: Header=BB2_839 Depth=2
	s_or_b32 exec_lo, exec_lo, s40
	s_and_saveexec_b32 s40, s13
.LBB2_865:                              ;   in Loop: Header=BB2_839 Depth=2
	v_mov_b32_e32 v116, v114
.LBB2_866:                              ;   in Loop: Header=BB2_839 Depth=2
	s_or_b32 exec_lo, exec_lo, s40
	v_max_f32_e32 v114, v116, v116
	v_max_f32_e32 v115, v115, v115
	v_min_f32_e32 v115, v115, v114
.LBB2_867:                              ;   in Loop: Header=BB2_839 Depth=2
	v_and_b32_e32 v114, 0x7f800000, v115
	v_cmp_ne_u32_e32 vcc_lo, 0x7f800000, v114
	v_mov_b32_e32 v114, 0x80
	s_and_saveexec_b32 s40, vcc_lo
	s_cbranch_execz .LBB2_875
; %bb.868:                              ;   in Loop: Header=BB2_839 Depth=2
	v_mov_b32_e32 v114, 0
	s_mov_b32 s41, exec_lo
	v_cmpx_ne_u32_e32 0, v115
	s_cbranch_execz .LBB2_874
; %bb.869:                              ;   in Loop: Header=BB2_839 Depth=2
	v_bfe_u32 v114, v115, 23, 8
	v_and_b32_e32 v116, 0x7fffff, v115
	v_sub_nc_u32_e32 v117, 0x70, v114
	v_cmp_gt_u32_e32 vcc_lo, 0x71, v114
	v_or_b32_e32 v118, 0x800000, v116
	v_cndmask_b32_e32 v117, 0, v117, vcc_lo
	v_cmp_eq_u32_e32 vcc_lo, 0, v114
	v_add_nc_u32_e32 v114, 0xffffff91, v114
	v_cndmask_b32_e64 v117, v117, 0x6f, vcc_lo
	v_cndmask_b32_e32 v116, v118, v116, vcc_lo
	v_cndmask_b32_e64 v114, v114, 0xffffff92, vcc_lo
	v_lshl_add_u32 v118, 0x200000, v117, -1
	v_lshrrev_b32_e32 v119, v117, v116
	v_lshlrev_b32_e64 v41, v117, 0x100000
	v_add_nc_u32_e32 v117, v117, v114
	v_and_b32_e32 v116, v118, v116
	v_bfe_u32 v40, v119, 21, 1
	v_cmp_eq_u32_e64 s13, v116, v41
	v_add_nc_u32_e32 v118, -1, v40
	v_cndmask_b32_e64 v116, 0, v118, s13
	v_lshrrev_b32_e32 v118, 23, v119
	s_mov_b32 s13, exec_lo
	v_add_nc_u32_e32 v116, v116, v119
	v_xor_b32_e32 v118, 1, v118
	v_and_b32_e32 v114, 0x1fffff, v116
	v_add_nc_u32_e32 v116, v114, v119
                                        ; implicit-def: $vgpr114
	v_cmpx_ne_u32_e64 v117, v118
	s_xor_b32 s13, exec_lo, s13
; %bb.870:                              ;   in Loop: Header=BB2_839 Depth=2
	v_cmp_lt_u32_e32 vcc_lo, 0xffffff, v116
	v_sub_nc_u32_e32 v114, v117, v118
	v_cndmask_b32_e64 v117, 0, 1, vcc_lo
	v_add_co_ci_u32_e64 v114, null, 0, v114, vcc_lo
	v_lshrrev_b32_e32 v116, v117, v116
; %bb.871:                              ;   in Loop: Header=BB2_839 Depth=2
	s_andn2_saveexec_b32 s13, s13
; %bb.872:                              ;   in Loop: Header=BB2_839 Depth=2
	v_bfe_u32 v114, v116, 23, 1
; %bb.873:                              ;   in Loop: Header=BB2_839 Depth=2
	s_or_b32 exec_lo, exec_lo, s13
	v_lshrrev_b32_e32 v116, 21, v116
	v_min_i32_e32 v117, 31, v114
	v_cmp_gt_i32_e32 vcc_lo, 32, v114
	v_and_b32_sdwa v115, v115, v97 dst_sel:DWORD dst_unused:UNUSED_PAD src0_sel:BYTE_3 src1_sel:DWORD
	v_lshlrev_b32_e32 v117, 2, v117
	v_cndmask_b32_e32 v116, 3, v116, vcc_lo
	v_and_b32_e32 v117, 0xfc, v117
	v_and_b32_e32 v118, 3, v116
	v_or_b32_e32 v114, v114, v116
	v_or3_b32 v115, v117, v115, v118
	v_cmp_ne_u32_e32 vcc_lo, 0, v114
	v_cndmask_b32_e32 v114, 0, v115, vcc_lo
.LBB2_874:                              ;   in Loop: Header=BB2_839 Depth=2
	s_or_b32 exec_lo, exec_lo, s41
.LBB2_875:                              ;   in Loop: Header=BB2_839 Depth=2
	s_or_b32 exec_lo, exec_lo, s40
	v_and_b32_sdwa v115, v98, v10 dst_sel:DWORD dst_unused:UNUSED_PAD src0_sel:DWORD src1_sel:BYTE_1
	v_cmp_gt_i16_sdwa s40, v14, v96 src0_sel:BYTE_1 src1_sel:DWORD
	s_mov_b32 s13, -1
	v_and_b32_e32 v116, 3, v115
	v_bfe_u32 v119, v115, 2, 5
	v_ffbh_u32_e32 v117, v116
	v_cmp_eq_u32_e32 vcc_lo, 0, v119
	v_min_u32_e32 v117, 32, v117
	v_subrev_nc_u32_e32 v118, 29, v117
	v_sub_nc_u32_e32 v117, 30, v117
	v_lshlrev_b32_e32 v115, v118, v115
	v_lshlrev_b32_sdwa v118, v99, v10 dst_sel:DWORD dst_unused:UNUSED_PAD src0_sel:DWORD src1_sel:BYTE_1
	v_cndmask_b32_e32 v117, v119, v117, vcc_lo
	v_and_b32_e32 v115, 3, v115
	v_lshl_add_u32 v117, v117, 23, 0x37800000
	v_cndmask_b32_e32 v115, v116, v115, vcc_lo
	v_and_b32_e32 v116, 0x80000000, v118
	s_and_b32 vcc_lo, exec_lo, s29
	v_lshlrev_b32_e32 v115, 21, v115
	v_or3_b32 v115, v116, v117, v115
                                        ; implicit-def: $vgpr116
	s_cbranch_vccz .LBB2_889
; %bb.876:                              ;   in Loop: Header=BB2_839 Depth=2
	s_mov_b32 s13, 0
	s_and_saveexec_b32 s41, s40
	s_xor_b32 s40, exec_lo, s41
	s_cbranch_execz .LBB2_1421
; %bb.877:                              ;   in Loop: Header=BB2_839 Depth=2
	v_cmp_eq_u16_sdwa s42, v14, v97 src0_sel:BYTE_1 src1_sel:DWORD
	s_mov_b32 s13, -1
	s_and_saveexec_b32 s41, s42
; %bb.878:                              ;   in Loop: Header=BB2_839 Depth=2
	s_xor_b32 s13, exec_lo, -1
; %bb.879:                              ;   in Loop: Header=BB2_839 Depth=2
	s_or_b32 exec_lo, exec_lo, s41
	s_and_b32 s13, s13, exec_lo
	s_or_saveexec_b32 s40, s40
	v_mov_b32_e32 v116, 0x7f800001
	s_xor_b32 exec_lo, exec_lo, s40
	s_cbranch_execnz .LBB2_1422
.LBB2_880:                              ;   in Loop: Header=BB2_839 Depth=2
	s_or_b32 exec_lo, exec_lo, s40
	s_and_saveexec_b32 s40, s13
	s_cbranch_execz .LBB2_882
.LBB2_881:                              ;   in Loop: Header=BB2_839 Depth=2
	v_and_b32_sdwa v116, v98, v14 dst_sel:DWORD dst_unused:UNUSED_PAD src0_sel:DWORD src1_sel:BYTE_1
	v_and_b32_e32 v117, 3, v116
	v_bfe_u32 v40, v116, 2, 5
	v_ffbh_u32_e32 v118, v117
	v_cmp_eq_u32_e32 vcc_lo, 0, v40
	v_min_u32_e32 v118, 32, v118
	v_subrev_nc_u32_e32 v119, 29, v118
	v_sub_nc_u32_e32 v118, 30, v118
	v_lshlrev_b32_e32 v116, v119, v116
	v_lshlrev_b32_e32 v119, 16, v14
	v_cndmask_b32_e32 v118, v40, v118, vcc_lo
	v_and_b32_e32 v116, 3, v116
	v_lshl_add_u32 v118, v118, 23, 0x37800000
	v_cndmask_b32_e32 v116, v117, v116, vcc_lo
	v_and_b32_e32 v117, 0x80000000, v119
	v_lshlrev_b32_e32 v116, 21, v116
	v_or3_b32 v116, v117, v118, v116
.LBB2_882:                              ;   in Loop: Header=BB2_839 Depth=2
	s_or_b32 exec_lo, exec_lo, s40
	v_cmp_gt_i16_sdwa s40, v10, v96 src0_sel:BYTE_1 src1_sel:DWORD
	s_mov_b32 s13, 0
	s_and_saveexec_b32 s41, s40
	s_xor_b32 s40, exec_lo, s41
	s_cbranch_execz .LBB2_1423
; %bb.883:                              ;   in Loop: Header=BB2_839 Depth=2
	v_cmp_eq_u16_sdwa s42, v10, v97 src0_sel:BYTE_1 src1_sel:DWORD
	s_mov_b32 s13, -1
	s_and_saveexec_b32 s41, s42
; %bb.884:                              ;   in Loop: Header=BB2_839 Depth=2
	s_xor_b32 s13, exec_lo, -1
; %bb.885:                              ;   in Loop: Header=BB2_839 Depth=2
	s_or_b32 exec_lo, exec_lo, s41
	s_and_b32 s13, s13, exec_lo
	s_or_saveexec_b32 s40, s40
	v_mov_b32_e32 v117, 0x7f800001
	s_xor_b32 exec_lo, exec_lo, s40
	s_cbranch_execnz .LBB2_1424
.LBB2_886:                              ;   in Loop: Header=BB2_839 Depth=2
	s_or_b32 exec_lo, exec_lo, s40
	s_and_saveexec_b32 s40, s13
.LBB2_887:                              ;   in Loop: Header=BB2_839 Depth=2
	v_mov_b32_e32 v117, v115
.LBB2_888:                              ;   in Loop: Header=BB2_839 Depth=2
	s_or_b32 exec_lo, exec_lo, s40
	v_max_f32_e32 v117, v117, v117
	v_max_f32_e32 v116, v116, v116
	s_mov_b32 s13, 0
	v_max_f32_e32 v116, v116, v117
.LBB2_889:                              ;   in Loop: Header=BB2_839 Depth=2
	s_and_b32 vcc_lo, exec_lo, s13
	s_cbranch_vccz .LBB2_903
; %bb.890:                              ;   in Loop: Header=BB2_839 Depth=2
	v_cmp_gt_i16_sdwa s40, v14, v96 src0_sel:BYTE_1 src1_sel:DWORD
	s_mov_b32 s13, 0
	s_and_saveexec_b32 s41, s40
	s_xor_b32 s40, exec_lo, s41
	s_cbranch_execz .LBB2_1425
; %bb.891:                              ;   in Loop: Header=BB2_839 Depth=2
	v_cmp_eq_u16_sdwa s42, v14, v97 src0_sel:BYTE_1 src1_sel:DWORD
	s_mov_b32 s13, -1
	s_and_saveexec_b32 s41, s42
; %bb.892:                              ;   in Loop: Header=BB2_839 Depth=2
	s_xor_b32 s13, exec_lo, -1
; %bb.893:                              ;   in Loop: Header=BB2_839 Depth=2
	s_or_b32 exec_lo, exec_lo, s41
	s_and_b32 s13, s13, exec_lo
	s_or_saveexec_b32 s40, s40
	v_mov_b32_e32 v116, 0x7f800001
	s_xor_b32 exec_lo, exec_lo, s40
	s_cbranch_execnz .LBB2_1426
.LBB2_894:                              ;   in Loop: Header=BB2_839 Depth=2
	s_or_b32 exec_lo, exec_lo, s40
	s_and_saveexec_b32 s40, s13
	s_cbranch_execz .LBB2_896
.LBB2_895:                              ;   in Loop: Header=BB2_839 Depth=2
	v_and_b32_sdwa v116, v98, v14 dst_sel:DWORD dst_unused:UNUSED_PAD src0_sel:DWORD src1_sel:BYTE_1
	v_and_b32_e32 v117, 3, v116
	v_bfe_u32 v40, v116, 2, 5
	v_ffbh_u32_e32 v118, v117
	v_cmp_eq_u32_e32 vcc_lo, 0, v40
	v_min_u32_e32 v118, 32, v118
	v_subrev_nc_u32_e32 v119, 29, v118
	v_sub_nc_u32_e32 v118, 30, v118
	v_lshlrev_b32_e32 v116, v119, v116
	v_lshlrev_b32_e32 v119, 16, v14
	v_cndmask_b32_e32 v118, v40, v118, vcc_lo
	v_and_b32_e32 v116, 3, v116
	v_lshl_add_u32 v118, v118, 23, 0x37800000
	v_cndmask_b32_e32 v116, v117, v116, vcc_lo
	v_and_b32_e32 v117, 0x80000000, v119
	v_lshlrev_b32_e32 v116, 21, v116
	v_or3_b32 v116, v117, v118, v116
.LBB2_896:                              ;   in Loop: Header=BB2_839 Depth=2
	s_or_b32 exec_lo, exec_lo, s40
	v_cmp_gt_i16_sdwa s40, v10, v96 src0_sel:BYTE_1 src1_sel:DWORD
	s_mov_b32 s13, 0
	s_and_saveexec_b32 s41, s40
	s_xor_b32 s40, exec_lo, s41
	s_cbranch_execz .LBB2_1427
; %bb.897:                              ;   in Loop: Header=BB2_839 Depth=2
	v_cmp_eq_u16_sdwa s42, v10, v97 src0_sel:BYTE_1 src1_sel:DWORD
	s_mov_b32 s13, -1
	s_and_saveexec_b32 s41, s42
; %bb.898:                              ;   in Loop: Header=BB2_839 Depth=2
	s_xor_b32 s13, exec_lo, -1
; %bb.899:                              ;   in Loop: Header=BB2_839 Depth=2
	s_or_b32 exec_lo, exec_lo, s41
	s_and_b32 s13, s13, exec_lo
	s_or_saveexec_b32 s40, s40
	v_mov_b32_e32 v117, 0x7f800001
	s_xor_b32 exec_lo, exec_lo, s40
	s_cbranch_execnz .LBB2_1428
.LBB2_900:                              ;   in Loop: Header=BB2_839 Depth=2
	s_or_b32 exec_lo, exec_lo, s40
	s_and_saveexec_b32 s40, s13
.LBB2_901:                              ;   in Loop: Header=BB2_839 Depth=2
	v_mov_b32_e32 v117, v115
.LBB2_902:                              ;   in Loop: Header=BB2_839 Depth=2
	s_or_b32 exec_lo, exec_lo, s40
	v_max_f32_e32 v115, v117, v117
	v_max_f32_e32 v116, v116, v116
	v_min_f32_e32 v116, v116, v115
.LBB2_903:                              ;   in Loop: Header=BB2_839 Depth=2
	v_and_b32_e32 v115, 0x7f800000, v116
	v_cmp_ne_u32_e32 vcc_lo, 0x7f800000, v115
	v_mov_b32_e32 v115, 0x8000
	s_and_saveexec_b32 s40, vcc_lo
	s_cbranch_execz .LBB2_911
; %bb.904:                              ;   in Loop: Header=BB2_839 Depth=2
	v_mov_b32_e32 v115, 0
	s_mov_b32 s41, exec_lo
	v_cmpx_ne_u32_e32 0, v116
	s_cbranch_execz .LBB2_910
; %bb.905:                              ;   in Loop: Header=BB2_839 Depth=2
	v_bfe_u32 v115, v116, 23, 8
	v_and_b32_e32 v117, 0x7fffff, v116
	v_sub_nc_u32_e32 v118, 0x70, v115
	v_cmp_gt_u32_e32 vcc_lo, 0x71, v115
	v_or_b32_e32 v119, 0x800000, v117
	v_cndmask_b32_e32 v118, 0, v118, vcc_lo
	v_cmp_eq_u32_e32 vcc_lo, 0, v115
	v_add_nc_u32_e32 v115, 0xffffff91, v115
	v_cndmask_b32_e64 v118, v118, 0x6f, vcc_lo
	v_cndmask_b32_e32 v117, v119, v117, vcc_lo
	v_cndmask_b32_e64 v115, v115, 0xffffff92, vcc_lo
	v_lshl_add_u32 v119, 0x200000, v118, -1
	v_lshrrev_b32_e32 v40, v118, v117
	v_lshlrev_b32_e64 v42, v118, 0x100000
	v_add_nc_u32_e32 v118, v118, v115
	v_and_b32_e32 v117, v119, v117
	v_bfe_u32 v41, v40, 21, 1
	v_cmp_eq_u32_e64 s13, v117, v42
	v_add_nc_u32_e32 v119, -1, v41
	v_cndmask_b32_e64 v117, 0, v119, s13
	v_lshrrev_b32_e32 v119, 23, v40
	s_mov_b32 s13, exec_lo
	v_add_nc_u32_e32 v117, v117, v40
	v_xor_b32_e32 v119, 1, v119
	v_and_b32_e32 v115, 0x1fffff, v117
	v_add_nc_u32_e32 v117, v115, v40
                                        ; implicit-def: $vgpr115
	v_cmpx_ne_u32_e64 v118, v119
	s_xor_b32 s13, exec_lo, s13
; %bb.906:                              ;   in Loop: Header=BB2_839 Depth=2
	v_cmp_lt_u32_e32 vcc_lo, 0xffffff, v117
	v_sub_nc_u32_e32 v115, v118, v119
	v_cndmask_b32_e64 v118, 0, 1, vcc_lo
	v_add_co_ci_u32_e64 v115, null, 0, v115, vcc_lo
	v_lshrrev_b32_e32 v117, v118, v117
; %bb.907:                              ;   in Loop: Header=BB2_839 Depth=2
	s_andn2_saveexec_b32 s13, s13
; %bb.908:                              ;   in Loop: Header=BB2_839 Depth=2
	v_bfe_u32 v115, v117, 23, 1
; %bb.909:                              ;   in Loop: Header=BB2_839 Depth=2
	s_or_b32 exec_lo, exec_lo, s13
	v_lshrrev_b32_e32 v117, 21, v117
	v_min_i32_e32 v118, 31, v115
	v_cmp_gt_i32_e32 vcc_lo, 32, v115
	v_and_b32_sdwa v116, v116, v97 dst_sel:DWORD dst_unused:UNUSED_PAD src0_sel:BYTE_3 src1_sel:DWORD
	v_lshlrev_b32_e32 v118, 2, v118
	v_cndmask_b32_e32 v117, 3, v117, vcc_lo
	v_and_b32_e32 v118, 0xfc, v118
	v_and_b32_e32 v119, 3, v117
	v_or_b32_e32 v115, v115, v117
	v_or3_b32 v116, v116, v118, v119
	v_cmp_ne_u32_e32 vcc_lo, 0, v115
	v_lshlrev_b32_e32 v116, 8, v116
	v_cndmask_b32_e32 v115, 0, v116, vcc_lo
.LBB2_910:                              ;   in Loop: Header=BB2_839 Depth=2
	s_or_b32 exec_lo, exec_lo, s41
.LBB2_911:                              ;   in Loop: Header=BB2_839 Depth=2
	s_or_b32 exec_lo, exec_lo, s40
	v_bfe_u32 v116, v10, 16, 2
	v_bfe_u32 v119, v10, 18, 5
	v_lshlrev_b32_e32 v40, 8, v10
	s_mov_b32 s40, -1
	v_ffbh_u32_e32 v117, v116
	v_cmp_eq_u32_e32 vcc_lo, 0, v119
	v_min_u32_e32 v117, 32, v117
	v_subrev_nc_u32_e32 v118, 29, v117
	v_sub_nc_u32_e32 v117, 30, v117
	v_lshlrev_b32_sdwa v118, v118, v10 dst_sel:DWORD dst_unused:UNUSED_PAD src0_sel:DWORD src1_sel:WORD_1
	v_cndmask_b32_e32 v117, v119, v117, vcc_lo
	v_and_b32_e32 v118, 3, v118
	v_lshl_add_u32 v119, v117, 23, 0x37800000
	v_and_b32_sdwa v117, v14, v100 dst_sel:DWORD dst_unused:UNUSED_PAD src0_sel:WORD_1 src1_sel:DWORD
	v_cndmask_b32_e32 v116, v116, v118, vcc_lo
	v_and_b32_e32 v118, 0x80000000, v40
	v_cmp_lt_i16_e64 s13, 0x7f, v117
	s_and_b32 vcc_lo, exec_lo, s29
	v_lshlrev_b32_e32 v116, 21, v116
	v_or3_b32 v116, v118, v119, v116
                                        ; implicit-def: $vgpr118
	s_cbranch_vccz .LBB2_925
; %bb.912:                              ;   in Loop: Header=BB2_839 Depth=2
	s_mov_b32 s40, 0
	s_and_saveexec_b32 s41, s13
	s_xor_b32 s13, exec_lo, s41
	s_cbranch_execz .LBB2_1429
; %bb.913:                              ;   in Loop: Header=BB2_839 Depth=2
	s_mov_b32 s40, -1
	s_mov_b32 s41, exec_lo
	v_cmpx_eq_u16_e32 0x80, v117
; %bb.914:                              ;   in Loop: Header=BB2_839 Depth=2
	s_xor_b32 s40, exec_lo, -1
; %bb.915:                              ;   in Loop: Header=BB2_839 Depth=2
	s_or_b32 exec_lo, exec_lo, s41
	s_and_b32 s40, s40, exec_lo
	s_or_saveexec_b32 s13, s13
	v_mov_b32_e32 v118, 0x7f800001
	s_xor_b32 exec_lo, exec_lo, s13
	s_cbranch_execnz .LBB2_1430
.LBB2_916:                              ;   in Loop: Header=BB2_839 Depth=2
	s_or_b32 exec_lo, exec_lo, s13
	s_and_saveexec_b32 s13, s40
	s_cbranch_execz .LBB2_918
.LBB2_917:                              ;   in Loop: Header=BB2_839 Depth=2
	v_bfe_u32 v118, v14, 16, 2
	v_bfe_u32 v41, v14, 18, 5
	v_lshlrev_b32_sdwa v42, v99, v14 dst_sel:DWORD dst_unused:UNUSED_PAD src0_sel:DWORD src1_sel:WORD_1
	v_ffbh_u32_e32 v119, v118
	v_cmp_eq_u32_e32 vcc_lo, 0, v41
	v_min_u32_e32 v119, 32, v119
	v_subrev_nc_u32_e32 v40, 29, v119
	v_sub_nc_u32_e32 v119, 30, v119
	v_lshlrev_b32_sdwa v40, v40, v14 dst_sel:DWORD dst_unused:UNUSED_PAD src0_sel:DWORD src1_sel:WORD_1
	v_cndmask_b32_e32 v119, v41, v119, vcc_lo
	v_and_b32_e32 v40, 3, v40
	v_lshl_add_u32 v119, v119, 23, 0x37800000
	v_cndmask_b32_e32 v118, v118, v40, vcc_lo
	v_and_b32_e32 v40, 0x80000000, v42
	v_lshlrev_b32_e32 v118, 21, v118
	v_or3_b32 v118, v40, v119, v118
.LBB2_918:                              ;   in Loop: Header=BB2_839 Depth=2
	s_or_b32 exec_lo, exec_lo, s13
	v_and_b32_sdwa v40, v10, v100 dst_sel:DWORD dst_unused:UNUSED_PAD src0_sel:WORD_1 src1_sel:DWORD
	s_mov_b32 s13, 0
	s_mov_b32 s40, exec_lo
	v_cmpx_lt_i16_e32 0x7f, v40
	s_xor_b32 s40, exec_lo, s40
	s_cbranch_execz .LBB2_1431
; %bb.919:                              ;   in Loop: Header=BB2_839 Depth=2
	s_mov_b32 s13, -1
	s_mov_b32 s41, exec_lo
	v_cmpx_eq_u16_e32 0x80, v40
; %bb.920:                              ;   in Loop: Header=BB2_839 Depth=2
	s_xor_b32 s13, exec_lo, -1
; %bb.921:                              ;   in Loop: Header=BB2_839 Depth=2
	s_or_b32 exec_lo, exec_lo, s41
	s_and_b32 s13, s13, exec_lo
                                        ; implicit-def: $vgpr40
	s_or_saveexec_b32 s40, s40
	v_mov_b32_e32 v119, 0x7f800001
	s_xor_b32 exec_lo, exec_lo, s40
	s_cbranch_execnz .LBB2_1432
.LBB2_922:                              ;   in Loop: Header=BB2_839 Depth=2
	s_or_b32 exec_lo, exec_lo, s40
	s_and_saveexec_b32 s40, s13
.LBB2_923:                              ;   in Loop: Header=BB2_839 Depth=2
	v_mov_b32_e32 v119, v116
.LBB2_924:                              ;   in Loop: Header=BB2_839 Depth=2
	s_or_b32 exec_lo, exec_lo, s40
	v_max_f32_e32 v119, v119, v119
	v_max_f32_e32 v118, v118, v118
	s_mov_b32 s40, 0
	v_max_f32_e32 v118, v118, v119
.LBB2_925:                              ;   in Loop: Header=BB2_839 Depth=2
	s_and_b32 vcc_lo, exec_lo, s40
	s_cbranch_vccz .LBB2_939
; %bb.926:                              ;   in Loop: Header=BB2_839 Depth=2
	s_mov_b32 s13, 0
	s_mov_b32 s40, exec_lo
	v_cmpx_lt_i16_e32 0x7f, v117
	s_xor_b32 s40, exec_lo, s40
	s_cbranch_execz .LBB2_1433
; %bb.927:                              ;   in Loop: Header=BB2_839 Depth=2
	s_mov_b32 s13, -1
	s_mov_b32 s41, exec_lo
	v_cmpx_eq_u16_e32 0x80, v117
; %bb.928:                              ;   in Loop: Header=BB2_839 Depth=2
	s_xor_b32 s13, exec_lo, -1
; %bb.929:                              ;   in Loop: Header=BB2_839 Depth=2
	s_or_b32 exec_lo, exec_lo, s41
	s_and_b32 s13, s13, exec_lo
                                        ; implicit-def: $vgpr117
	s_or_saveexec_b32 s40, s40
	v_mov_b32_e32 v118, 0x7f800001
	s_xor_b32 exec_lo, exec_lo, s40
	s_cbranch_execnz .LBB2_1434
.LBB2_930:                              ;   in Loop: Header=BB2_839 Depth=2
	s_or_b32 exec_lo, exec_lo, s40
	s_and_saveexec_b32 s40, s13
	s_cbranch_execz .LBB2_932
.LBB2_931:                              ;   in Loop: Header=BB2_839 Depth=2
	v_bfe_u32 v117, v14, 16, 2
	v_bfe_u32 v40, v14, 18, 5
	v_lshlrev_b32_sdwa v41, v99, v14 dst_sel:DWORD dst_unused:UNUSED_PAD src0_sel:DWORD src1_sel:WORD_1
	v_ffbh_u32_e32 v118, v117
	v_cmp_eq_u32_e32 vcc_lo, 0, v40
	v_min_u32_e32 v118, 32, v118
	v_subrev_nc_u32_e32 v119, 29, v118
	v_sub_nc_u32_e32 v118, 30, v118
	v_lshlrev_b32_sdwa v119, v119, v14 dst_sel:DWORD dst_unused:UNUSED_PAD src0_sel:DWORD src1_sel:WORD_1
	v_cndmask_b32_e32 v118, v40, v118, vcc_lo
	v_and_b32_e32 v119, 3, v119
	v_lshl_add_u32 v118, v118, 23, 0x37800000
	v_cndmask_b32_e32 v117, v117, v119, vcc_lo
	v_and_b32_e32 v119, 0x80000000, v41
	v_lshlrev_b32_e32 v117, 21, v117
	v_or3_b32 v118, v119, v118, v117
.LBB2_932:                              ;   in Loop: Header=BB2_839 Depth=2
	s_or_b32 exec_lo, exec_lo, s40
	v_and_b32_sdwa v119, v10, v100 dst_sel:DWORD dst_unused:UNUSED_PAD src0_sel:WORD_1 src1_sel:DWORD
	s_mov_b32 s13, 0
	s_mov_b32 s40, exec_lo
	v_cmpx_lt_i16_e32 0x7f, v119
	s_xor_b32 s40, exec_lo, s40
	s_cbranch_execz .LBB2_1435
; %bb.933:                              ;   in Loop: Header=BB2_839 Depth=2
	s_mov_b32 s13, -1
	s_mov_b32 s41, exec_lo
	v_cmpx_eq_u16_e32 0x80, v119
; %bb.934:                              ;   in Loop: Header=BB2_839 Depth=2
	s_xor_b32 s13, exec_lo, -1
; %bb.935:                              ;   in Loop: Header=BB2_839 Depth=2
	s_or_b32 exec_lo, exec_lo, s41
	s_and_b32 s13, s13, exec_lo
                                        ; implicit-def: $vgpr119
	s_or_saveexec_b32 s40, s40
	v_mov_b32_e32 v117, 0x7f800001
	s_xor_b32 exec_lo, exec_lo, s40
	s_cbranch_execnz .LBB2_1436
.LBB2_936:                              ;   in Loop: Header=BB2_839 Depth=2
	s_or_b32 exec_lo, exec_lo, s40
	s_and_saveexec_b32 s40, s13
.LBB2_937:                              ;   in Loop: Header=BB2_839 Depth=2
	v_mov_b32_e32 v117, v116
.LBB2_938:                              ;   in Loop: Header=BB2_839 Depth=2
	s_or_b32 exec_lo, exec_lo, s40
	v_max_f32_e32 v116, v117, v117
	v_max_f32_e32 v117, v118, v118
	v_min_f32_e32 v118, v117, v116
.LBB2_939:                              ;   in Loop: Header=BB2_839 Depth=2
	v_and_b32_e32 v116, 0x7f800000, v118
	v_cmp_ne_u32_e32 vcc_lo, 0x7f800000, v116
	v_mov_b32_e32 v116, 0x80
	s_and_saveexec_b32 s40, vcc_lo
	s_cbranch_execz .LBB2_947
; %bb.940:                              ;   in Loop: Header=BB2_839 Depth=2
	v_mov_b32_e32 v116, 0
	s_mov_b32 s41, exec_lo
	v_cmpx_ne_u32_e32 0, v118
	s_cbranch_execz .LBB2_946
; %bb.941:                              ;   in Loop: Header=BB2_839 Depth=2
	v_bfe_u32 v116, v118, 23, 8
	v_and_b32_e32 v117, 0x7fffff, v118
	v_sub_nc_u32_e32 v119, 0x70, v116
	v_cmp_gt_u32_e32 vcc_lo, 0x71, v116
	v_or_b32_e32 v40, 0x800000, v117
	v_cndmask_b32_e32 v119, 0, v119, vcc_lo
	v_cmp_eq_u32_e32 vcc_lo, 0, v116
	v_add_nc_u32_e32 v116, 0xffffff91, v116
	v_cndmask_b32_e64 v119, v119, 0x6f, vcc_lo
	v_cndmask_b32_e32 v117, v40, v117, vcc_lo
	v_cndmask_b32_e64 v116, v116, 0xffffff92, vcc_lo
	v_lshl_add_u32 v40, 0x200000, v119, -1
	v_lshrrev_b32_e32 v41, v119, v117
	v_lshlrev_b32_e64 v43, v119, 0x100000
	v_add_nc_u32_e32 v119, v119, v116
	v_and_b32_e32 v117, v40, v117
	v_bfe_u32 v42, v41, 21, 1
	v_cmp_eq_u32_e64 s13, v117, v43
	v_add_nc_u32_e32 v40, -1, v42
	v_cndmask_b32_e64 v117, 0, v40, s13
	v_lshrrev_b32_e32 v40, 23, v41
	s_mov_b32 s13, exec_lo
	v_add_nc_u32_e32 v117, v117, v41
	v_xor_b32_e32 v40, 1, v40
	v_and_b32_e32 v116, 0x1fffff, v117
	v_add_nc_u32_e32 v117, v116, v41
                                        ; implicit-def: $vgpr116
	v_cmpx_ne_u32_e64 v119, v40
	s_xor_b32 s13, exec_lo, s13
; %bb.942:                              ;   in Loop: Header=BB2_839 Depth=2
	v_cmp_lt_u32_e32 vcc_lo, 0xffffff, v117
	v_sub_nc_u32_e32 v116, v119, v40
	v_cndmask_b32_e64 v119, 0, 1, vcc_lo
	v_add_co_ci_u32_e64 v116, null, 0, v116, vcc_lo
	v_lshrrev_b32_e32 v117, v119, v117
; %bb.943:                              ;   in Loop: Header=BB2_839 Depth=2
	s_andn2_saveexec_b32 s13, s13
; %bb.944:                              ;   in Loop: Header=BB2_839 Depth=2
	v_bfe_u32 v116, v117, 23, 1
; %bb.945:                              ;   in Loop: Header=BB2_839 Depth=2
	s_or_b32 exec_lo, exec_lo, s13
	v_lshrrev_b32_e32 v117, 21, v117
	v_min_i32_e32 v119, 31, v116
	v_cmp_gt_i32_e32 vcc_lo, 32, v116
	v_and_b32_sdwa v118, v118, v97 dst_sel:DWORD dst_unused:UNUSED_PAD src0_sel:BYTE_3 src1_sel:DWORD
	v_lshlrev_b32_e32 v119, 2, v119
	v_cndmask_b32_e32 v117, 3, v117, vcc_lo
	v_and_b32_e32 v119, 0xfc, v119
	v_and_b32_e32 v40, 3, v117
	v_or_b32_e32 v116, v116, v117
	v_or3_b32 v117, v119, v118, v40
	v_cmp_ne_u32_e32 vcc_lo, 0, v116
	v_cndmask_b32_e32 v116, 0, v117, vcc_lo
.LBB2_946:                              ;   in Loop: Header=BB2_839 Depth=2
	s_or_b32 exec_lo, exec_lo, s41
.LBB2_947:                              ;   in Loop: Header=BB2_839 Depth=2
	s_or_b32 exec_lo, exec_lo, s40
	v_bfe_u32 v117, v10, 24, 2
	v_bfe_u32 v40, v10, 26, 5
	v_cmp_gt_i16_sdwa s40, v14, v96 src0_sel:BYTE_3 src1_sel:DWORD
	s_mov_b32 s13, -1
	v_ffbh_u32_e32 v118, v117
	v_cmp_eq_u32_e32 vcc_lo, 0, v40
	v_min_u32_e32 v118, 32, v118
	v_subrev_nc_u32_e32 v119, 29, v118
	v_sub_nc_u32_e32 v118, 30, v118
	v_lshlrev_b32_sdwa v119, v119, v10 dst_sel:DWORD dst_unused:UNUSED_PAD src0_sel:DWORD src1_sel:BYTE_3
	v_cndmask_b32_e32 v118, v40, v118, vcc_lo
	v_and_b32_e32 v119, 3, v119
	v_lshl_add_u32 v118, v118, 23, 0x37800000
	v_cndmask_b32_e32 v117, v117, v119, vcc_lo
	v_and_b32_e32 v119, 0x80000000, v10
	s_and_b32 vcc_lo, exec_lo, s29
	v_lshlrev_b32_e32 v117, 21, v117
	v_or3_b32 v117, v119, v118, v117
                                        ; implicit-def: $vgpr118
	s_cbranch_vccz .LBB2_961
; %bb.948:                              ;   in Loop: Header=BB2_839 Depth=2
	s_mov_b32 s13, 0
	s_and_saveexec_b32 s41, s40
	s_xor_b32 s40, exec_lo, s41
	s_cbranch_execz .LBB2_1437
; %bb.949:                              ;   in Loop: Header=BB2_839 Depth=2
	v_cmp_eq_u16_sdwa s42, v14, v97 src0_sel:BYTE_3 src1_sel:DWORD
	s_mov_b32 s13, -1
	s_and_saveexec_b32 s41, s42
; %bb.950:                              ;   in Loop: Header=BB2_839 Depth=2
	s_xor_b32 s13, exec_lo, -1
; %bb.951:                              ;   in Loop: Header=BB2_839 Depth=2
	s_or_b32 exec_lo, exec_lo, s41
	s_and_b32 s13, s13, exec_lo
	s_or_saveexec_b32 s40, s40
	v_mov_b32_e32 v118, 0x7f800001
	s_xor_b32 exec_lo, exec_lo, s40
	s_cbranch_execnz .LBB2_1438
.LBB2_952:                              ;   in Loop: Header=BB2_839 Depth=2
	s_or_b32 exec_lo, exec_lo, s40
	s_and_saveexec_b32 s40, s13
	s_cbranch_execz .LBB2_954
.LBB2_953:                              ;   in Loop: Header=BB2_839 Depth=2
	v_bfe_u32 v118, v14, 24, 2
	v_bfe_u32 v41, v14, 26, 5
	v_ffbh_u32_e32 v119, v118
	v_cmp_eq_u32_e32 vcc_lo, 0, v41
	v_min_u32_e32 v119, 32, v119
	v_subrev_nc_u32_e32 v40, 29, v119
	v_sub_nc_u32_e32 v119, 30, v119
	v_lshlrev_b32_sdwa v40, v40, v14 dst_sel:DWORD dst_unused:UNUSED_PAD src0_sel:DWORD src1_sel:BYTE_3
	v_cndmask_b32_e32 v119, v41, v119, vcc_lo
	v_and_b32_e32 v40, 3, v40
	v_lshl_add_u32 v119, v119, 23, 0x37800000
	v_cndmask_b32_e32 v118, v118, v40, vcc_lo
	v_and_b32_e32 v40, 0x80000000, v14
	v_lshlrev_b32_e32 v118, 21, v118
	v_or3_b32 v118, v40, v119, v118
.LBB2_954:                              ;   in Loop: Header=BB2_839 Depth=2
	s_or_b32 exec_lo, exec_lo, s40
	v_cmp_gt_i16_sdwa s40, v10, v96 src0_sel:BYTE_3 src1_sel:DWORD
	s_mov_b32 s13, 0
	s_and_saveexec_b32 s41, s40
	s_xor_b32 s40, exec_lo, s41
	s_cbranch_execz .LBB2_1439
; %bb.955:                              ;   in Loop: Header=BB2_839 Depth=2
	v_cmp_eq_u16_sdwa s42, v10, v97 src0_sel:BYTE_3 src1_sel:DWORD
	s_mov_b32 s13, -1
	s_and_saveexec_b32 s41, s42
; %bb.956:                              ;   in Loop: Header=BB2_839 Depth=2
	s_xor_b32 s13, exec_lo, -1
; %bb.957:                              ;   in Loop: Header=BB2_839 Depth=2
	s_or_b32 exec_lo, exec_lo, s41
	s_and_b32 s13, s13, exec_lo
	s_or_saveexec_b32 s40, s40
	v_mov_b32_e32 v119, 0x7f800001
	s_xor_b32 exec_lo, exec_lo, s40
	s_cbranch_execnz .LBB2_1440
.LBB2_958:                              ;   in Loop: Header=BB2_839 Depth=2
	s_or_b32 exec_lo, exec_lo, s40
	s_and_saveexec_b32 s40, s13
.LBB2_959:                              ;   in Loop: Header=BB2_839 Depth=2
	v_mov_b32_e32 v119, v117
.LBB2_960:                              ;   in Loop: Header=BB2_839 Depth=2
	s_or_b32 exec_lo, exec_lo, s40
	v_max_f32_e32 v119, v119, v119
	v_max_f32_e32 v118, v118, v118
	s_mov_b32 s13, 0
	v_max_f32_e32 v118, v118, v119
.LBB2_961:                              ;   in Loop: Header=BB2_839 Depth=2
	s_and_b32 vcc_lo, exec_lo, s13
	s_cbranch_vccz .LBB2_975
; %bb.962:                              ;   in Loop: Header=BB2_839 Depth=2
	v_cmp_gt_i16_sdwa s40, v14, v96 src0_sel:BYTE_3 src1_sel:DWORD
	s_mov_b32 s13, 0
	s_and_saveexec_b32 s41, s40
	s_xor_b32 s40, exec_lo, s41
	s_cbranch_execz .LBB2_1441
; %bb.963:                              ;   in Loop: Header=BB2_839 Depth=2
	v_cmp_eq_u16_sdwa s42, v14, v97 src0_sel:BYTE_3 src1_sel:DWORD
	s_mov_b32 s13, -1
	s_and_saveexec_b32 s41, s42
; %bb.964:                              ;   in Loop: Header=BB2_839 Depth=2
	s_xor_b32 s13, exec_lo, -1
; %bb.965:                              ;   in Loop: Header=BB2_839 Depth=2
	s_or_b32 exec_lo, exec_lo, s41
	s_and_b32 s13, s13, exec_lo
	s_or_saveexec_b32 s40, s40
	v_mov_b32_e32 v118, 0x7f800001
	s_xor_b32 exec_lo, exec_lo, s40
	s_cbranch_execnz .LBB2_1442
.LBB2_966:                              ;   in Loop: Header=BB2_839 Depth=2
	s_or_b32 exec_lo, exec_lo, s40
	s_and_saveexec_b32 s40, s13
	s_cbranch_execz .LBB2_968
.LBB2_967:                              ;   in Loop: Header=BB2_839 Depth=2
	v_bfe_u32 v118, v14, 24, 2
	v_bfe_u32 v41, v14, 26, 5
	v_ffbh_u32_e32 v119, v118
	v_cmp_eq_u32_e32 vcc_lo, 0, v41
	v_min_u32_e32 v119, 32, v119
	v_subrev_nc_u32_e32 v40, 29, v119
	v_sub_nc_u32_e32 v119, 30, v119
	v_lshlrev_b32_sdwa v40, v40, v14 dst_sel:DWORD dst_unused:UNUSED_PAD src0_sel:DWORD src1_sel:BYTE_3
	v_cndmask_b32_e32 v119, v41, v119, vcc_lo
	v_and_b32_e32 v14, 0x80000000, v14
	v_and_b32_e32 v40, 3, v40
	v_lshl_add_u32 v119, v119, 23, 0x37800000
	v_cndmask_b32_e32 v118, v118, v40, vcc_lo
	v_lshlrev_b32_e32 v118, 21, v118
	v_or3_b32 v118, v14, v119, v118
.LBB2_968:                              ;   in Loop: Header=BB2_839 Depth=2
	s_or_b32 exec_lo, exec_lo, s40
	v_cmp_gt_i16_sdwa s40, v10, v96 src0_sel:BYTE_3 src1_sel:DWORD
	s_mov_b32 s13, 0
	s_and_saveexec_b32 s41, s40
	s_xor_b32 s40, exec_lo, s41
	s_cbranch_execz .LBB2_1443
; %bb.969:                              ;   in Loop: Header=BB2_839 Depth=2
	v_cmp_eq_u16_sdwa s42, v10, v97 src0_sel:BYTE_3 src1_sel:DWORD
	s_mov_b32 s13, -1
	s_and_saveexec_b32 s41, s42
; %bb.970:                              ;   in Loop: Header=BB2_839 Depth=2
	s_xor_b32 s13, exec_lo, -1
; %bb.971:                              ;   in Loop: Header=BB2_839 Depth=2
	s_or_b32 exec_lo, exec_lo, s41
	s_and_b32 s13, s13, exec_lo
	s_or_saveexec_b32 s40, s40
	v_mov_b32_e32 v14, 0x7f800001
	s_xor_b32 exec_lo, exec_lo, s40
	s_cbranch_execnz .LBB2_1444
.LBB2_972:                              ;   in Loop: Header=BB2_839 Depth=2
	s_or_b32 exec_lo, exec_lo, s40
	s_and_saveexec_b32 s40, s13
.LBB2_973:                              ;   in Loop: Header=BB2_839 Depth=2
	v_mov_b32_e32 v14, v117
.LBB2_974:                              ;   in Loop: Header=BB2_839 Depth=2
	s_or_b32 exec_lo, exec_lo, s40
	v_max_f32_e32 v10, v14, v14
	v_max_f32_e32 v14, v118, v118
	v_min_f32_e32 v118, v14, v10
.LBB2_975:                              ;   in Loop: Header=BB2_839 Depth=2
	v_and_b32_e32 v10, 0x7f800000, v118
	v_mov_b32_e32 v14, 0x8000
	s_mov_b32 s40, exec_lo
	v_cmpx_ne_u32_e32 0x7f800000, v10
	s_cbranch_execz .LBB2_983
; %bb.976:                              ;   in Loop: Header=BB2_839 Depth=2
	v_mov_b32_e32 v14, 0
	s_mov_b32 s41, exec_lo
	v_cmpx_ne_u32_e32 0, v118
	s_cbranch_execz .LBB2_982
; %bb.977:                              ;   in Loop: Header=BB2_839 Depth=2
	v_bfe_u32 v10, v118, 23, 8
	v_and_b32_e32 v14, 0x7fffff, v118
	v_sub_nc_u32_e32 v117, 0x70, v10
	v_cmp_gt_u32_e32 vcc_lo, 0x71, v10
	v_or_b32_e32 v119, 0x800000, v14
	v_cndmask_b32_e32 v117, 0, v117, vcc_lo
	v_cmp_eq_u32_e32 vcc_lo, 0, v10
	v_add_nc_u32_e32 v10, 0xffffff91, v10
	v_cndmask_b32_e64 v117, v117, 0x6f, vcc_lo
	v_cndmask_b32_e32 v14, v119, v14, vcc_lo
	v_cndmask_b32_e64 v10, v10, 0xffffff92, vcc_lo
	v_lshl_add_u32 v119, 0x200000, v117, -1
	v_lshrrev_b32_e32 v40, v117, v14
	v_lshlrev_b32_e64 v42, v117, 0x100000
	v_add_nc_u32_e32 v117, v117, v10
	v_and_b32_e32 v14, v119, v14
	v_bfe_u32 v41, v40, 21, 1
	v_cmp_eq_u32_e64 s13, v14, v42
	v_add_nc_u32_e32 v119, -1, v41
	v_cndmask_b32_e64 v14, 0, v119, s13
	v_lshrrev_b32_e32 v119, 23, v40
	s_mov_b32 s13, exec_lo
	v_add_nc_u32_e32 v14, v14, v40
	v_xor_b32_e32 v119, 1, v119
	v_and_b32_e32 v10, 0x1fffff, v14
	v_add_nc_u32_e32 v14, v10, v40
                                        ; implicit-def: $vgpr10
	v_cmpx_ne_u32_e64 v117, v119
	s_xor_b32 s13, exec_lo, s13
; %bb.978:                              ;   in Loop: Header=BB2_839 Depth=2
	v_cmp_lt_u32_e32 vcc_lo, 0xffffff, v14
	v_sub_nc_u32_e32 v10, v117, v119
	v_cndmask_b32_e64 v117, 0, 1, vcc_lo
	v_add_co_ci_u32_e64 v10, null, 0, v10, vcc_lo
	v_lshrrev_b32_e32 v14, v117, v14
; %bb.979:                              ;   in Loop: Header=BB2_839 Depth=2
	s_andn2_saveexec_b32 s13, s13
; %bb.980:                              ;   in Loop: Header=BB2_839 Depth=2
	v_bfe_u32 v10, v14, 23, 1
; %bb.981:                              ;   in Loop: Header=BB2_839 Depth=2
	s_or_b32 exec_lo, exec_lo, s13
	v_lshrrev_b32_e32 v14, 21, v14
	v_min_i32_e32 v117, 31, v10
	v_cmp_gt_i32_e32 vcc_lo, 32, v10
	v_and_b32_sdwa v118, v118, v97 dst_sel:DWORD dst_unused:UNUSED_PAD src0_sel:BYTE_3 src1_sel:DWORD
	v_lshlrev_b32_e32 v117, 2, v117
	v_cndmask_b32_e32 v14, 3, v14, vcc_lo
	v_and_b32_e32 v117, 0xfc, v117
	v_and_b32_e32 v119, 3, v14
	v_or_b32_e32 v10, v10, v14
	v_or3_b32 v117, v118, v117, v119
	v_cmp_ne_u32_e32 vcc_lo, 0, v10
	v_lshlrev_b32_e32 v14, 8, v117
	v_cndmask_b32_e32 v14, 0, v14, vcc_lo
.LBB2_982:                              ;   in Loop: Header=BB2_839 Depth=2
	s_or_b32 exec_lo, exec_lo, s41
.LBB2_983:                              ;   in Loop: Header=BB2_839 Depth=2
	s_or_b32 exec_lo, exec_lo, s40
	v_and_b32_e32 v10, 3, v11
	v_bfe_u32 v119, v11, 2, 5
	v_lshlrev_b32_e32 v40, 24, v11
	v_cmp_gt_i16_sdwa s40, v15, v96 src0_sel:BYTE_0 src1_sel:DWORD
	s_mov_b32 s13, -1
	v_ffbh_u32_e32 v117, v10
	v_cmp_eq_u32_e32 vcc_lo, 0, v119
	v_min_u32_e32 v117, 32, v117
	v_subrev_nc_u32_e32 v118, 29, v117
	v_sub_nc_u32_e32 v117, 30, v117
	v_lshlrev_b32_e32 v118, v118, v11
	v_cndmask_b32_e32 v117, v119, v117, vcc_lo
	v_and_b32_e32 v118, 3, v118
	v_lshl_add_u32 v117, v117, 23, 0x37800000
	v_cndmask_b32_e32 v10, v10, v118, vcc_lo
	v_and_b32_e32 v118, 0x80000000, v40
	s_and_b32 vcc_lo, exec_lo, s29
	v_lshlrev_b32_e32 v10, 21, v10
	v_or3_b32 v10, v118, v117, v10
                                        ; implicit-def: $vgpr118
	s_cbranch_vccz .LBB2_997
; %bb.984:                              ;   in Loop: Header=BB2_839 Depth=2
	s_mov_b32 s13, 0
	s_and_saveexec_b32 s41, s40
	s_xor_b32 s40, exec_lo, s41
	s_cbranch_execz .LBB2_1445
; %bb.985:                              ;   in Loop: Header=BB2_839 Depth=2
	v_cmp_eq_u16_sdwa s42, v15, v97 src0_sel:BYTE_0 src1_sel:DWORD
	s_mov_b32 s13, -1
	s_and_saveexec_b32 s41, s42
; %bb.986:                              ;   in Loop: Header=BB2_839 Depth=2
	s_xor_b32 s13, exec_lo, -1
; %bb.987:                              ;   in Loop: Header=BB2_839 Depth=2
	s_or_b32 exec_lo, exec_lo, s41
	s_and_b32 s13, s13, exec_lo
	s_or_saveexec_b32 s40, s40
	v_mov_b32_e32 v117, 0x7f800001
	s_xor_b32 exec_lo, exec_lo, s40
	s_cbranch_execnz .LBB2_1446
.LBB2_988:                              ;   in Loop: Header=BB2_839 Depth=2
	s_or_b32 exec_lo, exec_lo, s40
	s_and_saveexec_b32 s40, s13
	s_cbranch_execz .LBB2_990
.LBB2_989:                              ;   in Loop: Header=BB2_839 Depth=2
	v_and_b32_e32 v117, 3, v15
	v_bfe_u32 v40, v15, 2, 5
	v_lshlrev_b32_e32 v41, 24, v15
	v_ffbh_u32_e32 v118, v117
	v_cmp_eq_u32_e32 vcc_lo, 0, v40
	v_min_u32_e32 v118, 32, v118
	v_subrev_nc_u32_e32 v119, 29, v118
	v_sub_nc_u32_e32 v118, 30, v118
	v_lshlrev_b32_e32 v119, v119, v15
	v_cndmask_b32_e32 v118, v40, v118, vcc_lo
	v_and_b32_e32 v119, 3, v119
	v_lshl_add_u32 v118, v118, 23, 0x37800000
	v_cndmask_b32_e32 v117, v117, v119, vcc_lo
	v_and_b32_e32 v119, 0x80000000, v41
	v_lshlrev_b32_e32 v117, 21, v117
	v_or3_b32 v117, v119, v118, v117
.LBB2_990:                              ;   in Loop: Header=BB2_839 Depth=2
	s_or_b32 exec_lo, exec_lo, s40
	v_cmp_gt_i16_sdwa s40, v11, v96 src0_sel:BYTE_0 src1_sel:DWORD
	s_mov_b32 s13, 0
	s_and_saveexec_b32 s41, s40
	s_xor_b32 s40, exec_lo, s41
	s_cbranch_execz .LBB2_1447
; %bb.991:                              ;   in Loop: Header=BB2_839 Depth=2
	v_cmp_eq_u16_sdwa s42, v11, v97 src0_sel:BYTE_0 src1_sel:DWORD
	s_mov_b32 s13, -1
	s_and_saveexec_b32 s41, s42
; %bb.992:                              ;   in Loop: Header=BB2_839 Depth=2
	s_xor_b32 s13, exec_lo, -1
; %bb.993:                              ;   in Loop: Header=BB2_839 Depth=2
	s_or_b32 exec_lo, exec_lo, s41
	s_and_b32 s13, s13, exec_lo
	s_or_saveexec_b32 s40, s40
	v_mov_b32_e32 v118, 0x7f800001
	s_xor_b32 exec_lo, exec_lo, s40
	s_cbranch_execnz .LBB2_1448
.LBB2_994:                              ;   in Loop: Header=BB2_839 Depth=2
	s_or_b32 exec_lo, exec_lo, s40
	s_and_saveexec_b32 s40, s13
.LBB2_995:                              ;   in Loop: Header=BB2_839 Depth=2
	v_mov_b32_e32 v118, v10
.LBB2_996:                              ;   in Loop: Header=BB2_839 Depth=2
	s_or_b32 exec_lo, exec_lo, s40
	v_max_f32_e32 v118, v118, v118
	v_max_f32_e32 v117, v117, v117
	s_mov_b32 s13, 0
	v_max_f32_e32 v118, v117, v118
.LBB2_997:                              ;   in Loop: Header=BB2_839 Depth=2
	s_and_b32 vcc_lo, exec_lo, s13
	s_cbranch_vccz .LBB2_1011
; %bb.998:                              ;   in Loop: Header=BB2_839 Depth=2
	v_cmp_gt_i16_sdwa s40, v15, v96 src0_sel:BYTE_0 src1_sel:DWORD
	s_mov_b32 s13, 0
	s_and_saveexec_b32 s41, s40
	s_xor_b32 s40, exec_lo, s41
	s_cbranch_execz .LBB2_1449
; %bb.999:                              ;   in Loop: Header=BB2_839 Depth=2
	v_cmp_eq_u16_sdwa s42, v15, v97 src0_sel:BYTE_0 src1_sel:DWORD
	s_mov_b32 s13, -1
	s_and_saveexec_b32 s41, s42
; %bb.1000:                             ;   in Loop: Header=BB2_839 Depth=2
	s_xor_b32 s13, exec_lo, -1
; %bb.1001:                             ;   in Loop: Header=BB2_839 Depth=2
	s_or_b32 exec_lo, exec_lo, s41
	s_and_b32 s13, s13, exec_lo
	s_or_saveexec_b32 s40, s40
	v_mov_b32_e32 v117, 0x7f800001
	s_xor_b32 exec_lo, exec_lo, s40
	s_cbranch_execnz .LBB2_1450
.LBB2_1002:                             ;   in Loop: Header=BB2_839 Depth=2
	s_or_b32 exec_lo, exec_lo, s40
	s_and_saveexec_b32 s40, s13
	s_cbranch_execz .LBB2_1004
.LBB2_1003:                             ;   in Loop: Header=BB2_839 Depth=2
	v_and_b32_e32 v117, 3, v15
	v_bfe_u32 v40, v15, 2, 5
	v_lshlrev_b32_e32 v41, 24, v15
	v_ffbh_u32_e32 v118, v117
	v_cmp_eq_u32_e32 vcc_lo, 0, v40
	v_min_u32_e32 v118, 32, v118
	v_subrev_nc_u32_e32 v119, 29, v118
	v_sub_nc_u32_e32 v118, 30, v118
	v_lshlrev_b32_e32 v119, v119, v15
	v_cndmask_b32_e32 v118, v40, v118, vcc_lo
	v_and_b32_e32 v119, 3, v119
	v_lshl_add_u32 v118, v118, 23, 0x37800000
	v_cndmask_b32_e32 v117, v117, v119, vcc_lo
	v_and_b32_e32 v119, 0x80000000, v41
	v_lshlrev_b32_e32 v117, 21, v117
	v_or3_b32 v117, v119, v118, v117
.LBB2_1004:                             ;   in Loop: Header=BB2_839 Depth=2
	s_or_b32 exec_lo, exec_lo, s40
	v_cmp_gt_i16_sdwa s40, v11, v96 src0_sel:BYTE_0 src1_sel:DWORD
	s_mov_b32 s13, 0
	s_and_saveexec_b32 s41, s40
	s_xor_b32 s40, exec_lo, s41
	s_cbranch_execz .LBB2_1451
; %bb.1005:                             ;   in Loop: Header=BB2_839 Depth=2
	v_cmp_eq_u16_sdwa s42, v11, v97 src0_sel:BYTE_0 src1_sel:DWORD
	s_mov_b32 s13, -1
	s_and_saveexec_b32 s41, s42
; %bb.1006:                             ;   in Loop: Header=BB2_839 Depth=2
	s_xor_b32 s13, exec_lo, -1
; %bb.1007:                             ;   in Loop: Header=BB2_839 Depth=2
	s_or_b32 exec_lo, exec_lo, s41
	s_and_b32 s13, s13, exec_lo
	s_or_saveexec_b32 s40, s40
	v_mov_b32_e32 v118, 0x7f800001
	s_xor_b32 exec_lo, exec_lo, s40
	s_cbranch_execnz .LBB2_1452
.LBB2_1008:                             ;   in Loop: Header=BB2_839 Depth=2
	s_or_b32 exec_lo, exec_lo, s40
	s_and_saveexec_b32 s40, s13
.LBB2_1009:                             ;   in Loop: Header=BB2_839 Depth=2
	v_mov_b32_e32 v118, v10
.LBB2_1010:                             ;   in Loop: Header=BB2_839 Depth=2
	s_or_b32 exec_lo, exec_lo, s40
	v_max_f32_e32 v10, v118, v118
	v_max_f32_e32 v117, v117, v117
	v_min_f32_e32 v118, v117, v10
.LBB2_1011:                             ;   in Loop: Header=BB2_839 Depth=2
	v_and_b32_e32 v10, 0x7f800000, v118
	v_mov_b32_e32 v117, 0x80
	s_mov_b32 s40, exec_lo
	v_cmpx_ne_u32_e32 0x7f800000, v10
	s_cbranch_execz .LBB2_1019
; %bb.1012:                             ;   in Loop: Header=BB2_839 Depth=2
	v_mov_b32_e32 v117, 0
	s_mov_b32 s41, exec_lo
	v_cmpx_ne_u32_e32 0, v118
	s_cbranch_execz .LBB2_1018
; %bb.1013:                             ;   in Loop: Header=BB2_839 Depth=2
	v_bfe_u32 v10, v118, 23, 8
	v_and_b32_e32 v117, 0x7fffff, v118
	v_sub_nc_u32_e32 v119, 0x70, v10
	v_cmp_gt_u32_e32 vcc_lo, 0x71, v10
	v_or_b32_e32 v40, 0x800000, v117
	v_cndmask_b32_e32 v119, 0, v119, vcc_lo
	v_cmp_eq_u32_e32 vcc_lo, 0, v10
	v_add_nc_u32_e32 v10, 0xffffff91, v10
	v_cndmask_b32_e64 v119, v119, 0x6f, vcc_lo
	v_cndmask_b32_e32 v117, v40, v117, vcc_lo
	v_cndmask_b32_e64 v10, v10, 0xffffff92, vcc_lo
	v_lshl_add_u32 v40, 0x200000, v119, -1
	v_lshrrev_b32_e32 v41, v119, v117
	v_lshlrev_b32_e64 v43, v119, 0x100000
	v_add_nc_u32_e32 v119, v119, v10
	v_and_b32_e32 v117, v40, v117
	v_bfe_u32 v42, v41, 21, 1
	v_cmp_eq_u32_e64 s13, v117, v43
	v_add_nc_u32_e32 v40, -1, v42
	v_cndmask_b32_e64 v117, 0, v40, s13
	v_lshrrev_b32_e32 v40, 23, v41
	s_mov_b32 s13, exec_lo
	v_add_nc_u32_e32 v117, v117, v41
	v_xor_b32_e32 v40, 1, v40
	v_and_b32_e32 v10, 0x1fffff, v117
	v_add_nc_u32_e32 v117, v10, v41
                                        ; implicit-def: $vgpr10
	v_cmpx_ne_u32_e64 v119, v40
	s_xor_b32 s13, exec_lo, s13
; %bb.1014:                             ;   in Loop: Header=BB2_839 Depth=2
	v_cmp_lt_u32_e32 vcc_lo, 0xffffff, v117
	v_sub_nc_u32_e32 v10, v119, v40
	v_cndmask_b32_e64 v119, 0, 1, vcc_lo
	v_add_co_ci_u32_e64 v10, null, 0, v10, vcc_lo
	v_lshrrev_b32_e32 v117, v119, v117
; %bb.1015:                             ;   in Loop: Header=BB2_839 Depth=2
	s_andn2_saveexec_b32 s13, s13
; %bb.1016:                             ;   in Loop: Header=BB2_839 Depth=2
	v_bfe_u32 v10, v117, 23, 1
; %bb.1017:                             ;   in Loop: Header=BB2_839 Depth=2
	s_or_b32 exec_lo, exec_lo, s13
	v_lshrrev_b32_e32 v117, 21, v117
	v_min_i32_e32 v119, 31, v10
	v_cmp_gt_i32_e32 vcc_lo, 32, v10
	v_and_b32_sdwa v118, v118, v97 dst_sel:DWORD dst_unused:UNUSED_PAD src0_sel:BYTE_3 src1_sel:DWORD
	v_lshlrev_b32_e32 v119, 2, v119
	v_cndmask_b32_e32 v117, 3, v117, vcc_lo
	v_and_b32_e32 v119, 0xfc, v119
	v_and_b32_e32 v40, 3, v117
	v_or_b32_e32 v10, v10, v117
	v_or3_b32 v117, v119, v118, v40
	v_cmp_ne_u32_e32 vcc_lo, 0, v10
	v_cndmask_b32_e32 v117, 0, v117, vcc_lo
.LBB2_1018:                             ;   in Loop: Header=BB2_839 Depth=2
	s_or_b32 exec_lo, exec_lo, s41
.LBB2_1019:                             ;   in Loop: Header=BB2_839 Depth=2
	s_or_b32 exec_lo, exec_lo, s40
	v_and_b32_sdwa v10, v98, v11 dst_sel:DWORD dst_unused:UNUSED_PAD src0_sel:DWORD src1_sel:BYTE_1
	v_cmp_gt_i16_sdwa s40, v15, v96 src0_sel:BYTE_1 src1_sel:DWORD
	s_mov_b32 s13, -1
	v_and_b32_e32 v118, 3, v10
	v_bfe_u32 v41, v10, 2, 5
	v_ffbh_u32_e32 v119, v118
	v_cmp_eq_u32_e32 vcc_lo, 0, v41
	v_min_u32_e32 v119, 32, v119
	v_subrev_nc_u32_e32 v40, 29, v119
	v_sub_nc_u32_e32 v119, 30, v119
	v_lshlrev_b32_e32 v10, v40, v10
	v_lshlrev_b32_sdwa v40, v99, v11 dst_sel:DWORD dst_unused:UNUSED_PAD src0_sel:DWORD src1_sel:BYTE_1
	v_cndmask_b32_e32 v119, v41, v119, vcc_lo
	v_and_b32_e32 v10, 3, v10
	v_lshl_add_u32 v119, v119, 23, 0x37800000
	v_cndmask_b32_e32 v10, v118, v10, vcc_lo
	v_and_b32_e32 v118, 0x80000000, v40
	s_and_b32 vcc_lo, exec_lo, s29
	v_lshlrev_b32_e32 v10, 21, v10
	v_or3_b32 v10, v118, v119, v10
                                        ; implicit-def: $vgpr119
	s_cbranch_vccz .LBB2_1033
; %bb.1020:                             ;   in Loop: Header=BB2_839 Depth=2
	s_mov_b32 s13, 0
	s_and_saveexec_b32 s41, s40
	s_xor_b32 s40, exec_lo, s41
	s_cbranch_execz .LBB2_1453
; %bb.1021:                             ;   in Loop: Header=BB2_839 Depth=2
	v_cmp_eq_u16_sdwa s42, v15, v97 src0_sel:BYTE_1 src1_sel:DWORD
	s_mov_b32 s13, -1
	s_and_saveexec_b32 s41, s42
; %bb.1022:                             ;   in Loop: Header=BB2_839 Depth=2
	s_xor_b32 s13, exec_lo, -1
; %bb.1023:                             ;   in Loop: Header=BB2_839 Depth=2
	s_or_b32 exec_lo, exec_lo, s41
	s_and_b32 s13, s13, exec_lo
	s_or_saveexec_b32 s40, s40
	v_mov_b32_e32 v118, 0x7f800001
	s_xor_b32 exec_lo, exec_lo, s40
	s_cbranch_execnz .LBB2_1454
.LBB2_1024:                             ;   in Loop: Header=BB2_839 Depth=2
	s_or_b32 exec_lo, exec_lo, s40
	s_and_saveexec_b32 s40, s13
	s_cbranch_execz .LBB2_1026
.LBB2_1025:                             ;   in Loop: Header=BB2_839 Depth=2
	v_and_b32_sdwa v118, v98, v15 dst_sel:DWORD dst_unused:UNUSED_PAD src0_sel:DWORD src1_sel:BYTE_1
	v_and_b32_e32 v119, 3, v118
	v_bfe_u32 v42, v118, 2, 5
	v_ffbh_u32_e32 v40, v119
	v_cmp_eq_u32_e32 vcc_lo, 0, v42
	v_min_u32_e32 v40, 32, v40
	v_subrev_nc_u32_e32 v41, 29, v40
	v_sub_nc_u32_e32 v40, 30, v40
	v_lshlrev_b32_e32 v118, v41, v118
	v_lshlrev_b32_e32 v41, 16, v15
	v_cndmask_b32_e32 v40, v42, v40, vcc_lo
	v_and_b32_e32 v118, 3, v118
	v_lshl_add_u32 v40, v40, 23, 0x37800000
	v_cndmask_b32_e32 v118, v119, v118, vcc_lo
	v_and_b32_e32 v119, 0x80000000, v41
	v_lshlrev_b32_e32 v118, 21, v118
	v_or3_b32 v118, v119, v40, v118
.LBB2_1026:                             ;   in Loop: Header=BB2_839 Depth=2
	s_or_b32 exec_lo, exec_lo, s40
	v_cmp_gt_i16_sdwa s40, v11, v96 src0_sel:BYTE_1 src1_sel:DWORD
	s_mov_b32 s13, 0
	s_and_saveexec_b32 s41, s40
	s_xor_b32 s40, exec_lo, s41
	s_cbranch_execz .LBB2_1455
; %bb.1027:                             ;   in Loop: Header=BB2_839 Depth=2
	v_cmp_eq_u16_sdwa s42, v11, v97 src0_sel:BYTE_1 src1_sel:DWORD
	s_mov_b32 s13, -1
	s_and_saveexec_b32 s41, s42
; %bb.1028:                             ;   in Loop: Header=BB2_839 Depth=2
	s_xor_b32 s13, exec_lo, -1
; %bb.1029:                             ;   in Loop: Header=BB2_839 Depth=2
	s_or_b32 exec_lo, exec_lo, s41
	s_and_b32 s13, s13, exec_lo
	s_or_saveexec_b32 s40, s40
	v_mov_b32_e32 v119, 0x7f800001
	s_xor_b32 exec_lo, exec_lo, s40
	s_cbranch_execnz .LBB2_1456
.LBB2_1030:                             ;   in Loop: Header=BB2_839 Depth=2
	s_or_b32 exec_lo, exec_lo, s40
	s_and_saveexec_b32 s40, s13
.LBB2_1031:                             ;   in Loop: Header=BB2_839 Depth=2
	v_mov_b32_e32 v119, v10
.LBB2_1032:                             ;   in Loop: Header=BB2_839 Depth=2
	s_or_b32 exec_lo, exec_lo, s40
	v_max_f32_e32 v119, v119, v119
	v_max_f32_e32 v118, v118, v118
	s_mov_b32 s13, 0
	v_max_f32_e32 v119, v118, v119
.LBB2_1033:                             ;   in Loop: Header=BB2_839 Depth=2
	s_and_b32 vcc_lo, exec_lo, s13
	s_cbranch_vccz .LBB2_1047
; %bb.1034:                             ;   in Loop: Header=BB2_839 Depth=2
	v_cmp_gt_i16_sdwa s40, v15, v96 src0_sel:BYTE_1 src1_sel:DWORD
	s_mov_b32 s13, 0
	s_and_saveexec_b32 s41, s40
	s_xor_b32 s40, exec_lo, s41
	s_cbranch_execz .LBB2_1457
; %bb.1035:                             ;   in Loop: Header=BB2_839 Depth=2
	v_cmp_eq_u16_sdwa s42, v15, v97 src0_sel:BYTE_1 src1_sel:DWORD
	s_mov_b32 s13, -1
	s_and_saveexec_b32 s41, s42
; %bb.1036:                             ;   in Loop: Header=BB2_839 Depth=2
	s_xor_b32 s13, exec_lo, -1
; %bb.1037:                             ;   in Loop: Header=BB2_839 Depth=2
	s_or_b32 exec_lo, exec_lo, s41
	s_and_b32 s13, s13, exec_lo
	s_or_saveexec_b32 s40, s40
	v_mov_b32_e32 v118, 0x7f800001
	s_xor_b32 exec_lo, exec_lo, s40
	s_cbranch_execnz .LBB2_1458
.LBB2_1038:                             ;   in Loop: Header=BB2_839 Depth=2
	s_or_b32 exec_lo, exec_lo, s40
	s_and_saveexec_b32 s40, s13
	s_cbranch_execz .LBB2_1040
.LBB2_1039:                             ;   in Loop: Header=BB2_839 Depth=2
	v_and_b32_sdwa v118, v98, v15 dst_sel:DWORD dst_unused:UNUSED_PAD src0_sel:DWORD src1_sel:BYTE_1
	v_and_b32_e32 v119, 3, v118
	v_bfe_u32 v42, v118, 2, 5
	v_ffbh_u32_e32 v40, v119
	v_cmp_eq_u32_e32 vcc_lo, 0, v42
	v_min_u32_e32 v40, 32, v40
	v_subrev_nc_u32_e32 v41, 29, v40
	v_sub_nc_u32_e32 v40, 30, v40
	v_lshlrev_b32_e32 v118, v41, v118
	v_lshlrev_b32_e32 v41, 16, v15
	v_cndmask_b32_e32 v40, v42, v40, vcc_lo
	v_and_b32_e32 v118, 3, v118
	v_lshl_add_u32 v40, v40, 23, 0x37800000
	v_cndmask_b32_e32 v118, v119, v118, vcc_lo
	v_and_b32_e32 v119, 0x80000000, v41
	v_lshlrev_b32_e32 v118, 21, v118
	v_or3_b32 v118, v119, v40, v118
.LBB2_1040:                             ;   in Loop: Header=BB2_839 Depth=2
	s_or_b32 exec_lo, exec_lo, s40
	v_cmp_gt_i16_sdwa s40, v11, v96 src0_sel:BYTE_1 src1_sel:DWORD
	s_mov_b32 s13, 0
	s_and_saveexec_b32 s41, s40
	s_xor_b32 s40, exec_lo, s41
	s_cbranch_execz .LBB2_1459
; %bb.1041:                             ;   in Loop: Header=BB2_839 Depth=2
	v_cmp_eq_u16_sdwa s42, v11, v97 src0_sel:BYTE_1 src1_sel:DWORD
	s_mov_b32 s13, -1
	s_and_saveexec_b32 s41, s42
; %bb.1042:                             ;   in Loop: Header=BB2_839 Depth=2
	s_xor_b32 s13, exec_lo, -1
; %bb.1043:                             ;   in Loop: Header=BB2_839 Depth=2
	s_or_b32 exec_lo, exec_lo, s41
	s_and_b32 s13, s13, exec_lo
	s_or_saveexec_b32 s40, s40
	v_mov_b32_e32 v119, 0x7f800001
	s_xor_b32 exec_lo, exec_lo, s40
	s_cbranch_execnz .LBB2_1460
.LBB2_1044:                             ;   in Loop: Header=BB2_839 Depth=2
	s_or_b32 exec_lo, exec_lo, s40
	s_and_saveexec_b32 s40, s13
.LBB2_1045:                             ;   in Loop: Header=BB2_839 Depth=2
	v_mov_b32_e32 v119, v10
.LBB2_1046:                             ;   in Loop: Header=BB2_839 Depth=2
	s_or_b32 exec_lo, exec_lo, s40
	v_max_f32_e32 v10, v119, v119
	v_max_f32_e32 v118, v118, v118
	v_min_f32_e32 v119, v118, v10
.LBB2_1047:                             ;   in Loop: Header=BB2_839 Depth=2
	v_and_b32_e32 v10, 0x7f800000, v119
	v_mov_b32_e32 v118, 0x8000
	s_mov_b32 s40, exec_lo
	v_cmpx_ne_u32_e32 0x7f800000, v10
	s_cbranch_execz .LBB2_1055
; %bb.1048:                             ;   in Loop: Header=BB2_839 Depth=2
	v_mov_b32_e32 v118, 0
	s_mov_b32 s41, exec_lo
	v_cmpx_ne_u32_e32 0, v119
	s_cbranch_execz .LBB2_1054
; %bb.1049:                             ;   in Loop: Header=BB2_839 Depth=2
	v_bfe_u32 v10, v119, 23, 8
	v_and_b32_e32 v118, 0x7fffff, v119
	v_sub_nc_u32_e32 v40, 0x70, v10
	v_cmp_gt_u32_e32 vcc_lo, 0x71, v10
	v_or_b32_e32 v41, 0x800000, v118
	v_cndmask_b32_e32 v40, 0, v40, vcc_lo
	v_cmp_eq_u32_e32 vcc_lo, 0, v10
	v_add_nc_u32_e32 v10, 0xffffff91, v10
	v_cndmask_b32_e64 v40, v40, 0x6f, vcc_lo
	v_cndmask_b32_e32 v118, v41, v118, vcc_lo
	v_cndmask_b32_e64 v10, v10, 0xffffff92, vcc_lo
	v_lshl_add_u32 v41, 0x200000, v40, -1
	v_lshrrev_b32_e32 v42, v40, v118
	v_lshlrev_b32_e64 v44, v40, 0x100000
	v_add_nc_u32_e32 v40, v40, v10
	v_and_b32_e32 v118, v41, v118
	v_bfe_u32 v43, v42, 21, 1
	v_cmp_eq_u32_e64 s13, v118, v44
	v_add_nc_u32_e32 v41, -1, v43
	v_cndmask_b32_e64 v118, 0, v41, s13
	v_lshrrev_b32_e32 v41, 23, v42
	s_mov_b32 s13, exec_lo
	v_add_nc_u32_e32 v118, v118, v42
	v_xor_b32_e32 v41, 1, v41
	v_and_b32_e32 v10, 0x1fffff, v118
	v_add_nc_u32_e32 v118, v10, v42
                                        ; implicit-def: $vgpr10
	v_cmpx_ne_u32_e64 v40, v41
	s_xor_b32 s13, exec_lo, s13
; %bb.1050:                             ;   in Loop: Header=BB2_839 Depth=2
	v_cmp_lt_u32_e32 vcc_lo, 0xffffff, v118
	v_sub_nc_u32_e32 v10, v40, v41
	v_cndmask_b32_e64 v40, 0, 1, vcc_lo
	v_add_co_ci_u32_e64 v10, null, 0, v10, vcc_lo
	v_lshrrev_b32_e32 v118, v40, v118
; %bb.1051:                             ;   in Loop: Header=BB2_839 Depth=2
	s_andn2_saveexec_b32 s13, s13
; %bb.1052:                             ;   in Loop: Header=BB2_839 Depth=2
	v_bfe_u32 v10, v118, 23, 1
; %bb.1053:                             ;   in Loop: Header=BB2_839 Depth=2
	s_or_b32 exec_lo, exec_lo, s13
	v_lshrrev_b32_e32 v118, 21, v118
	v_min_i32_e32 v40, 31, v10
	v_cmp_gt_i32_e32 vcc_lo, 32, v10
	v_and_b32_sdwa v119, v119, v97 dst_sel:DWORD dst_unused:UNUSED_PAD src0_sel:BYTE_3 src1_sel:DWORD
	v_lshlrev_b32_e32 v40, 2, v40
	v_cndmask_b32_e32 v118, 3, v118, vcc_lo
	v_and_b32_e32 v40, 0xfc, v40
	v_and_b32_e32 v41, 3, v118
	v_or_b32_e32 v10, v10, v118
	v_or3_b32 v119, v119, v40, v41
	v_cmp_ne_u32_e32 vcc_lo, 0, v10
	v_lshlrev_b32_e32 v118, 8, v119
	v_cndmask_b32_e32 v118, 0, v118, vcc_lo
.LBB2_1054:                             ;   in Loop: Header=BB2_839 Depth=2
	s_or_b32 exec_lo, exec_lo, s41
.LBB2_1055:                             ;   in Loop: Header=BB2_839 Depth=2
	s_or_b32 exec_lo, exec_lo, s40
	v_bfe_u32 v10, v11, 16, 2
	v_bfe_u32 v41, v11, 18, 5
	v_lshlrev_b32_e32 v42, 8, v11
	s_mov_b32 s40, -1
	v_ffbh_u32_e32 v119, v10
	v_cmp_eq_u32_e32 vcc_lo, 0, v41
	v_min_u32_e32 v119, 32, v119
	v_subrev_nc_u32_e32 v40, 29, v119
	v_sub_nc_u32_e32 v119, 30, v119
	v_lshlrev_b32_sdwa v40, v40, v11 dst_sel:DWORD dst_unused:UNUSED_PAD src0_sel:DWORD src1_sel:WORD_1
	v_cndmask_b32_e32 v119, v41, v119, vcc_lo
	v_and_b32_e32 v40, 3, v40
	v_lshl_add_u32 v41, v119, 23, 0x37800000
	v_and_b32_sdwa v119, v15, v100 dst_sel:DWORD dst_unused:UNUSED_PAD src0_sel:WORD_1 src1_sel:DWORD
	v_cndmask_b32_e32 v10, v10, v40, vcc_lo
	v_and_b32_e32 v40, 0x80000000, v42
	v_cmp_lt_i16_e64 s13, 0x7f, v119
	s_and_b32 vcc_lo, exec_lo, s29
	v_lshlrev_b32_e32 v10, 21, v10
	v_or3_b32 v10, v40, v41, v10
                                        ; implicit-def: $vgpr40
	s_cbranch_vccz .LBB2_1069
; %bb.1056:                             ;   in Loop: Header=BB2_839 Depth=2
	s_mov_b32 s40, 0
	s_and_saveexec_b32 s41, s13
	s_xor_b32 s13, exec_lo, s41
	s_cbranch_execz .LBB2_1461
; %bb.1057:                             ;   in Loop: Header=BB2_839 Depth=2
	s_mov_b32 s40, -1
	s_mov_b32 s41, exec_lo
	v_cmpx_eq_u16_e32 0x80, v119
; %bb.1058:                             ;   in Loop: Header=BB2_839 Depth=2
	s_xor_b32 s40, exec_lo, -1
; %bb.1059:                             ;   in Loop: Header=BB2_839 Depth=2
	s_or_b32 exec_lo, exec_lo, s41
	s_and_b32 s40, s40, exec_lo
	s_or_saveexec_b32 s13, s13
	v_mov_b32_e32 v40, 0x7f800001
	s_xor_b32 exec_lo, exec_lo, s13
	s_cbranch_execnz .LBB2_1462
.LBB2_1060:                             ;   in Loop: Header=BB2_839 Depth=2
	s_or_b32 exec_lo, exec_lo, s13
	s_and_saveexec_b32 s13, s40
	s_cbranch_execz .LBB2_1062
.LBB2_1061:                             ;   in Loop: Header=BB2_839 Depth=2
	v_bfe_u32 v40, v15, 16, 2
	v_bfe_u32 v43, v15, 18, 5
	v_lshlrev_b32_sdwa v44, v99, v15 dst_sel:DWORD dst_unused:UNUSED_PAD src0_sel:DWORD src1_sel:WORD_1
	v_ffbh_u32_e32 v41, v40
	v_cmp_eq_u32_e32 vcc_lo, 0, v43
	v_min_u32_e32 v41, 32, v41
	v_subrev_nc_u32_e32 v42, 29, v41
	v_sub_nc_u32_e32 v41, 30, v41
	v_lshlrev_b32_sdwa v42, v42, v15 dst_sel:DWORD dst_unused:UNUSED_PAD src0_sel:DWORD src1_sel:WORD_1
	v_cndmask_b32_e32 v41, v43, v41, vcc_lo
	v_and_b32_e32 v42, 3, v42
	v_lshl_add_u32 v41, v41, 23, 0x37800000
	v_cndmask_b32_e32 v40, v40, v42, vcc_lo
	v_and_b32_e32 v42, 0x80000000, v44
	v_lshlrev_b32_e32 v40, 21, v40
	v_or3_b32 v40, v42, v41, v40
.LBB2_1062:                             ;   in Loop: Header=BB2_839 Depth=2
	s_or_b32 exec_lo, exec_lo, s13
	v_and_b32_sdwa v42, v11, v100 dst_sel:DWORD dst_unused:UNUSED_PAD src0_sel:WORD_1 src1_sel:DWORD
	s_mov_b32 s13, 0
	s_mov_b32 s40, exec_lo
	v_cmpx_lt_i16_e32 0x7f, v42
	s_xor_b32 s40, exec_lo, s40
	s_cbranch_execz .LBB2_1463
; %bb.1063:                             ;   in Loop: Header=BB2_839 Depth=2
	s_mov_b32 s13, -1
	s_mov_b32 s41, exec_lo
	v_cmpx_eq_u16_e32 0x80, v42
; %bb.1064:                             ;   in Loop: Header=BB2_839 Depth=2
	s_xor_b32 s13, exec_lo, -1
; %bb.1065:                             ;   in Loop: Header=BB2_839 Depth=2
	s_or_b32 exec_lo, exec_lo, s41
	s_and_b32 s13, s13, exec_lo
                                        ; implicit-def: $vgpr42
	s_or_saveexec_b32 s40, s40
	v_mov_b32_e32 v41, 0x7f800001
	s_xor_b32 exec_lo, exec_lo, s40
	s_cbranch_execnz .LBB2_1464
.LBB2_1066:                             ;   in Loop: Header=BB2_839 Depth=2
	s_or_b32 exec_lo, exec_lo, s40
	s_and_saveexec_b32 s40, s13
.LBB2_1067:                             ;   in Loop: Header=BB2_839 Depth=2
	v_mov_b32_e32 v41, v10
.LBB2_1068:                             ;   in Loop: Header=BB2_839 Depth=2
	s_or_b32 exec_lo, exec_lo, s40
	v_max_f32_e32 v41, v41, v41
	v_max_f32_e32 v40, v40, v40
	s_mov_b32 s40, 0
	v_max_f32_e32 v40, v40, v41
.LBB2_1069:                             ;   in Loop: Header=BB2_839 Depth=2
	s_and_b32 vcc_lo, exec_lo, s40
	s_cbranch_vccz .LBB2_1083
; %bb.1070:                             ;   in Loop: Header=BB2_839 Depth=2
	s_mov_b32 s13, 0
	s_mov_b32 s40, exec_lo
	v_cmpx_lt_i16_e32 0x7f, v119
	s_xor_b32 s40, exec_lo, s40
	s_cbranch_execz .LBB2_1465
; %bb.1071:                             ;   in Loop: Header=BB2_839 Depth=2
	s_mov_b32 s13, -1
	s_mov_b32 s41, exec_lo
	v_cmpx_eq_u16_e32 0x80, v119
; %bb.1072:                             ;   in Loop: Header=BB2_839 Depth=2
	s_xor_b32 s13, exec_lo, -1
; %bb.1073:                             ;   in Loop: Header=BB2_839 Depth=2
	s_or_b32 exec_lo, exec_lo, s41
	s_and_b32 s13, s13, exec_lo
                                        ; implicit-def: $vgpr119
	s_or_saveexec_b32 s40, s40
	v_mov_b32_e32 v40, 0x7f800001
	s_xor_b32 exec_lo, exec_lo, s40
	s_cbranch_execnz .LBB2_1466
.LBB2_1074:                             ;   in Loop: Header=BB2_839 Depth=2
	s_or_b32 exec_lo, exec_lo, s40
	s_and_saveexec_b32 s40, s13
	s_cbranch_execz .LBB2_1076
.LBB2_1075:                             ;   in Loop: Header=BB2_839 Depth=2
	v_bfe_u32 v119, v15, 16, 2
	v_bfe_u32 v42, v15, 18, 5
	v_lshlrev_b32_sdwa v43, v99, v15 dst_sel:DWORD dst_unused:UNUSED_PAD src0_sel:DWORD src1_sel:WORD_1
	v_ffbh_u32_e32 v40, v119
	v_cmp_eq_u32_e32 vcc_lo, 0, v42
	v_min_u32_e32 v40, 32, v40
	v_subrev_nc_u32_e32 v41, 29, v40
	v_sub_nc_u32_e32 v40, 30, v40
	v_lshlrev_b32_sdwa v41, v41, v15 dst_sel:DWORD dst_unused:UNUSED_PAD src0_sel:DWORD src1_sel:WORD_1
	v_cndmask_b32_e32 v40, v42, v40, vcc_lo
	v_and_b32_e32 v41, 3, v41
	v_lshl_add_u32 v40, v40, 23, 0x37800000
	v_cndmask_b32_e32 v119, v119, v41, vcc_lo
	v_and_b32_e32 v41, 0x80000000, v43
	v_lshlrev_b32_e32 v119, 21, v119
	v_or3_b32 v40, v41, v40, v119
.LBB2_1076:                             ;   in Loop: Header=BB2_839 Depth=2
	s_or_b32 exec_lo, exec_lo, s40
	v_and_b32_sdwa v41, v11, v100 dst_sel:DWORD dst_unused:UNUSED_PAD src0_sel:WORD_1 src1_sel:DWORD
	s_mov_b32 s13, 0
	s_mov_b32 s40, exec_lo
	v_cmpx_lt_i16_e32 0x7f, v41
	s_xor_b32 s40, exec_lo, s40
	s_cbranch_execz .LBB2_1467
; %bb.1077:                             ;   in Loop: Header=BB2_839 Depth=2
	s_mov_b32 s13, -1
	s_mov_b32 s41, exec_lo
	v_cmpx_eq_u16_e32 0x80, v41
; %bb.1078:                             ;   in Loop: Header=BB2_839 Depth=2
	s_xor_b32 s13, exec_lo, -1
; %bb.1079:                             ;   in Loop: Header=BB2_839 Depth=2
	s_or_b32 exec_lo, exec_lo, s41
	s_and_b32 s13, s13, exec_lo
                                        ; implicit-def: $vgpr41
	s_or_saveexec_b32 s40, s40
	v_mov_b32_e32 v119, 0x7f800001
	s_xor_b32 exec_lo, exec_lo, s40
	s_cbranch_execnz .LBB2_1468
.LBB2_1080:                             ;   in Loop: Header=BB2_839 Depth=2
	s_or_b32 exec_lo, exec_lo, s40
	s_and_saveexec_b32 s40, s13
.LBB2_1081:                             ;   in Loop: Header=BB2_839 Depth=2
	v_mov_b32_e32 v119, v10
.LBB2_1082:                             ;   in Loop: Header=BB2_839 Depth=2
	s_or_b32 exec_lo, exec_lo, s40
	v_max_f32_e32 v10, v119, v119
	v_max_f32_e32 v119, v40, v40
	v_min_f32_e32 v40, v119, v10
.LBB2_1083:                             ;   in Loop: Header=BB2_839 Depth=2
	v_and_b32_e32 v10, 0x7f800000, v40
	v_mov_b32_e32 v119, 0x80
	s_mov_b32 s40, exec_lo
	v_cmpx_ne_u32_e32 0x7f800000, v10
	s_cbranch_execz .LBB2_1091
; %bb.1084:                             ;   in Loop: Header=BB2_839 Depth=2
	v_mov_b32_e32 v119, 0
	s_mov_b32 s41, exec_lo
	v_cmpx_ne_u32_e32 0, v40
	s_cbranch_execz .LBB2_1090
; %bb.1085:                             ;   in Loop: Header=BB2_839 Depth=2
	v_bfe_u32 v10, v40, 23, 8
	v_and_b32_e32 v119, 0x7fffff, v40
	v_sub_nc_u32_e32 v41, 0x70, v10
	v_cmp_gt_u32_e32 vcc_lo, 0x71, v10
	v_or_b32_e32 v42, 0x800000, v119
	v_cndmask_b32_e32 v41, 0, v41, vcc_lo
	v_cmp_eq_u32_e32 vcc_lo, 0, v10
	v_add_nc_u32_e32 v10, 0xffffff91, v10
	v_cndmask_b32_e64 v41, v41, 0x6f, vcc_lo
	v_cndmask_b32_e32 v119, v42, v119, vcc_lo
	v_cndmask_b32_e64 v10, v10, 0xffffff92, vcc_lo
	v_lshl_add_u32 v42, 0x200000, v41, -1
	v_lshrrev_b32_e32 v43, v41, v119
	v_lshlrev_b32_e64 v45, v41, 0x100000
	v_add_nc_u32_e32 v41, v41, v10
	v_and_b32_e32 v119, v42, v119
	v_bfe_u32 v44, v43, 21, 1
	v_cmp_eq_u32_e64 s13, v119, v45
	v_add_nc_u32_e32 v42, -1, v44
	v_cndmask_b32_e64 v119, 0, v42, s13
	v_lshrrev_b32_e32 v42, 23, v43
	s_mov_b32 s13, exec_lo
	v_add_nc_u32_e32 v119, v119, v43
	v_xor_b32_e32 v42, 1, v42
	v_and_b32_e32 v10, 0x1fffff, v119
	v_add_nc_u32_e32 v119, v10, v43
                                        ; implicit-def: $vgpr10
	v_cmpx_ne_u32_e64 v41, v42
	s_xor_b32 s13, exec_lo, s13
; %bb.1086:                             ;   in Loop: Header=BB2_839 Depth=2
	v_cmp_lt_u32_e32 vcc_lo, 0xffffff, v119
	v_sub_nc_u32_e32 v10, v41, v42
	v_cndmask_b32_e64 v41, 0, 1, vcc_lo
	v_add_co_ci_u32_e64 v10, null, 0, v10, vcc_lo
	v_lshrrev_b32_e32 v119, v41, v119
; %bb.1087:                             ;   in Loop: Header=BB2_839 Depth=2
	s_andn2_saveexec_b32 s13, s13
; %bb.1088:                             ;   in Loop: Header=BB2_839 Depth=2
	v_bfe_u32 v10, v119, 23, 1
; %bb.1089:                             ;   in Loop: Header=BB2_839 Depth=2
	s_or_b32 exec_lo, exec_lo, s13
	v_lshrrev_b32_e32 v119, 21, v119
	v_min_i32_e32 v41, 31, v10
	v_cmp_gt_i32_e32 vcc_lo, 32, v10
	v_and_b32_sdwa v40, v40, v97 dst_sel:DWORD dst_unused:UNUSED_PAD src0_sel:BYTE_3 src1_sel:DWORD
	v_lshlrev_b32_e32 v41, 2, v41
	v_cndmask_b32_e32 v119, 3, v119, vcc_lo
	v_and_b32_e32 v41, 0xfc, v41
	v_and_b32_e32 v42, 3, v119
	v_or_b32_e32 v10, v10, v119
	v_or3_b32 v119, v41, v40, v42
	v_cmp_ne_u32_e32 vcc_lo, 0, v10
	v_cndmask_b32_e32 v119, 0, v119, vcc_lo
.LBB2_1090:                             ;   in Loop: Header=BB2_839 Depth=2
	s_or_b32 exec_lo, exec_lo, s41
.LBB2_1091:                             ;   in Loop: Header=BB2_839 Depth=2
	s_or_b32 exec_lo, exec_lo, s40
	v_bfe_u32 v10, v11, 24, 2
	v_bfe_u32 v42, v11, 26, 5
	v_cmp_gt_i16_sdwa s40, v15, v96 src0_sel:BYTE_3 src1_sel:DWORD
	s_mov_b32 s13, -1
	v_ffbh_u32_e32 v40, v10
	v_cmp_eq_u32_e32 vcc_lo, 0, v42
	v_min_u32_e32 v40, 32, v40
	v_subrev_nc_u32_e32 v41, 29, v40
	v_sub_nc_u32_e32 v40, 30, v40
	v_lshlrev_b32_sdwa v41, v41, v11 dst_sel:DWORD dst_unused:UNUSED_PAD src0_sel:DWORD src1_sel:BYTE_3
	v_cndmask_b32_e32 v40, v42, v40, vcc_lo
	v_and_b32_e32 v41, 3, v41
	v_lshl_add_u32 v40, v40, 23, 0x37800000
	v_cndmask_b32_e32 v10, v10, v41, vcc_lo
	v_and_b32_e32 v41, 0x80000000, v11
	s_and_b32 vcc_lo, exec_lo, s29
	v_lshlrev_b32_e32 v10, 21, v10
	v_or3_b32 v10, v41, v40, v10
                                        ; implicit-def: $vgpr40
	s_cbranch_vccz .LBB2_1105
; %bb.1092:                             ;   in Loop: Header=BB2_839 Depth=2
	s_mov_b32 s13, 0
	s_and_saveexec_b32 s41, s40
	s_xor_b32 s40, exec_lo, s41
	s_cbranch_execz .LBB2_1469
; %bb.1093:                             ;   in Loop: Header=BB2_839 Depth=2
	v_cmp_eq_u16_sdwa s42, v15, v97 src0_sel:BYTE_3 src1_sel:DWORD
	s_mov_b32 s13, -1
	s_and_saveexec_b32 s41, s42
; %bb.1094:                             ;   in Loop: Header=BB2_839 Depth=2
	s_xor_b32 s13, exec_lo, -1
; %bb.1095:                             ;   in Loop: Header=BB2_839 Depth=2
	s_or_b32 exec_lo, exec_lo, s41
	s_and_b32 s13, s13, exec_lo
	s_or_saveexec_b32 s40, s40
	v_mov_b32_e32 v40, 0x7f800001
	s_xor_b32 exec_lo, exec_lo, s40
	s_cbranch_execnz .LBB2_1470
.LBB2_1096:                             ;   in Loop: Header=BB2_839 Depth=2
	s_or_b32 exec_lo, exec_lo, s40
	s_and_saveexec_b32 s40, s13
	s_cbranch_execz .LBB2_1098
.LBB2_1097:                             ;   in Loop: Header=BB2_839 Depth=2
	v_bfe_u32 v40, v15, 24, 2
	v_bfe_u32 v43, v15, 26, 5
	v_ffbh_u32_e32 v41, v40
	v_cmp_eq_u32_e32 vcc_lo, 0, v43
	v_min_u32_e32 v41, 32, v41
	v_subrev_nc_u32_e32 v42, 29, v41
	v_sub_nc_u32_e32 v41, 30, v41
	v_lshlrev_b32_sdwa v42, v42, v15 dst_sel:DWORD dst_unused:UNUSED_PAD src0_sel:DWORD src1_sel:BYTE_3
	v_cndmask_b32_e32 v41, v43, v41, vcc_lo
	v_and_b32_e32 v42, 3, v42
	v_lshl_add_u32 v41, v41, 23, 0x37800000
	v_cndmask_b32_e32 v40, v40, v42, vcc_lo
	v_and_b32_e32 v42, 0x80000000, v15
	v_lshlrev_b32_e32 v40, 21, v40
	v_or3_b32 v40, v42, v41, v40
.LBB2_1098:                             ;   in Loop: Header=BB2_839 Depth=2
	s_or_b32 exec_lo, exec_lo, s40
	v_cmp_gt_i16_sdwa s40, v11, v96 src0_sel:BYTE_3 src1_sel:DWORD
	s_mov_b32 s13, 0
	s_and_saveexec_b32 s41, s40
	s_xor_b32 s40, exec_lo, s41
	s_cbranch_execz .LBB2_1471
; %bb.1099:                             ;   in Loop: Header=BB2_839 Depth=2
	v_cmp_eq_u16_sdwa s42, v11, v97 src0_sel:BYTE_3 src1_sel:DWORD
	s_mov_b32 s13, -1
	s_and_saveexec_b32 s41, s42
; %bb.1100:                             ;   in Loop: Header=BB2_839 Depth=2
	s_xor_b32 s13, exec_lo, -1
; %bb.1101:                             ;   in Loop: Header=BB2_839 Depth=2
	s_or_b32 exec_lo, exec_lo, s41
	s_and_b32 s13, s13, exec_lo
	s_or_saveexec_b32 s40, s40
	v_mov_b32_e32 v41, 0x7f800001
	s_xor_b32 exec_lo, exec_lo, s40
	s_cbranch_execnz .LBB2_1472
.LBB2_1102:                             ;   in Loop: Header=BB2_839 Depth=2
	s_or_b32 exec_lo, exec_lo, s40
	s_and_saveexec_b32 s40, s13
.LBB2_1103:                             ;   in Loop: Header=BB2_839 Depth=2
	v_mov_b32_e32 v41, v10
.LBB2_1104:                             ;   in Loop: Header=BB2_839 Depth=2
	s_or_b32 exec_lo, exec_lo, s40
	v_max_f32_e32 v41, v41, v41
	v_max_f32_e32 v40, v40, v40
	s_mov_b32 s13, 0
	v_max_f32_e32 v40, v40, v41
.LBB2_1105:                             ;   in Loop: Header=BB2_839 Depth=2
	s_and_b32 vcc_lo, exec_lo, s13
	s_cbranch_vccz .LBB2_1119
; %bb.1106:                             ;   in Loop: Header=BB2_839 Depth=2
	v_cmp_gt_i16_sdwa s40, v15, v96 src0_sel:BYTE_3 src1_sel:DWORD
	s_mov_b32 s13, 0
	s_and_saveexec_b32 s41, s40
	s_xor_b32 s40, exec_lo, s41
	s_cbranch_execz .LBB2_1473
; %bb.1107:                             ;   in Loop: Header=BB2_839 Depth=2
	v_cmp_eq_u16_sdwa s42, v15, v97 src0_sel:BYTE_3 src1_sel:DWORD
	s_mov_b32 s13, -1
	s_and_saveexec_b32 s41, s42
; %bb.1108:                             ;   in Loop: Header=BB2_839 Depth=2
	s_xor_b32 s13, exec_lo, -1
; %bb.1109:                             ;   in Loop: Header=BB2_839 Depth=2
	s_or_b32 exec_lo, exec_lo, s41
	s_and_b32 s13, s13, exec_lo
	s_or_saveexec_b32 s40, s40
	v_mov_b32_e32 v40, 0x7f800001
	s_xor_b32 exec_lo, exec_lo, s40
	s_cbranch_execnz .LBB2_1474
.LBB2_1110:                             ;   in Loop: Header=BB2_839 Depth=2
	s_or_b32 exec_lo, exec_lo, s40
	s_and_saveexec_b32 s40, s13
	s_cbranch_execz .LBB2_1112
.LBB2_1111:                             ;   in Loop: Header=BB2_839 Depth=2
	v_bfe_u32 v40, v15, 24, 2
	v_bfe_u32 v43, v15, 26, 5
	v_ffbh_u32_e32 v41, v40
	v_cmp_eq_u32_e32 vcc_lo, 0, v43
	v_min_u32_e32 v41, 32, v41
	v_subrev_nc_u32_e32 v42, 29, v41
	v_sub_nc_u32_e32 v41, 30, v41
	v_lshlrev_b32_sdwa v42, v42, v15 dst_sel:DWORD dst_unused:UNUSED_PAD src0_sel:DWORD src1_sel:BYTE_3
	v_cndmask_b32_e32 v41, v43, v41, vcc_lo
	v_and_b32_e32 v15, 0x80000000, v15
	v_and_b32_e32 v42, 3, v42
	v_lshl_add_u32 v41, v41, 23, 0x37800000
	v_cndmask_b32_e32 v40, v40, v42, vcc_lo
	v_lshlrev_b32_e32 v40, 21, v40
	v_or3_b32 v40, v15, v41, v40
.LBB2_1112:                             ;   in Loop: Header=BB2_839 Depth=2
	s_or_b32 exec_lo, exec_lo, s40
	v_cmp_gt_i16_sdwa s40, v11, v96 src0_sel:BYTE_3 src1_sel:DWORD
	s_mov_b32 s13, 0
	s_and_saveexec_b32 s41, s40
	s_xor_b32 s40, exec_lo, s41
	s_cbranch_execz .LBB2_1475
; %bb.1113:                             ;   in Loop: Header=BB2_839 Depth=2
	v_cmp_eq_u16_sdwa s42, v11, v97 src0_sel:BYTE_3 src1_sel:DWORD
	s_mov_b32 s13, -1
	s_and_saveexec_b32 s41, s42
; %bb.1114:                             ;   in Loop: Header=BB2_839 Depth=2
	s_xor_b32 s13, exec_lo, -1
; %bb.1115:                             ;   in Loop: Header=BB2_839 Depth=2
	s_or_b32 exec_lo, exec_lo, s41
	s_and_b32 s13, s13, exec_lo
	s_or_saveexec_b32 s40, s40
	v_mov_b32_e32 v15, 0x7f800001
	s_xor_b32 exec_lo, exec_lo, s40
	s_cbranch_execnz .LBB2_1476
.LBB2_1116:                             ;   in Loop: Header=BB2_839 Depth=2
	s_or_b32 exec_lo, exec_lo, s40
	s_and_saveexec_b32 s40, s13
.LBB2_1117:                             ;   in Loop: Header=BB2_839 Depth=2
	v_mov_b32_e32 v15, v10
.LBB2_1118:                             ;   in Loop: Header=BB2_839 Depth=2
	s_or_b32 exec_lo, exec_lo, s40
	v_max_f32_e32 v10, v15, v15
	v_max_f32_e32 v11, v40, v40
	v_min_f32_e32 v40, v11, v10
.LBB2_1119:                             ;   in Loop: Header=BB2_839 Depth=2
	v_and_b32_e32 v10, 0x7f800000, v40
	v_mov_b32_e32 v15, 0x8000
	s_mov_b32 s40, exec_lo
	v_cmpx_ne_u32_e32 0x7f800000, v10
	s_cbranch_execz .LBB2_1127
; %bb.1120:                             ;   in Loop: Header=BB2_839 Depth=2
	v_mov_b32_e32 v15, 0
	s_mov_b32 s41, exec_lo
	v_cmpx_ne_u32_e32 0, v40
	s_cbranch_execz .LBB2_1126
; %bb.1121:                             ;   in Loop: Header=BB2_839 Depth=2
	v_bfe_u32 v10, v40, 23, 8
	v_and_b32_e32 v11, 0x7fffff, v40
	v_sub_nc_u32_e32 v15, 0x70, v10
	v_cmp_gt_u32_e32 vcc_lo, 0x71, v10
	v_or_b32_e32 v41, 0x800000, v11
	v_cndmask_b32_e32 v15, 0, v15, vcc_lo
	v_cmp_eq_u32_e32 vcc_lo, 0, v10
	v_add_nc_u32_e32 v10, 0xffffff91, v10
	v_cndmask_b32_e64 v15, v15, 0x6f, vcc_lo
	v_cndmask_b32_e32 v11, v41, v11, vcc_lo
	v_cndmask_b32_e64 v10, v10, 0xffffff92, vcc_lo
	v_lshl_add_u32 v41, 0x200000, v15, -1
	v_lshrrev_b32_e32 v42, v15, v11
	v_lshlrev_b32_e64 v44, v15, 0x100000
	v_add_nc_u32_e32 v15, v15, v10
	v_and_b32_e32 v11, v41, v11
	v_bfe_u32 v43, v42, 21, 1
	v_cmp_eq_u32_e64 s13, v11, v44
	v_add_nc_u32_e32 v41, -1, v43
	v_cndmask_b32_e64 v11, 0, v41, s13
	v_lshrrev_b32_e32 v41, 23, v42
	s_mov_b32 s13, exec_lo
	v_add_nc_u32_e32 v11, v11, v42
	v_xor_b32_e32 v41, 1, v41
	v_and_b32_e32 v10, 0x1fffff, v11
	v_add_nc_u32_e32 v11, v10, v42
                                        ; implicit-def: $vgpr10
	v_cmpx_ne_u32_e64 v15, v41
	s_xor_b32 s13, exec_lo, s13
; %bb.1122:                             ;   in Loop: Header=BB2_839 Depth=2
	v_cmp_lt_u32_e32 vcc_lo, 0xffffff, v11
	v_sub_nc_u32_e32 v10, v15, v41
	v_cndmask_b32_e64 v15, 0, 1, vcc_lo
	v_add_co_ci_u32_e64 v10, null, 0, v10, vcc_lo
	v_lshrrev_b32_e32 v11, v15, v11
; %bb.1123:                             ;   in Loop: Header=BB2_839 Depth=2
	s_andn2_saveexec_b32 s13, s13
; %bb.1124:                             ;   in Loop: Header=BB2_839 Depth=2
	v_bfe_u32 v10, v11, 23, 1
; %bb.1125:                             ;   in Loop: Header=BB2_839 Depth=2
	s_or_b32 exec_lo, exec_lo, s13
	v_lshrrev_b32_e32 v11, 21, v11
	v_min_i32_e32 v15, 31, v10
	v_cmp_gt_i32_e32 vcc_lo, 32, v10
	v_and_b32_sdwa v40, v40, v97 dst_sel:DWORD dst_unused:UNUSED_PAD src0_sel:BYTE_3 src1_sel:DWORD
	v_lshlrev_b32_e32 v15, 2, v15
	v_cndmask_b32_e32 v11, 3, v11, vcc_lo
	v_and_b32_e32 v15, 0xfc, v15
	v_and_b32_e32 v41, 3, v11
	v_or_b32_e32 v10, v10, v11
	v_or3_b32 v15, v40, v15, v41
	v_cmp_ne_u32_e32 vcc_lo, 0, v10
	v_lshlrev_b32_e32 v11, 8, v15
	v_cndmask_b32_e32 v15, 0, v11, vcc_lo
.LBB2_1126:                             ;   in Loop: Header=BB2_839 Depth=2
	s_or_b32 exec_lo, exec_lo, s41
.LBB2_1127:                             ;   in Loop: Header=BB2_839 Depth=2
	s_or_b32 exec_lo, exec_lo, s40
	v_and_b32_e32 v10, 3, v12
	v_bfe_u32 v41, v12, 2, 5
	v_lshlrev_b32_e32 v42, 24, v12
	v_cmp_gt_i16_sdwa s40, v16, v96 src0_sel:BYTE_0 src1_sel:DWORD
	s_mov_b32 s13, -1
	v_ffbh_u32_e32 v11, v10
	v_cmp_eq_u32_e32 vcc_lo, 0, v41
	v_min_u32_e32 v11, 32, v11
	v_subrev_nc_u32_e32 v40, 29, v11
	v_sub_nc_u32_e32 v11, 30, v11
	v_lshlrev_b32_e32 v40, v40, v12
	v_cndmask_b32_e32 v11, v41, v11, vcc_lo
	v_and_b32_e32 v40, 3, v40
	v_lshl_add_u32 v11, v11, 23, 0x37800000
	v_cndmask_b32_e32 v10, v10, v40, vcc_lo
	v_and_b32_e32 v40, 0x80000000, v42
	s_and_b32 vcc_lo, exec_lo, s29
	v_lshlrev_b32_e32 v10, 21, v10
	v_or3_b32 v10, v40, v11, v10
                                        ; implicit-def: $vgpr11
	s_cbranch_vccz .LBB2_1141
; %bb.1128:                             ;   in Loop: Header=BB2_839 Depth=2
	s_mov_b32 s13, 0
	s_and_saveexec_b32 s41, s40
	s_xor_b32 s40, exec_lo, s41
	s_cbranch_execz .LBB2_1477
; %bb.1129:                             ;   in Loop: Header=BB2_839 Depth=2
	v_cmp_eq_u16_sdwa s42, v16, v97 src0_sel:BYTE_0 src1_sel:DWORD
	s_mov_b32 s13, -1
	s_and_saveexec_b32 s41, s42
; %bb.1130:                             ;   in Loop: Header=BB2_839 Depth=2
	s_xor_b32 s13, exec_lo, -1
; %bb.1131:                             ;   in Loop: Header=BB2_839 Depth=2
	s_or_b32 exec_lo, exec_lo, s41
	s_and_b32 s13, s13, exec_lo
	s_or_saveexec_b32 s40, s40
	v_mov_b32_e32 v11, 0x7f800001
	s_xor_b32 exec_lo, exec_lo, s40
	s_cbranch_execnz .LBB2_1478
.LBB2_1132:                             ;   in Loop: Header=BB2_839 Depth=2
	s_or_b32 exec_lo, exec_lo, s40
	s_and_saveexec_b32 s40, s13
	s_cbranch_execz .LBB2_1134
.LBB2_1133:                             ;   in Loop: Header=BB2_839 Depth=2
	v_and_b32_e32 v11, 3, v16
	v_bfe_u32 v42, v16, 2, 5
	v_lshlrev_b32_e32 v43, 24, v16
	v_ffbh_u32_e32 v40, v11
	v_cmp_eq_u32_e32 vcc_lo, 0, v42
	v_min_u32_e32 v40, 32, v40
	v_subrev_nc_u32_e32 v41, 29, v40
	v_sub_nc_u32_e32 v40, 30, v40
	v_lshlrev_b32_e32 v41, v41, v16
	v_cndmask_b32_e32 v40, v42, v40, vcc_lo
	v_and_b32_e32 v41, 3, v41
	v_lshl_add_u32 v40, v40, 23, 0x37800000
	v_cndmask_b32_e32 v11, v11, v41, vcc_lo
	v_and_b32_e32 v41, 0x80000000, v43
	v_lshlrev_b32_e32 v11, 21, v11
	v_or3_b32 v11, v41, v40, v11
.LBB2_1134:                             ;   in Loop: Header=BB2_839 Depth=2
	s_or_b32 exec_lo, exec_lo, s40
	v_cmp_gt_i16_sdwa s40, v12, v96 src0_sel:BYTE_0 src1_sel:DWORD
	s_mov_b32 s13, 0
	s_and_saveexec_b32 s41, s40
	s_xor_b32 s40, exec_lo, s41
	s_cbranch_execz .LBB2_1479
; %bb.1135:                             ;   in Loop: Header=BB2_839 Depth=2
	v_cmp_eq_u16_sdwa s42, v12, v97 src0_sel:BYTE_0 src1_sel:DWORD
	s_mov_b32 s13, -1
	s_and_saveexec_b32 s41, s42
; %bb.1136:                             ;   in Loop: Header=BB2_839 Depth=2
	s_xor_b32 s13, exec_lo, -1
; %bb.1137:                             ;   in Loop: Header=BB2_839 Depth=2
	s_or_b32 exec_lo, exec_lo, s41
	s_and_b32 s13, s13, exec_lo
	s_or_saveexec_b32 s40, s40
	v_mov_b32_e32 v40, 0x7f800001
	s_xor_b32 exec_lo, exec_lo, s40
	s_cbranch_execnz .LBB2_1480
.LBB2_1138:                             ;   in Loop: Header=BB2_839 Depth=2
	s_or_b32 exec_lo, exec_lo, s40
	s_and_saveexec_b32 s40, s13
.LBB2_1139:                             ;   in Loop: Header=BB2_839 Depth=2
	v_mov_b32_e32 v40, v10
.LBB2_1140:                             ;   in Loop: Header=BB2_839 Depth=2
	s_or_b32 exec_lo, exec_lo, s40
	v_max_f32_e32 v40, v40, v40
	v_max_f32_e32 v11, v11, v11
	s_mov_b32 s13, 0
	v_max_f32_e32 v11, v11, v40
.LBB2_1141:                             ;   in Loop: Header=BB2_839 Depth=2
	s_and_b32 vcc_lo, exec_lo, s13
	s_cbranch_vccz .LBB2_1155
; %bb.1142:                             ;   in Loop: Header=BB2_839 Depth=2
	v_cmp_gt_i16_sdwa s40, v16, v96 src0_sel:BYTE_0 src1_sel:DWORD
	s_mov_b32 s13, 0
	s_and_saveexec_b32 s41, s40
	s_xor_b32 s40, exec_lo, s41
	s_cbranch_execz .LBB2_1481
; %bb.1143:                             ;   in Loop: Header=BB2_839 Depth=2
	v_cmp_eq_u16_sdwa s42, v16, v97 src0_sel:BYTE_0 src1_sel:DWORD
	s_mov_b32 s13, -1
	s_and_saveexec_b32 s41, s42
; %bb.1144:                             ;   in Loop: Header=BB2_839 Depth=2
	s_xor_b32 s13, exec_lo, -1
; %bb.1145:                             ;   in Loop: Header=BB2_839 Depth=2
	s_or_b32 exec_lo, exec_lo, s41
	s_and_b32 s13, s13, exec_lo
	s_or_saveexec_b32 s40, s40
	v_mov_b32_e32 v11, 0x7f800001
	s_xor_b32 exec_lo, exec_lo, s40
	s_cbranch_execnz .LBB2_1482
.LBB2_1146:                             ;   in Loop: Header=BB2_839 Depth=2
	s_or_b32 exec_lo, exec_lo, s40
	s_and_saveexec_b32 s40, s13
	s_cbranch_execz .LBB2_1148
.LBB2_1147:                             ;   in Loop: Header=BB2_839 Depth=2
	v_and_b32_e32 v11, 3, v16
	v_bfe_u32 v42, v16, 2, 5
	v_lshlrev_b32_e32 v43, 24, v16
	v_ffbh_u32_e32 v40, v11
	v_cmp_eq_u32_e32 vcc_lo, 0, v42
	v_min_u32_e32 v40, 32, v40
	v_subrev_nc_u32_e32 v41, 29, v40
	v_sub_nc_u32_e32 v40, 30, v40
	v_lshlrev_b32_e32 v41, v41, v16
	v_cndmask_b32_e32 v40, v42, v40, vcc_lo
	v_and_b32_e32 v41, 3, v41
	v_lshl_add_u32 v40, v40, 23, 0x37800000
	v_cndmask_b32_e32 v11, v11, v41, vcc_lo
	v_and_b32_e32 v41, 0x80000000, v43
	v_lshlrev_b32_e32 v11, 21, v11
	v_or3_b32 v11, v41, v40, v11
.LBB2_1148:                             ;   in Loop: Header=BB2_839 Depth=2
	s_or_b32 exec_lo, exec_lo, s40
	v_cmp_gt_i16_sdwa s40, v12, v96 src0_sel:BYTE_0 src1_sel:DWORD
	s_mov_b32 s13, 0
	s_and_saveexec_b32 s41, s40
	s_xor_b32 s40, exec_lo, s41
	s_cbranch_execz .LBB2_1483
; %bb.1149:                             ;   in Loop: Header=BB2_839 Depth=2
	v_cmp_eq_u16_sdwa s42, v12, v97 src0_sel:BYTE_0 src1_sel:DWORD
	s_mov_b32 s13, -1
	s_and_saveexec_b32 s41, s42
; %bb.1150:                             ;   in Loop: Header=BB2_839 Depth=2
	s_xor_b32 s13, exec_lo, -1
; %bb.1151:                             ;   in Loop: Header=BB2_839 Depth=2
	s_or_b32 exec_lo, exec_lo, s41
	s_and_b32 s13, s13, exec_lo
	s_or_saveexec_b32 s40, s40
	v_mov_b32_e32 v40, 0x7f800001
	s_xor_b32 exec_lo, exec_lo, s40
	s_cbranch_execnz .LBB2_1484
.LBB2_1152:                             ;   in Loop: Header=BB2_839 Depth=2
	s_or_b32 exec_lo, exec_lo, s40
	s_and_saveexec_b32 s40, s13
.LBB2_1153:                             ;   in Loop: Header=BB2_839 Depth=2
	v_mov_b32_e32 v40, v10
.LBB2_1154:                             ;   in Loop: Header=BB2_839 Depth=2
	s_or_b32 exec_lo, exec_lo, s40
	v_max_f32_e32 v10, v40, v40
	v_max_f32_e32 v11, v11, v11
	v_min_f32_e32 v11, v11, v10
.LBB2_1155:                             ;   in Loop: Header=BB2_839 Depth=2
	v_and_b32_e32 v10, 0x7f800000, v11
	v_mov_b32_e32 v40, 0x80
	s_mov_b32 s40, exec_lo
	v_cmpx_ne_u32_e32 0x7f800000, v10
	s_cbranch_execz .LBB2_1163
; %bb.1156:                             ;   in Loop: Header=BB2_839 Depth=2
	v_mov_b32_e32 v40, 0
	s_mov_b32 s41, exec_lo
	v_cmpx_ne_u32_e32 0, v11
	s_cbranch_execz .LBB2_1162
; %bb.1157:                             ;   in Loop: Header=BB2_839 Depth=2
	v_bfe_u32 v10, v11, 23, 8
	v_and_b32_e32 v40, 0x7fffff, v11
	v_sub_nc_u32_e32 v41, 0x70, v10
	v_cmp_gt_u32_e32 vcc_lo, 0x71, v10
	v_or_b32_e32 v42, 0x800000, v40
	v_cndmask_b32_e32 v41, 0, v41, vcc_lo
	v_cmp_eq_u32_e32 vcc_lo, 0, v10
	v_add_nc_u32_e32 v10, 0xffffff91, v10
	v_cndmask_b32_e64 v41, v41, 0x6f, vcc_lo
	v_cndmask_b32_e32 v40, v42, v40, vcc_lo
	v_cndmask_b32_e64 v10, v10, 0xffffff92, vcc_lo
	v_lshl_add_u32 v42, 0x200000, v41, -1
	v_lshrrev_b32_e32 v43, v41, v40
	v_lshlrev_b32_e64 v45, v41, 0x100000
	v_add_nc_u32_e32 v41, v41, v10
	v_and_b32_e32 v40, v42, v40
	v_bfe_u32 v44, v43, 21, 1
	v_cmp_eq_u32_e64 s13, v40, v45
	v_add_nc_u32_e32 v42, -1, v44
	v_cndmask_b32_e64 v40, 0, v42, s13
	v_lshrrev_b32_e32 v42, 23, v43
	s_mov_b32 s13, exec_lo
	v_add_nc_u32_e32 v40, v40, v43
	v_xor_b32_e32 v42, 1, v42
	v_and_b32_e32 v10, 0x1fffff, v40
	v_add_nc_u32_e32 v40, v10, v43
                                        ; implicit-def: $vgpr10
	v_cmpx_ne_u32_e64 v41, v42
	s_xor_b32 s13, exec_lo, s13
; %bb.1158:                             ;   in Loop: Header=BB2_839 Depth=2
	v_cmp_lt_u32_e32 vcc_lo, 0xffffff, v40
	v_sub_nc_u32_e32 v10, v41, v42
	v_cndmask_b32_e64 v41, 0, 1, vcc_lo
	v_add_co_ci_u32_e64 v10, null, 0, v10, vcc_lo
	v_lshrrev_b32_e32 v40, v41, v40
; %bb.1159:                             ;   in Loop: Header=BB2_839 Depth=2
	s_andn2_saveexec_b32 s13, s13
; %bb.1160:                             ;   in Loop: Header=BB2_839 Depth=2
	v_bfe_u32 v10, v40, 23, 1
; %bb.1161:                             ;   in Loop: Header=BB2_839 Depth=2
	s_or_b32 exec_lo, exec_lo, s13
	v_lshrrev_b32_e32 v40, 21, v40
	v_min_i32_e32 v41, 31, v10
	v_cmp_gt_i32_e32 vcc_lo, 32, v10
	v_and_b32_sdwa v11, v11, v97 dst_sel:DWORD dst_unused:UNUSED_PAD src0_sel:BYTE_3 src1_sel:DWORD
	v_lshlrev_b32_e32 v41, 2, v41
	v_cndmask_b32_e32 v40, 3, v40, vcc_lo
	v_and_b32_e32 v41, 0xfc, v41
	v_and_b32_e32 v42, 3, v40
	v_or_b32_e32 v10, v10, v40
	v_or3_b32 v11, v41, v11, v42
	v_cmp_ne_u32_e32 vcc_lo, 0, v10
	v_cndmask_b32_e32 v40, 0, v11, vcc_lo
.LBB2_1162:                             ;   in Loop: Header=BB2_839 Depth=2
	s_or_b32 exec_lo, exec_lo, s41
.LBB2_1163:                             ;   in Loop: Header=BB2_839 Depth=2
	s_or_b32 exec_lo, exec_lo, s40
	v_and_b32_sdwa v10, v98, v12 dst_sel:DWORD dst_unused:UNUSED_PAD src0_sel:DWORD src1_sel:BYTE_1
	v_cmp_gt_i16_sdwa s40, v16, v96 src0_sel:BYTE_1 src1_sel:DWORD
	s_mov_b32 s13, -1
	v_and_b32_e32 v11, 3, v10
	v_bfe_u32 v43, v10, 2, 5
	v_ffbh_u32_e32 v41, v11
	v_cmp_eq_u32_e32 vcc_lo, 0, v43
	v_min_u32_e32 v41, 32, v41
	v_subrev_nc_u32_e32 v42, 29, v41
	v_sub_nc_u32_e32 v41, 30, v41
	v_lshlrev_b32_e32 v10, v42, v10
	v_lshlrev_b32_sdwa v42, v99, v12 dst_sel:DWORD dst_unused:UNUSED_PAD src0_sel:DWORD src1_sel:BYTE_1
	v_cndmask_b32_e32 v41, v43, v41, vcc_lo
	v_and_b32_e32 v10, 3, v10
	v_lshl_add_u32 v41, v41, 23, 0x37800000
	v_cndmask_b32_e32 v10, v11, v10, vcc_lo
	v_and_b32_e32 v11, 0x80000000, v42
	s_and_b32 vcc_lo, exec_lo, s29
	v_lshlrev_b32_e32 v10, 21, v10
	v_or3_b32 v10, v11, v41, v10
                                        ; implicit-def: $vgpr11
	s_cbranch_vccz .LBB2_1177
; %bb.1164:                             ;   in Loop: Header=BB2_839 Depth=2
	s_mov_b32 s13, 0
	s_and_saveexec_b32 s41, s40
	s_xor_b32 s40, exec_lo, s41
	s_cbranch_execz .LBB2_1485
; %bb.1165:                             ;   in Loop: Header=BB2_839 Depth=2
	v_cmp_eq_u16_sdwa s42, v16, v97 src0_sel:BYTE_1 src1_sel:DWORD
	s_mov_b32 s13, -1
	s_and_saveexec_b32 s41, s42
; %bb.1166:                             ;   in Loop: Header=BB2_839 Depth=2
	s_xor_b32 s13, exec_lo, -1
; %bb.1167:                             ;   in Loop: Header=BB2_839 Depth=2
	s_or_b32 exec_lo, exec_lo, s41
	s_and_b32 s13, s13, exec_lo
	s_or_saveexec_b32 s40, s40
	v_mov_b32_e32 v11, 0x7f800001
	s_xor_b32 exec_lo, exec_lo, s40
	s_cbranch_execnz .LBB2_1486
.LBB2_1168:                             ;   in Loop: Header=BB2_839 Depth=2
	s_or_b32 exec_lo, exec_lo, s40
	s_and_saveexec_b32 s40, s13
	s_cbranch_execz .LBB2_1170
.LBB2_1169:                             ;   in Loop: Header=BB2_839 Depth=2
	v_and_b32_sdwa v11, v98, v16 dst_sel:DWORD dst_unused:UNUSED_PAD src0_sel:DWORD src1_sel:BYTE_1
	v_and_b32_e32 v41, 3, v11
	v_bfe_u32 v44, v11, 2, 5
	v_ffbh_u32_e32 v42, v41
	v_cmp_eq_u32_e32 vcc_lo, 0, v44
	v_min_u32_e32 v42, 32, v42
	v_subrev_nc_u32_e32 v43, 29, v42
	v_sub_nc_u32_e32 v42, 30, v42
	v_lshlrev_b32_e32 v11, v43, v11
	v_lshlrev_b32_e32 v43, 16, v16
	v_cndmask_b32_e32 v42, v44, v42, vcc_lo
	v_and_b32_e32 v11, 3, v11
	v_lshl_add_u32 v42, v42, 23, 0x37800000
	v_cndmask_b32_e32 v11, v41, v11, vcc_lo
	v_and_b32_e32 v41, 0x80000000, v43
	v_lshlrev_b32_e32 v11, 21, v11
	v_or3_b32 v11, v41, v42, v11
.LBB2_1170:                             ;   in Loop: Header=BB2_839 Depth=2
	s_or_b32 exec_lo, exec_lo, s40
	v_cmp_gt_i16_sdwa s40, v12, v96 src0_sel:BYTE_1 src1_sel:DWORD
	s_mov_b32 s13, 0
	s_and_saveexec_b32 s41, s40
	s_xor_b32 s40, exec_lo, s41
	s_cbranch_execz .LBB2_1487
; %bb.1171:                             ;   in Loop: Header=BB2_839 Depth=2
	v_cmp_eq_u16_sdwa s42, v12, v97 src0_sel:BYTE_1 src1_sel:DWORD
	s_mov_b32 s13, -1
	s_and_saveexec_b32 s41, s42
; %bb.1172:                             ;   in Loop: Header=BB2_839 Depth=2
	s_xor_b32 s13, exec_lo, -1
; %bb.1173:                             ;   in Loop: Header=BB2_839 Depth=2
	s_or_b32 exec_lo, exec_lo, s41
	s_and_b32 s13, s13, exec_lo
	s_or_saveexec_b32 s40, s40
	v_mov_b32_e32 v41, 0x7f800001
	s_xor_b32 exec_lo, exec_lo, s40
	s_cbranch_execnz .LBB2_1488
.LBB2_1174:                             ;   in Loop: Header=BB2_839 Depth=2
	s_or_b32 exec_lo, exec_lo, s40
	s_and_saveexec_b32 s40, s13
.LBB2_1175:                             ;   in Loop: Header=BB2_839 Depth=2
	v_mov_b32_e32 v41, v10
.LBB2_1176:                             ;   in Loop: Header=BB2_839 Depth=2
	s_or_b32 exec_lo, exec_lo, s40
	v_max_f32_e32 v41, v41, v41
	v_max_f32_e32 v11, v11, v11
	s_mov_b32 s13, 0
	v_max_f32_e32 v11, v11, v41
.LBB2_1177:                             ;   in Loop: Header=BB2_839 Depth=2
	s_and_b32 vcc_lo, exec_lo, s13
	s_cbranch_vccz .LBB2_1191
; %bb.1178:                             ;   in Loop: Header=BB2_839 Depth=2
	v_cmp_gt_i16_sdwa s40, v16, v96 src0_sel:BYTE_1 src1_sel:DWORD
	s_mov_b32 s13, 0
	s_and_saveexec_b32 s41, s40
	s_xor_b32 s40, exec_lo, s41
	s_cbranch_execz .LBB2_1489
; %bb.1179:                             ;   in Loop: Header=BB2_839 Depth=2
	v_cmp_eq_u16_sdwa s42, v16, v97 src0_sel:BYTE_1 src1_sel:DWORD
	s_mov_b32 s13, -1
	s_and_saveexec_b32 s41, s42
; %bb.1180:                             ;   in Loop: Header=BB2_839 Depth=2
	s_xor_b32 s13, exec_lo, -1
; %bb.1181:                             ;   in Loop: Header=BB2_839 Depth=2
	s_or_b32 exec_lo, exec_lo, s41
	s_and_b32 s13, s13, exec_lo
	s_or_saveexec_b32 s40, s40
	v_mov_b32_e32 v11, 0x7f800001
	s_xor_b32 exec_lo, exec_lo, s40
	s_cbranch_execnz .LBB2_1490
.LBB2_1182:                             ;   in Loop: Header=BB2_839 Depth=2
	s_or_b32 exec_lo, exec_lo, s40
	s_and_saveexec_b32 s40, s13
	s_cbranch_execz .LBB2_1184
.LBB2_1183:                             ;   in Loop: Header=BB2_839 Depth=2
	v_and_b32_sdwa v11, v98, v16 dst_sel:DWORD dst_unused:UNUSED_PAD src0_sel:DWORD src1_sel:BYTE_1
	v_and_b32_e32 v41, 3, v11
	v_bfe_u32 v44, v11, 2, 5
	v_ffbh_u32_e32 v42, v41
	v_cmp_eq_u32_e32 vcc_lo, 0, v44
	v_min_u32_e32 v42, 32, v42
	v_subrev_nc_u32_e32 v43, 29, v42
	v_sub_nc_u32_e32 v42, 30, v42
	v_lshlrev_b32_e32 v11, v43, v11
	v_lshlrev_b32_e32 v43, 16, v16
	v_cndmask_b32_e32 v42, v44, v42, vcc_lo
	v_and_b32_e32 v11, 3, v11
	v_lshl_add_u32 v42, v42, 23, 0x37800000
	v_cndmask_b32_e32 v11, v41, v11, vcc_lo
	v_and_b32_e32 v41, 0x80000000, v43
	v_lshlrev_b32_e32 v11, 21, v11
	v_or3_b32 v11, v41, v42, v11
.LBB2_1184:                             ;   in Loop: Header=BB2_839 Depth=2
	s_or_b32 exec_lo, exec_lo, s40
	v_cmp_gt_i16_sdwa s40, v12, v96 src0_sel:BYTE_1 src1_sel:DWORD
	s_mov_b32 s13, 0
	s_and_saveexec_b32 s41, s40
	s_xor_b32 s40, exec_lo, s41
	s_cbranch_execz .LBB2_1491
; %bb.1185:                             ;   in Loop: Header=BB2_839 Depth=2
	v_cmp_eq_u16_sdwa s42, v12, v97 src0_sel:BYTE_1 src1_sel:DWORD
	s_mov_b32 s13, -1
	s_and_saveexec_b32 s41, s42
; %bb.1186:                             ;   in Loop: Header=BB2_839 Depth=2
	s_xor_b32 s13, exec_lo, -1
; %bb.1187:                             ;   in Loop: Header=BB2_839 Depth=2
	s_or_b32 exec_lo, exec_lo, s41
	s_and_b32 s13, s13, exec_lo
	s_or_saveexec_b32 s40, s40
	v_mov_b32_e32 v41, 0x7f800001
	s_xor_b32 exec_lo, exec_lo, s40
	s_cbranch_execnz .LBB2_1492
.LBB2_1188:                             ;   in Loop: Header=BB2_839 Depth=2
	s_or_b32 exec_lo, exec_lo, s40
	s_and_saveexec_b32 s40, s13
.LBB2_1189:                             ;   in Loop: Header=BB2_839 Depth=2
	v_mov_b32_e32 v41, v10
.LBB2_1190:                             ;   in Loop: Header=BB2_839 Depth=2
	s_or_b32 exec_lo, exec_lo, s40
	v_max_f32_e32 v10, v41, v41
	v_max_f32_e32 v11, v11, v11
	v_min_f32_e32 v11, v11, v10
.LBB2_1191:                             ;   in Loop: Header=BB2_839 Depth=2
	v_and_b32_e32 v10, 0x7f800000, v11
	v_mov_b32_e32 v41, 0x8000
	s_mov_b32 s40, exec_lo
	v_cmpx_ne_u32_e32 0x7f800000, v10
	s_cbranch_execz .LBB2_1199
; %bb.1192:                             ;   in Loop: Header=BB2_839 Depth=2
	v_mov_b32_e32 v41, 0
	s_mov_b32 s41, exec_lo
	v_cmpx_ne_u32_e32 0, v11
	s_cbranch_execz .LBB2_1198
; %bb.1193:                             ;   in Loop: Header=BB2_839 Depth=2
	v_bfe_u32 v10, v11, 23, 8
	v_and_b32_e32 v41, 0x7fffff, v11
	v_sub_nc_u32_e32 v42, 0x70, v10
	v_cmp_gt_u32_e32 vcc_lo, 0x71, v10
	v_or_b32_e32 v43, 0x800000, v41
	v_cndmask_b32_e32 v42, 0, v42, vcc_lo
	v_cmp_eq_u32_e32 vcc_lo, 0, v10
	v_add_nc_u32_e32 v10, 0xffffff91, v10
	v_cndmask_b32_e64 v42, v42, 0x6f, vcc_lo
	v_cndmask_b32_e32 v41, v43, v41, vcc_lo
	v_cndmask_b32_e64 v10, v10, 0xffffff92, vcc_lo
	v_lshl_add_u32 v43, 0x200000, v42, -1
	v_lshrrev_b32_e32 v44, v42, v41
	v_lshlrev_b32_e64 v46, v42, 0x100000
	v_add_nc_u32_e32 v42, v42, v10
	v_and_b32_e32 v41, v43, v41
	v_bfe_u32 v45, v44, 21, 1
	v_cmp_eq_u32_e64 s13, v41, v46
	v_add_nc_u32_e32 v43, -1, v45
	v_cndmask_b32_e64 v41, 0, v43, s13
	v_lshrrev_b32_e32 v43, 23, v44
	s_mov_b32 s13, exec_lo
	v_add_nc_u32_e32 v41, v41, v44
	v_xor_b32_e32 v43, 1, v43
	v_and_b32_e32 v10, 0x1fffff, v41
	v_add_nc_u32_e32 v41, v10, v44
                                        ; implicit-def: $vgpr10
	v_cmpx_ne_u32_e64 v42, v43
	s_xor_b32 s13, exec_lo, s13
; %bb.1194:                             ;   in Loop: Header=BB2_839 Depth=2
	v_cmp_lt_u32_e32 vcc_lo, 0xffffff, v41
	v_sub_nc_u32_e32 v10, v42, v43
	v_cndmask_b32_e64 v42, 0, 1, vcc_lo
	v_add_co_ci_u32_e64 v10, null, 0, v10, vcc_lo
	v_lshrrev_b32_e32 v41, v42, v41
; %bb.1195:                             ;   in Loop: Header=BB2_839 Depth=2
	s_andn2_saveexec_b32 s13, s13
; %bb.1196:                             ;   in Loop: Header=BB2_839 Depth=2
	v_bfe_u32 v10, v41, 23, 1
; %bb.1197:                             ;   in Loop: Header=BB2_839 Depth=2
	s_or_b32 exec_lo, exec_lo, s13
	v_lshrrev_b32_e32 v41, 21, v41
	v_min_i32_e32 v42, 31, v10
	v_cmp_gt_i32_e32 vcc_lo, 32, v10
	v_and_b32_sdwa v11, v11, v97 dst_sel:DWORD dst_unused:UNUSED_PAD src0_sel:BYTE_3 src1_sel:DWORD
	v_lshlrev_b32_e32 v42, 2, v42
	v_cndmask_b32_e32 v41, 3, v41, vcc_lo
	v_and_b32_e32 v42, 0xfc, v42
	v_and_b32_e32 v43, 3, v41
	v_or_b32_e32 v10, v10, v41
	v_or3_b32 v11, v11, v42, v43
	v_cmp_ne_u32_e32 vcc_lo, 0, v10
	v_lshlrev_b32_e32 v11, 8, v11
	v_cndmask_b32_e32 v41, 0, v11, vcc_lo
.LBB2_1198:                             ;   in Loop: Header=BB2_839 Depth=2
	s_or_b32 exec_lo, exec_lo, s41
.LBB2_1199:                             ;   in Loop: Header=BB2_839 Depth=2
	s_or_b32 exec_lo, exec_lo, s40
	v_bfe_u32 v10, v12, 16, 2
	v_bfe_u32 v43, v12, 18, 5
	v_lshlrev_b32_e32 v44, 8, v12
	s_mov_b32 s40, -1
	v_ffbh_u32_e32 v11, v10
	v_cmp_eq_u32_e32 vcc_lo, 0, v43
	v_min_u32_e32 v11, 32, v11
	v_subrev_nc_u32_e32 v42, 29, v11
	v_sub_nc_u32_e32 v11, 30, v11
	v_lshlrev_b32_sdwa v42, v42, v12 dst_sel:DWORD dst_unused:UNUSED_PAD src0_sel:DWORD src1_sel:WORD_1
	v_cndmask_b32_e32 v11, v43, v11, vcc_lo
	v_and_b32_e32 v42, 3, v42
	v_lshl_add_u32 v43, v11, 23, 0x37800000
	v_and_b32_sdwa v11, v16, v100 dst_sel:DWORD dst_unused:UNUSED_PAD src0_sel:WORD_1 src1_sel:DWORD
	v_cndmask_b32_e32 v10, v10, v42, vcc_lo
	v_and_b32_e32 v42, 0x80000000, v44
	v_cmp_lt_i16_e64 s13, 0x7f, v11
	s_and_b32 vcc_lo, exec_lo, s29
	v_lshlrev_b32_e32 v10, 21, v10
	v_or3_b32 v10, v42, v43, v10
                                        ; implicit-def: $vgpr43
	s_cbranch_vccz .LBB2_1213
; %bb.1200:                             ;   in Loop: Header=BB2_839 Depth=2
	s_mov_b32 s40, 0
	s_and_saveexec_b32 s41, s13
	s_xor_b32 s13, exec_lo, s41
	s_cbranch_execz .LBB2_1493
; %bb.1201:                             ;   in Loop: Header=BB2_839 Depth=2
	s_mov_b32 s40, -1
	s_mov_b32 s41, exec_lo
	v_cmpx_eq_u16_e32 0x80, v11
; %bb.1202:                             ;   in Loop: Header=BB2_839 Depth=2
	s_xor_b32 s40, exec_lo, -1
; %bb.1203:                             ;   in Loop: Header=BB2_839 Depth=2
	s_or_b32 exec_lo, exec_lo, s41
	s_and_b32 s40, s40, exec_lo
	s_or_saveexec_b32 s13, s13
	v_mov_b32_e32 v42, 0x7f800001
	s_xor_b32 exec_lo, exec_lo, s13
	s_cbranch_execnz .LBB2_1494
.LBB2_1204:                             ;   in Loop: Header=BB2_839 Depth=2
	s_or_b32 exec_lo, exec_lo, s13
	s_and_saveexec_b32 s13, s40
	s_cbranch_execz .LBB2_1206
.LBB2_1205:                             ;   in Loop: Header=BB2_839 Depth=2
	v_bfe_u32 v42, v16, 16, 2
	v_bfe_u32 v45, v16, 18, 5
	v_lshlrev_b32_sdwa v46, v99, v16 dst_sel:DWORD dst_unused:UNUSED_PAD src0_sel:DWORD src1_sel:WORD_1
	v_ffbh_u32_e32 v43, v42
	v_cmp_eq_u32_e32 vcc_lo, 0, v45
	v_min_u32_e32 v43, 32, v43
	v_subrev_nc_u32_e32 v44, 29, v43
	v_sub_nc_u32_e32 v43, 30, v43
	v_lshlrev_b32_sdwa v44, v44, v16 dst_sel:DWORD dst_unused:UNUSED_PAD src0_sel:DWORD src1_sel:WORD_1
	v_cndmask_b32_e32 v43, v45, v43, vcc_lo
	v_and_b32_e32 v44, 3, v44
	v_lshl_add_u32 v43, v43, 23, 0x37800000
	v_cndmask_b32_e32 v42, v42, v44, vcc_lo
	v_and_b32_e32 v44, 0x80000000, v46
	v_lshlrev_b32_e32 v42, 21, v42
	v_or3_b32 v42, v44, v43, v42
.LBB2_1206:                             ;   in Loop: Header=BB2_839 Depth=2
	s_or_b32 exec_lo, exec_lo, s13
	v_and_b32_sdwa v44, v12, v100 dst_sel:DWORD dst_unused:UNUSED_PAD src0_sel:WORD_1 src1_sel:DWORD
	s_mov_b32 s13, 0
	s_mov_b32 s40, exec_lo
	v_cmpx_lt_i16_e32 0x7f, v44
	s_xor_b32 s40, exec_lo, s40
	s_cbranch_execz .LBB2_1495
; %bb.1207:                             ;   in Loop: Header=BB2_839 Depth=2
	s_mov_b32 s13, -1
	s_mov_b32 s41, exec_lo
	v_cmpx_eq_u16_e32 0x80, v44
; %bb.1208:                             ;   in Loop: Header=BB2_839 Depth=2
	s_xor_b32 s13, exec_lo, -1
; %bb.1209:                             ;   in Loop: Header=BB2_839 Depth=2
	s_or_b32 exec_lo, exec_lo, s41
	s_and_b32 s13, s13, exec_lo
                                        ; implicit-def: $vgpr44
	s_or_saveexec_b32 s40, s40
	v_mov_b32_e32 v43, 0x7f800001
	s_xor_b32 exec_lo, exec_lo, s40
	s_cbranch_execnz .LBB2_1496
.LBB2_1210:                             ;   in Loop: Header=BB2_839 Depth=2
	s_or_b32 exec_lo, exec_lo, s40
	s_and_saveexec_b32 s40, s13
.LBB2_1211:                             ;   in Loop: Header=BB2_839 Depth=2
	v_mov_b32_e32 v43, v10
.LBB2_1212:                             ;   in Loop: Header=BB2_839 Depth=2
	s_or_b32 exec_lo, exec_lo, s40
	v_max_f32_e32 v43, v43, v43
	v_max_f32_e32 v42, v42, v42
	s_mov_b32 s40, 0
	v_max_f32_e32 v43, v42, v43
.LBB2_1213:                             ;   in Loop: Header=BB2_839 Depth=2
	s_and_b32 vcc_lo, exec_lo, s40
	s_cbranch_vccz .LBB2_1227
; %bb.1214:                             ;   in Loop: Header=BB2_839 Depth=2
	s_mov_b32 s13, 0
	s_mov_b32 s40, exec_lo
	v_cmpx_lt_i16_e32 0x7f, v11
	s_xor_b32 s40, exec_lo, s40
	s_cbranch_execz .LBB2_1497
; %bb.1215:                             ;   in Loop: Header=BB2_839 Depth=2
	s_mov_b32 s13, -1
	s_mov_b32 s41, exec_lo
	v_cmpx_eq_u16_e32 0x80, v11
; %bb.1216:                             ;   in Loop: Header=BB2_839 Depth=2
	s_xor_b32 s13, exec_lo, -1
; %bb.1217:                             ;   in Loop: Header=BB2_839 Depth=2
	s_or_b32 exec_lo, exec_lo, s41
	s_and_b32 s13, s13, exec_lo
                                        ; implicit-def: $vgpr11
	s_or_saveexec_b32 s40, s40
	v_mov_b32_e32 v42, 0x7f800001
	s_xor_b32 exec_lo, exec_lo, s40
	s_cbranch_execnz .LBB2_1498
.LBB2_1218:                             ;   in Loop: Header=BB2_839 Depth=2
	s_or_b32 exec_lo, exec_lo, s40
	s_and_saveexec_b32 s40, s13
	s_cbranch_execz .LBB2_1220
.LBB2_1219:                             ;   in Loop: Header=BB2_839 Depth=2
	v_bfe_u32 v11, v16, 16, 2
	v_bfe_u32 v44, v16, 18, 5
	v_lshlrev_b32_sdwa v45, v99, v16 dst_sel:DWORD dst_unused:UNUSED_PAD src0_sel:DWORD src1_sel:WORD_1
	v_ffbh_u32_e32 v42, v11
	v_cmp_eq_u32_e32 vcc_lo, 0, v44
	v_min_u32_e32 v42, 32, v42
	v_subrev_nc_u32_e32 v43, 29, v42
	v_sub_nc_u32_e32 v42, 30, v42
	v_lshlrev_b32_sdwa v43, v43, v16 dst_sel:DWORD dst_unused:UNUSED_PAD src0_sel:DWORD src1_sel:WORD_1
	v_cndmask_b32_e32 v42, v44, v42, vcc_lo
	v_and_b32_e32 v43, 3, v43
	v_lshl_add_u32 v42, v42, 23, 0x37800000
	v_cndmask_b32_e32 v11, v11, v43, vcc_lo
	v_and_b32_e32 v43, 0x80000000, v45
	v_lshlrev_b32_e32 v11, 21, v11
	v_or3_b32 v42, v43, v42, v11
.LBB2_1220:                             ;   in Loop: Header=BB2_839 Depth=2
	s_or_b32 exec_lo, exec_lo, s40
	v_and_b32_sdwa v43, v12, v100 dst_sel:DWORD dst_unused:UNUSED_PAD src0_sel:WORD_1 src1_sel:DWORD
	s_mov_b32 s13, 0
	s_mov_b32 s40, exec_lo
	v_cmpx_lt_i16_e32 0x7f, v43
	s_xor_b32 s40, exec_lo, s40
	s_cbranch_execz .LBB2_1499
; %bb.1221:                             ;   in Loop: Header=BB2_839 Depth=2
	s_mov_b32 s13, -1
	s_mov_b32 s41, exec_lo
	v_cmpx_eq_u16_e32 0x80, v43
; %bb.1222:                             ;   in Loop: Header=BB2_839 Depth=2
	s_xor_b32 s13, exec_lo, -1
; %bb.1223:                             ;   in Loop: Header=BB2_839 Depth=2
	s_or_b32 exec_lo, exec_lo, s41
	s_and_b32 s13, s13, exec_lo
                                        ; implicit-def: $vgpr43
	s_or_saveexec_b32 s40, s40
	v_mov_b32_e32 v11, 0x7f800001
	s_xor_b32 exec_lo, exec_lo, s40
	s_cbranch_execnz .LBB2_1500
.LBB2_1224:                             ;   in Loop: Header=BB2_839 Depth=2
	s_or_b32 exec_lo, exec_lo, s40
	s_and_saveexec_b32 s40, s13
.LBB2_1225:                             ;   in Loop: Header=BB2_839 Depth=2
	v_mov_b32_e32 v11, v10
.LBB2_1226:                             ;   in Loop: Header=BB2_839 Depth=2
	s_or_b32 exec_lo, exec_lo, s40
	v_max_f32_e32 v10, v11, v11
	v_max_f32_e32 v11, v42, v42
	v_min_f32_e32 v43, v11, v10
.LBB2_1227:                             ;   in Loop: Header=BB2_839 Depth=2
	v_and_b32_e32 v10, 0x7f800000, v43
	v_mov_b32_e32 v42, 0x80
	s_mov_b32 s40, exec_lo
	v_cmpx_ne_u32_e32 0x7f800000, v10
	s_cbranch_execz .LBB2_1235
; %bb.1228:                             ;   in Loop: Header=BB2_839 Depth=2
	v_mov_b32_e32 v42, 0
	s_mov_b32 s41, exec_lo
	v_cmpx_ne_u32_e32 0, v43
	s_cbranch_execz .LBB2_1234
; %bb.1229:                             ;   in Loop: Header=BB2_839 Depth=2
	v_bfe_u32 v10, v43, 23, 8
	v_and_b32_e32 v11, 0x7fffff, v43
	v_sub_nc_u32_e32 v42, 0x70, v10
	v_cmp_gt_u32_e32 vcc_lo, 0x71, v10
	v_or_b32_e32 v44, 0x800000, v11
	v_cndmask_b32_e32 v42, 0, v42, vcc_lo
	v_cmp_eq_u32_e32 vcc_lo, 0, v10
	v_add_nc_u32_e32 v10, 0xffffff91, v10
	v_cndmask_b32_e64 v42, v42, 0x6f, vcc_lo
	v_cndmask_b32_e32 v11, v44, v11, vcc_lo
	v_cndmask_b32_e64 v10, v10, 0xffffff92, vcc_lo
	v_lshl_add_u32 v44, 0x200000, v42, -1
	v_lshrrev_b32_e32 v45, v42, v11
	v_lshlrev_b32_e64 v47, v42, 0x100000
	v_add_nc_u32_e32 v42, v42, v10
	v_and_b32_e32 v11, v44, v11
	v_bfe_u32 v46, v45, 21, 1
	v_cmp_eq_u32_e64 s13, v11, v47
	v_add_nc_u32_e32 v44, -1, v46
	v_cndmask_b32_e64 v11, 0, v44, s13
	v_lshrrev_b32_e32 v44, 23, v45
	s_mov_b32 s13, exec_lo
	v_add_nc_u32_e32 v11, v11, v45
	v_xor_b32_e32 v44, 1, v44
	v_and_b32_e32 v10, 0x1fffff, v11
	v_add_nc_u32_e32 v11, v10, v45
                                        ; implicit-def: $vgpr10
	v_cmpx_ne_u32_e64 v42, v44
	s_xor_b32 s13, exec_lo, s13
; %bb.1230:                             ;   in Loop: Header=BB2_839 Depth=2
	v_cmp_lt_u32_e32 vcc_lo, 0xffffff, v11
	v_sub_nc_u32_e32 v10, v42, v44
	v_cndmask_b32_e64 v42, 0, 1, vcc_lo
	v_add_co_ci_u32_e64 v10, null, 0, v10, vcc_lo
	v_lshrrev_b32_e32 v11, v42, v11
; %bb.1231:                             ;   in Loop: Header=BB2_839 Depth=2
	s_andn2_saveexec_b32 s13, s13
; %bb.1232:                             ;   in Loop: Header=BB2_839 Depth=2
	v_bfe_u32 v10, v11, 23, 1
; %bb.1233:                             ;   in Loop: Header=BB2_839 Depth=2
	s_or_b32 exec_lo, exec_lo, s13
	v_lshrrev_b32_e32 v11, 21, v11
	v_min_i32_e32 v42, 31, v10
	v_cmp_gt_i32_e32 vcc_lo, 32, v10
	v_and_b32_sdwa v43, v43, v97 dst_sel:DWORD dst_unused:UNUSED_PAD src0_sel:BYTE_3 src1_sel:DWORD
	v_lshlrev_b32_e32 v42, 2, v42
	v_cndmask_b32_e32 v11, 3, v11, vcc_lo
	v_and_b32_e32 v42, 0xfc, v42
	v_and_b32_e32 v44, 3, v11
	v_or_b32_e32 v10, v10, v11
	v_or3_b32 v11, v42, v43, v44
	v_cmp_ne_u32_e32 vcc_lo, 0, v10
	v_cndmask_b32_e32 v42, 0, v11, vcc_lo
.LBB2_1234:                             ;   in Loop: Header=BB2_839 Depth=2
	s_or_b32 exec_lo, exec_lo, s41
.LBB2_1235:                             ;   in Loop: Header=BB2_839 Depth=2
	s_or_b32 exec_lo, exec_lo, s40
	v_bfe_u32 v10, v12, 24, 2
	v_bfe_u32 v44, v12, 26, 5
	v_cmp_gt_i16_sdwa s40, v16, v96 src0_sel:BYTE_3 src1_sel:DWORD
	s_mov_b32 s13, -1
	v_ffbh_u32_e32 v11, v10
	v_cmp_eq_u32_e32 vcc_lo, 0, v44
	v_min_u32_e32 v11, 32, v11
	v_subrev_nc_u32_e32 v43, 29, v11
	v_sub_nc_u32_e32 v11, 30, v11
	v_lshlrev_b32_sdwa v43, v43, v12 dst_sel:DWORD dst_unused:UNUSED_PAD src0_sel:DWORD src1_sel:BYTE_3
	v_cndmask_b32_e32 v11, v44, v11, vcc_lo
	v_and_b32_e32 v43, 3, v43
	v_lshl_add_u32 v11, v11, 23, 0x37800000
	v_cndmask_b32_e32 v10, v10, v43, vcc_lo
	v_and_b32_e32 v43, 0x80000000, v12
	s_and_b32 vcc_lo, exec_lo, s29
	v_lshlrev_b32_e32 v10, 21, v10
	v_or3_b32 v10, v43, v11, v10
                                        ; implicit-def: $vgpr11
	s_cbranch_vccz .LBB2_1249
; %bb.1236:                             ;   in Loop: Header=BB2_839 Depth=2
	s_mov_b32 s13, 0
	s_and_saveexec_b32 s41, s40
	s_xor_b32 s40, exec_lo, s41
	s_cbranch_execz .LBB2_1501
; %bb.1237:                             ;   in Loop: Header=BB2_839 Depth=2
	v_cmp_eq_u16_sdwa s42, v16, v97 src0_sel:BYTE_3 src1_sel:DWORD
	s_mov_b32 s13, -1
	s_and_saveexec_b32 s41, s42
; %bb.1238:                             ;   in Loop: Header=BB2_839 Depth=2
	s_xor_b32 s13, exec_lo, -1
; %bb.1239:                             ;   in Loop: Header=BB2_839 Depth=2
	s_or_b32 exec_lo, exec_lo, s41
	s_and_b32 s13, s13, exec_lo
	s_or_saveexec_b32 s40, s40
	v_mov_b32_e32 v11, 0x7f800001
	s_xor_b32 exec_lo, exec_lo, s40
	s_cbranch_execnz .LBB2_1502
.LBB2_1240:                             ;   in Loop: Header=BB2_839 Depth=2
	s_or_b32 exec_lo, exec_lo, s40
	s_and_saveexec_b32 s40, s13
	s_cbranch_execz .LBB2_1242
.LBB2_1241:                             ;   in Loop: Header=BB2_839 Depth=2
	v_bfe_u32 v11, v16, 24, 2
	v_bfe_u32 v45, v16, 26, 5
	v_ffbh_u32_e32 v43, v11
	v_cmp_eq_u32_e32 vcc_lo, 0, v45
	v_min_u32_e32 v43, 32, v43
	v_subrev_nc_u32_e32 v44, 29, v43
	v_sub_nc_u32_e32 v43, 30, v43
	v_lshlrev_b32_sdwa v44, v44, v16 dst_sel:DWORD dst_unused:UNUSED_PAD src0_sel:DWORD src1_sel:BYTE_3
	v_cndmask_b32_e32 v43, v45, v43, vcc_lo
	v_and_b32_e32 v44, 3, v44
	v_lshl_add_u32 v43, v43, 23, 0x37800000
	v_cndmask_b32_e32 v11, v11, v44, vcc_lo
	v_and_b32_e32 v44, 0x80000000, v16
	v_lshlrev_b32_e32 v11, 21, v11
	v_or3_b32 v11, v44, v43, v11
.LBB2_1242:                             ;   in Loop: Header=BB2_839 Depth=2
	s_or_b32 exec_lo, exec_lo, s40
	v_cmp_gt_i16_sdwa s40, v12, v96 src0_sel:BYTE_3 src1_sel:DWORD
	s_mov_b32 s13, 0
	s_and_saveexec_b32 s41, s40
	s_xor_b32 s40, exec_lo, s41
	s_cbranch_execz .LBB2_1503
; %bb.1243:                             ;   in Loop: Header=BB2_839 Depth=2
	v_cmp_eq_u16_sdwa s42, v12, v97 src0_sel:BYTE_3 src1_sel:DWORD
	s_mov_b32 s13, -1
	s_and_saveexec_b32 s41, s42
; %bb.1244:                             ;   in Loop: Header=BB2_839 Depth=2
	s_xor_b32 s13, exec_lo, -1
; %bb.1245:                             ;   in Loop: Header=BB2_839 Depth=2
	s_or_b32 exec_lo, exec_lo, s41
	s_and_b32 s13, s13, exec_lo
	s_or_saveexec_b32 s40, s40
	v_mov_b32_e32 v43, 0x7f800001
	s_xor_b32 exec_lo, exec_lo, s40
	s_cbranch_execnz .LBB2_1504
.LBB2_1246:                             ;   in Loop: Header=BB2_839 Depth=2
	s_or_b32 exec_lo, exec_lo, s40
	s_and_saveexec_b32 s40, s13
.LBB2_1247:                             ;   in Loop: Header=BB2_839 Depth=2
	v_mov_b32_e32 v43, v10
.LBB2_1248:                             ;   in Loop: Header=BB2_839 Depth=2
	s_or_b32 exec_lo, exec_lo, s40
	v_max_f32_e32 v43, v43, v43
	v_max_f32_e32 v11, v11, v11
	s_mov_b32 s13, 0
	v_max_f32_e32 v11, v11, v43
.LBB2_1249:                             ;   in Loop: Header=BB2_839 Depth=2
	s_and_b32 vcc_lo, exec_lo, s13
	s_cbranch_vccz .LBB2_1263
; %bb.1250:                             ;   in Loop: Header=BB2_839 Depth=2
	v_cmp_gt_i16_sdwa s40, v16, v96 src0_sel:BYTE_3 src1_sel:DWORD
	s_mov_b32 s13, 0
	s_and_saveexec_b32 s41, s40
	s_xor_b32 s40, exec_lo, s41
	s_cbranch_execz .LBB2_1505
; %bb.1251:                             ;   in Loop: Header=BB2_839 Depth=2
	v_cmp_eq_u16_sdwa s42, v16, v97 src0_sel:BYTE_3 src1_sel:DWORD
	s_mov_b32 s13, -1
	s_and_saveexec_b32 s41, s42
; %bb.1252:                             ;   in Loop: Header=BB2_839 Depth=2
	s_xor_b32 s13, exec_lo, -1
; %bb.1253:                             ;   in Loop: Header=BB2_839 Depth=2
	s_or_b32 exec_lo, exec_lo, s41
	s_and_b32 s13, s13, exec_lo
	s_or_saveexec_b32 s40, s40
	v_mov_b32_e32 v11, 0x7f800001
	s_xor_b32 exec_lo, exec_lo, s40
	s_cbranch_execnz .LBB2_1506
.LBB2_1254:                             ;   in Loop: Header=BB2_839 Depth=2
	s_or_b32 exec_lo, exec_lo, s40
	s_and_saveexec_b32 s40, s13
	s_cbranch_execz .LBB2_1256
.LBB2_1255:                             ;   in Loop: Header=BB2_839 Depth=2
	v_bfe_u32 v11, v16, 24, 2
	v_bfe_u32 v45, v16, 26, 5
	v_ffbh_u32_e32 v43, v11
	v_cmp_eq_u32_e32 vcc_lo, 0, v45
	v_min_u32_e32 v43, 32, v43
	v_subrev_nc_u32_e32 v44, 29, v43
	v_sub_nc_u32_e32 v43, 30, v43
	v_lshlrev_b32_sdwa v44, v44, v16 dst_sel:DWORD dst_unused:UNUSED_PAD src0_sel:DWORD src1_sel:BYTE_3
	v_cndmask_b32_e32 v43, v45, v43, vcc_lo
	v_and_b32_e32 v16, 0x80000000, v16
	v_and_b32_e32 v44, 3, v44
	v_lshl_add_u32 v43, v43, 23, 0x37800000
	v_cndmask_b32_e32 v11, v11, v44, vcc_lo
	v_lshlrev_b32_e32 v11, 21, v11
	v_or3_b32 v11, v16, v43, v11
.LBB2_1256:                             ;   in Loop: Header=BB2_839 Depth=2
	s_or_b32 exec_lo, exec_lo, s40
	v_cmp_gt_i16_sdwa s40, v12, v96 src0_sel:BYTE_3 src1_sel:DWORD
	s_mov_b32 s13, 0
	s_and_saveexec_b32 s41, s40
	s_xor_b32 s40, exec_lo, s41
	s_cbranch_execz .LBB2_1507
; %bb.1257:                             ;   in Loop: Header=BB2_839 Depth=2
	v_cmp_eq_u16_sdwa s42, v12, v97 src0_sel:BYTE_3 src1_sel:DWORD
	s_mov_b32 s13, -1
	s_and_saveexec_b32 s41, s42
; %bb.1258:                             ;   in Loop: Header=BB2_839 Depth=2
	s_xor_b32 s13, exec_lo, -1
; %bb.1259:                             ;   in Loop: Header=BB2_839 Depth=2
	s_or_b32 exec_lo, exec_lo, s41
	s_and_b32 s13, s13, exec_lo
	s_or_saveexec_b32 s40, s40
	v_mov_b32_e32 v16, 0x7f800001
	s_xor_b32 exec_lo, exec_lo, s40
	s_cbranch_execnz .LBB2_1508
.LBB2_1260:                             ;   in Loop: Header=BB2_839 Depth=2
	s_or_b32 exec_lo, exec_lo, s40
	s_and_saveexec_b32 s40, s13
.LBB2_1261:                             ;   in Loop: Header=BB2_839 Depth=2
	v_mov_b32_e32 v16, v10
.LBB2_1262:                             ;   in Loop: Header=BB2_839 Depth=2
	s_or_b32 exec_lo, exec_lo, s40
	v_max_f32_e32 v10, v16, v16
	v_max_f32_e32 v11, v11, v11
	v_min_f32_e32 v11, v11, v10
.LBB2_1263:                             ;   in Loop: Header=BB2_839 Depth=2
	v_and_b32_e32 v10, 0x7f800000, v11
	v_mov_b32_e32 v16, 0x8000
	s_mov_b32 s40, exec_lo
	v_cmpx_ne_u32_e32 0x7f800000, v10
	s_cbranch_execz .LBB2_1271
; %bb.1264:                             ;   in Loop: Header=BB2_839 Depth=2
	v_mov_b32_e32 v16, 0
	s_mov_b32 s41, exec_lo
	v_cmpx_ne_u32_e32 0, v11
	s_cbranch_execz .LBB2_1270
; %bb.1265:                             ;   in Loop: Header=BB2_839 Depth=2
	v_bfe_u32 v10, v11, 23, 8
	v_and_b32_e32 v12, 0x7fffff, v11
	v_sub_nc_u32_e32 v16, 0x70, v10
	v_cmp_gt_u32_e32 vcc_lo, 0x71, v10
	v_or_b32_e32 v43, 0x800000, v12
	v_cndmask_b32_e32 v16, 0, v16, vcc_lo
	v_cmp_eq_u32_e32 vcc_lo, 0, v10
	v_add_nc_u32_e32 v10, 0xffffff91, v10
	v_cndmask_b32_e64 v16, v16, 0x6f, vcc_lo
	v_cndmask_b32_e32 v12, v43, v12, vcc_lo
	v_cndmask_b32_e64 v10, v10, 0xffffff92, vcc_lo
	v_lshl_add_u32 v43, 0x200000, v16, -1
	v_lshrrev_b32_e32 v44, v16, v12
	v_lshlrev_b32_e64 v46, v16, 0x100000
	v_add_nc_u32_e32 v16, v16, v10
	v_and_b32_e32 v12, v43, v12
	v_bfe_u32 v45, v44, 21, 1
	v_cmp_eq_u32_e64 s13, v12, v46
	v_add_nc_u32_e32 v43, -1, v45
	v_cndmask_b32_e64 v12, 0, v43, s13
	v_lshrrev_b32_e32 v43, 23, v44
	s_mov_b32 s13, exec_lo
	v_add_nc_u32_e32 v12, v12, v44
	v_xor_b32_e32 v43, 1, v43
	v_and_b32_e32 v10, 0x1fffff, v12
	v_add_nc_u32_e32 v12, v10, v44
                                        ; implicit-def: $vgpr10
	v_cmpx_ne_u32_e64 v16, v43
	s_xor_b32 s13, exec_lo, s13
; %bb.1266:                             ;   in Loop: Header=BB2_839 Depth=2
	v_cmp_lt_u32_e32 vcc_lo, 0xffffff, v12
	v_sub_nc_u32_e32 v10, v16, v43
	v_cndmask_b32_e64 v16, 0, 1, vcc_lo
	v_add_co_ci_u32_e64 v10, null, 0, v10, vcc_lo
	v_lshrrev_b32_e32 v12, v16, v12
; %bb.1267:                             ;   in Loop: Header=BB2_839 Depth=2
	s_andn2_saveexec_b32 s13, s13
; %bb.1268:                             ;   in Loop: Header=BB2_839 Depth=2
	v_bfe_u32 v10, v12, 23, 1
; %bb.1269:                             ;   in Loop: Header=BB2_839 Depth=2
	s_or_b32 exec_lo, exec_lo, s13
	v_lshrrev_b32_e32 v12, 21, v12
	v_min_i32_e32 v16, 31, v10
	v_cmp_gt_i32_e32 vcc_lo, 32, v10
	v_and_b32_sdwa v11, v11, v97 dst_sel:DWORD dst_unused:UNUSED_PAD src0_sel:BYTE_3 src1_sel:DWORD
	v_lshlrev_b32_e32 v16, 2, v16
	v_cndmask_b32_e32 v12, 3, v12, vcc_lo
	v_and_b32_e32 v16, 0xfc, v16
	v_and_b32_e32 v43, 3, v12
	v_or_b32_e32 v10, v10, v12
	v_or3_b32 v11, v11, v16, v43
	v_cmp_ne_u32_e32 vcc_lo, 0, v10
	v_lshlrev_b32_e32 v11, 8, v11
	v_cndmask_b32_e32 v16, 0, v11, vcc_lo
.LBB2_1270:                             ;   in Loop: Header=BB2_839 Depth=2
	s_or_b32 exec_lo, exec_lo, s41
.LBB2_1271:                             ;   in Loop: Header=BB2_839 Depth=2
	s_or_b32 exec_lo, exec_lo, s40
	v_and_b32_e32 v10, 3, v13
	v_bfe_u32 v43, v13, 2, 5
	v_lshlrev_b32_e32 v44, 24, v13
	v_cmp_gt_i16_sdwa s40, v17, v96 src0_sel:BYTE_0 src1_sel:DWORD
	s_mov_b32 s13, -1
	v_ffbh_u32_e32 v11, v10
	v_cmp_eq_u32_e32 vcc_lo, 0, v43
	v_min_u32_e32 v11, 32, v11
	v_subrev_nc_u32_e32 v12, 29, v11
	v_sub_nc_u32_e32 v11, 30, v11
	v_lshlrev_b32_e32 v12, v12, v13
	v_cndmask_b32_e32 v11, v43, v11, vcc_lo
	v_and_b32_e32 v12, 3, v12
	v_lshl_add_u32 v11, v11, 23, 0x37800000
	v_cndmask_b32_e32 v10, v10, v12, vcc_lo
	v_and_b32_e32 v12, 0x80000000, v44
	s_and_b32 vcc_lo, exec_lo, s29
	v_lshlrev_b32_e32 v10, 21, v10
	v_or3_b32 v10, v12, v11, v10
                                        ; implicit-def: $vgpr11
	s_cbranch_vccz .LBB2_1285
; %bb.1272:                             ;   in Loop: Header=BB2_839 Depth=2
	s_mov_b32 s13, 0
	s_and_saveexec_b32 s41, s40
	s_xor_b32 s40, exec_lo, s41
	s_cbranch_execz .LBB2_1509
; %bb.1273:                             ;   in Loop: Header=BB2_839 Depth=2
	v_cmp_eq_u16_sdwa s42, v17, v97 src0_sel:BYTE_0 src1_sel:DWORD
	s_mov_b32 s13, -1
	s_and_saveexec_b32 s41, s42
; %bb.1274:                             ;   in Loop: Header=BB2_839 Depth=2
	s_xor_b32 s13, exec_lo, -1
; %bb.1275:                             ;   in Loop: Header=BB2_839 Depth=2
	s_or_b32 exec_lo, exec_lo, s41
	s_and_b32 s13, s13, exec_lo
	s_or_saveexec_b32 s40, s40
	v_mov_b32_e32 v11, 0x7f800001
	s_xor_b32 exec_lo, exec_lo, s40
	s_cbranch_execnz .LBB2_1510
.LBB2_1276:                             ;   in Loop: Header=BB2_839 Depth=2
	s_or_b32 exec_lo, exec_lo, s40
	s_and_saveexec_b32 s40, s13
	s_cbranch_execz .LBB2_1278
.LBB2_1277:                             ;   in Loop: Header=BB2_839 Depth=2
	v_and_b32_e32 v11, 3, v17
	v_bfe_u32 v44, v17, 2, 5
	v_lshlrev_b32_e32 v45, 24, v17
	v_ffbh_u32_e32 v12, v11
	v_cmp_eq_u32_e32 vcc_lo, 0, v44
	v_min_u32_e32 v12, 32, v12
	v_subrev_nc_u32_e32 v43, 29, v12
	v_sub_nc_u32_e32 v12, 30, v12
	v_lshlrev_b32_e32 v43, v43, v17
	v_cndmask_b32_e32 v12, v44, v12, vcc_lo
	v_and_b32_e32 v43, 3, v43
	v_lshl_add_u32 v12, v12, 23, 0x37800000
	v_cndmask_b32_e32 v11, v11, v43, vcc_lo
	v_and_b32_e32 v43, 0x80000000, v45
	v_lshlrev_b32_e32 v11, 21, v11
	v_or3_b32 v11, v43, v12, v11
.LBB2_1278:                             ;   in Loop: Header=BB2_839 Depth=2
	s_or_b32 exec_lo, exec_lo, s40
	v_cmp_gt_i16_sdwa s40, v13, v96 src0_sel:BYTE_0 src1_sel:DWORD
	s_mov_b32 s13, 0
	s_and_saveexec_b32 s41, s40
	s_xor_b32 s40, exec_lo, s41
	s_cbranch_execz .LBB2_1511
; %bb.1279:                             ;   in Loop: Header=BB2_839 Depth=2
	v_cmp_eq_u16_sdwa s42, v13, v97 src0_sel:BYTE_0 src1_sel:DWORD
	s_mov_b32 s13, -1
	s_and_saveexec_b32 s41, s42
; %bb.1280:                             ;   in Loop: Header=BB2_839 Depth=2
	s_xor_b32 s13, exec_lo, -1
; %bb.1281:                             ;   in Loop: Header=BB2_839 Depth=2
	s_or_b32 exec_lo, exec_lo, s41
	s_and_b32 s13, s13, exec_lo
	s_or_saveexec_b32 s40, s40
	v_mov_b32_e32 v12, 0x7f800001
	s_xor_b32 exec_lo, exec_lo, s40
	s_cbranch_execnz .LBB2_1512
.LBB2_1282:                             ;   in Loop: Header=BB2_839 Depth=2
	s_or_b32 exec_lo, exec_lo, s40
	s_and_saveexec_b32 s40, s13
.LBB2_1283:                             ;   in Loop: Header=BB2_839 Depth=2
	v_mov_b32_e32 v12, v10
.LBB2_1284:                             ;   in Loop: Header=BB2_839 Depth=2
	s_or_b32 exec_lo, exec_lo, s40
	v_max_f32_e32 v12, v12, v12
	v_max_f32_e32 v11, v11, v11
	s_mov_b32 s13, 0
	v_max_f32_e32 v11, v11, v12
.LBB2_1285:                             ;   in Loop: Header=BB2_839 Depth=2
	s_and_b32 vcc_lo, exec_lo, s13
	s_cbranch_vccz .LBB2_1299
; %bb.1286:                             ;   in Loop: Header=BB2_839 Depth=2
	v_cmp_gt_i16_sdwa s40, v17, v96 src0_sel:BYTE_0 src1_sel:DWORD
	s_mov_b32 s13, 0
	s_and_saveexec_b32 s41, s40
	s_xor_b32 s40, exec_lo, s41
	s_cbranch_execz .LBB2_1513
; %bb.1287:                             ;   in Loop: Header=BB2_839 Depth=2
	v_cmp_eq_u16_sdwa s42, v17, v97 src0_sel:BYTE_0 src1_sel:DWORD
	s_mov_b32 s13, -1
	s_and_saveexec_b32 s41, s42
; %bb.1288:                             ;   in Loop: Header=BB2_839 Depth=2
	s_xor_b32 s13, exec_lo, -1
; %bb.1289:                             ;   in Loop: Header=BB2_839 Depth=2
	s_or_b32 exec_lo, exec_lo, s41
	s_and_b32 s13, s13, exec_lo
	s_or_saveexec_b32 s40, s40
	v_mov_b32_e32 v11, 0x7f800001
	s_xor_b32 exec_lo, exec_lo, s40
	s_cbranch_execnz .LBB2_1514
.LBB2_1290:                             ;   in Loop: Header=BB2_839 Depth=2
	s_or_b32 exec_lo, exec_lo, s40
	s_and_saveexec_b32 s40, s13
	s_cbranch_execz .LBB2_1292
.LBB2_1291:                             ;   in Loop: Header=BB2_839 Depth=2
	v_and_b32_e32 v11, 3, v17
	v_bfe_u32 v44, v17, 2, 5
	v_lshlrev_b32_e32 v45, 24, v17
	v_ffbh_u32_e32 v12, v11
	v_cmp_eq_u32_e32 vcc_lo, 0, v44
	v_min_u32_e32 v12, 32, v12
	v_subrev_nc_u32_e32 v43, 29, v12
	v_sub_nc_u32_e32 v12, 30, v12
	v_lshlrev_b32_e32 v43, v43, v17
	v_cndmask_b32_e32 v12, v44, v12, vcc_lo
	v_and_b32_e32 v43, 3, v43
	v_lshl_add_u32 v12, v12, 23, 0x37800000
	v_cndmask_b32_e32 v11, v11, v43, vcc_lo
	v_and_b32_e32 v43, 0x80000000, v45
	v_lshlrev_b32_e32 v11, 21, v11
	v_or3_b32 v11, v43, v12, v11
.LBB2_1292:                             ;   in Loop: Header=BB2_839 Depth=2
	s_or_b32 exec_lo, exec_lo, s40
	v_cmp_gt_i16_sdwa s40, v13, v96 src0_sel:BYTE_0 src1_sel:DWORD
	s_mov_b32 s13, 0
	s_and_saveexec_b32 s41, s40
	s_xor_b32 s40, exec_lo, s41
	s_cbranch_execz .LBB2_1515
; %bb.1293:                             ;   in Loop: Header=BB2_839 Depth=2
	v_cmp_eq_u16_sdwa s42, v13, v97 src0_sel:BYTE_0 src1_sel:DWORD
	s_mov_b32 s13, -1
	s_and_saveexec_b32 s41, s42
; %bb.1294:                             ;   in Loop: Header=BB2_839 Depth=2
	s_xor_b32 s13, exec_lo, -1
; %bb.1295:                             ;   in Loop: Header=BB2_839 Depth=2
	s_or_b32 exec_lo, exec_lo, s41
	s_and_b32 s13, s13, exec_lo
	s_or_saveexec_b32 s40, s40
	v_mov_b32_e32 v12, 0x7f800001
	s_xor_b32 exec_lo, exec_lo, s40
	s_cbranch_execnz .LBB2_1516
.LBB2_1296:                             ;   in Loop: Header=BB2_839 Depth=2
	s_or_b32 exec_lo, exec_lo, s40
	s_and_saveexec_b32 s40, s13
.LBB2_1297:                             ;   in Loop: Header=BB2_839 Depth=2
	v_mov_b32_e32 v12, v10
.LBB2_1298:                             ;   in Loop: Header=BB2_839 Depth=2
	s_or_b32 exec_lo, exec_lo, s40
	v_max_f32_e32 v10, v12, v12
	v_max_f32_e32 v11, v11, v11
	v_min_f32_e32 v11, v11, v10
.LBB2_1299:                             ;   in Loop: Header=BB2_839 Depth=2
	v_and_b32_e32 v10, 0x7f800000, v11
	v_mov_b32_e32 v43, 0x80
	s_mov_b32 s40, exec_lo
	v_cmpx_ne_u32_e32 0x7f800000, v10
	s_cbranch_execz .LBB2_1307
; %bb.1300:                             ;   in Loop: Header=BB2_839 Depth=2
	v_mov_b32_e32 v43, 0
	s_mov_b32 s41, exec_lo
	v_cmpx_ne_u32_e32 0, v11
	s_cbranch_execz .LBB2_1306
; %bb.1301:                             ;   in Loop: Header=BB2_839 Depth=2
	v_bfe_u32 v10, v11, 23, 8
	v_and_b32_e32 v12, 0x7fffff, v11
	v_sub_nc_u32_e32 v43, 0x70, v10
	v_cmp_gt_u32_e32 vcc_lo, 0x71, v10
	v_or_b32_e32 v44, 0x800000, v12
	v_cndmask_b32_e32 v43, 0, v43, vcc_lo
	v_cmp_eq_u32_e32 vcc_lo, 0, v10
	v_add_nc_u32_e32 v10, 0xffffff91, v10
	v_cndmask_b32_e64 v43, v43, 0x6f, vcc_lo
	v_cndmask_b32_e32 v12, v44, v12, vcc_lo
	v_cndmask_b32_e64 v10, v10, 0xffffff92, vcc_lo
	v_lshl_add_u32 v44, 0x200000, v43, -1
	v_lshrrev_b32_e32 v45, v43, v12
	v_lshlrev_b32_e64 v47, v43, 0x100000
	v_add_nc_u32_e32 v43, v43, v10
	v_and_b32_e32 v12, v44, v12
	v_bfe_u32 v46, v45, 21, 1
	v_cmp_eq_u32_e64 s13, v12, v47
	v_add_nc_u32_e32 v44, -1, v46
	v_cndmask_b32_e64 v12, 0, v44, s13
	v_lshrrev_b32_e32 v44, 23, v45
	s_mov_b32 s13, exec_lo
	v_add_nc_u32_e32 v12, v12, v45
	v_xor_b32_e32 v44, 1, v44
	v_and_b32_e32 v10, 0x1fffff, v12
	v_add_nc_u32_e32 v12, v10, v45
                                        ; implicit-def: $vgpr10
	v_cmpx_ne_u32_e64 v43, v44
	s_xor_b32 s13, exec_lo, s13
; %bb.1302:                             ;   in Loop: Header=BB2_839 Depth=2
	v_cmp_lt_u32_e32 vcc_lo, 0xffffff, v12
	v_sub_nc_u32_e32 v10, v43, v44
	v_cndmask_b32_e64 v43, 0, 1, vcc_lo
	v_add_co_ci_u32_e64 v10, null, 0, v10, vcc_lo
	v_lshrrev_b32_e32 v12, v43, v12
; %bb.1303:                             ;   in Loop: Header=BB2_839 Depth=2
	s_andn2_saveexec_b32 s13, s13
; %bb.1304:                             ;   in Loop: Header=BB2_839 Depth=2
	v_bfe_u32 v10, v12, 23, 1
; %bb.1305:                             ;   in Loop: Header=BB2_839 Depth=2
	s_or_b32 exec_lo, exec_lo, s13
	v_lshrrev_b32_e32 v12, 21, v12
	v_min_i32_e32 v43, 31, v10
	v_cmp_gt_i32_e32 vcc_lo, 32, v10
	v_and_b32_sdwa v11, v11, v97 dst_sel:DWORD dst_unused:UNUSED_PAD src0_sel:BYTE_3 src1_sel:DWORD
	v_lshlrev_b32_e32 v43, 2, v43
	v_cndmask_b32_e32 v12, 3, v12, vcc_lo
	v_and_b32_e32 v43, 0xfc, v43
	v_and_b32_e32 v44, 3, v12
	v_or_b32_e32 v10, v10, v12
	v_or3_b32 v11, v43, v11, v44
	v_cmp_ne_u32_e32 vcc_lo, 0, v10
	v_cndmask_b32_e32 v43, 0, v11, vcc_lo
.LBB2_1306:                             ;   in Loop: Header=BB2_839 Depth=2
	s_or_b32 exec_lo, exec_lo, s41
.LBB2_1307:                             ;   in Loop: Header=BB2_839 Depth=2
	s_or_b32 exec_lo, exec_lo, s40
	v_and_b32_sdwa v10, v98, v13 dst_sel:DWORD dst_unused:UNUSED_PAD src0_sel:DWORD src1_sel:BYTE_1
	v_cmp_gt_i16_sdwa s40, v17, v96 src0_sel:BYTE_1 src1_sel:DWORD
	s_mov_b32 s13, -1
	v_and_b32_e32 v11, 3, v10
	v_bfe_u32 v45, v10, 2, 5
	v_ffbh_u32_e32 v12, v11
	v_cmp_eq_u32_e32 vcc_lo, 0, v45
	v_min_u32_e32 v12, 32, v12
	v_subrev_nc_u32_e32 v44, 29, v12
	v_sub_nc_u32_e32 v12, 30, v12
	v_lshlrev_b32_e32 v10, v44, v10
	v_lshlrev_b32_sdwa v44, v99, v13 dst_sel:DWORD dst_unused:UNUSED_PAD src0_sel:DWORD src1_sel:BYTE_1
	v_cndmask_b32_e32 v12, v45, v12, vcc_lo
	v_and_b32_e32 v10, 3, v10
	v_lshl_add_u32 v12, v12, 23, 0x37800000
	v_cndmask_b32_e32 v10, v11, v10, vcc_lo
	v_and_b32_e32 v11, 0x80000000, v44
	s_and_b32 vcc_lo, exec_lo, s29
	v_lshlrev_b32_e32 v10, 21, v10
	v_or3_b32 v10, v11, v12, v10
                                        ; implicit-def: $vgpr11
	s_cbranch_vccz .LBB2_1321
; %bb.1308:                             ;   in Loop: Header=BB2_839 Depth=2
	s_mov_b32 s13, 0
	s_and_saveexec_b32 s41, s40
	s_xor_b32 s40, exec_lo, s41
	s_cbranch_execz .LBB2_1517
; %bb.1309:                             ;   in Loop: Header=BB2_839 Depth=2
	v_cmp_eq_u16_sdwa s42, v17, v97 src0_sel:BYTE_1 src1_sel:DWORD
	s_mov_b32 s13, -1
	s_and_saveexec_b32 s41, s42
; %bb.1310:                             ;   in Loop: Header=BB2_839 Depth=2
	s_xor_b32 s13, exec_lo, -1
; %bb.1311:                             ;   in Loop: Header=BB2_839 Depth=2
	s_or_b32 exec_lo, exec_lo, s41
	s_and_b32 s13, s13, exec_lo
	s_or_saveexec_b32 s40, s40
	v_mov_b32_e32 v11, 0x7f800001
	s_xor_b32 exec_lo, exec_lo, s40
	s_cbranch_execnz .LBB2_1518
.LBB2_1312:                             ;   in Loop: Header=BB2_839 Depth=2
	s_or_b32 exec_lo, exec_lo, s40
	s_and_saveexec_b32 s40, s13
	s_cbranch_execz .LBB2_1314
.LBB2_1313:                             ;   in Loop: Header=BB2_839 Depth=2
	v_and_b32_sdwa v11, v98, v17 dst_sel:DWORD dst_unused:UNUSED_PAD src0_sel:DWORD src1_sel:BYTE_1
	v_and_b32_e32 v12, 3, v11
	v_bfe_u32 v46, v11, 2, 5
	v_ffbh_u32_e32 v44, v12
	v_cmp_eq_u32_e32 vcc_lo, 0, v46
	v_min_u32_e32 v44, 32, v44
	v_subrev_nc_u32_e32 v45, 29, v44
	v_sub_nc_u32_e32 v44, 30, v44
	v_lshlrev_b32_e32 v11, v45, v11
	v_lshlrev_b32_e32 v45, 16, v17
	v_cndmask_b32_e32 v44, v46, v44, vcc_lo
	v_and_b32_e32 v11, 3, v11
	v_lshl_add_u32 v44, v44, 23, 0x37800000
	v_cndmask_b32_e32 v11, v12, v11, vcc_lo
	v_and_b32_e32 v12, 0x80000000, v45
	v_lshlrev_b32_e32 v11, 21, v11
	v_or3_b32 v11, v12, v44, v11
.LBB2_1314:                             ;   in Loop: Header=BB2_839 Depth=2
	s_or_b32 exec_lo, exec_lo, s40
	v_cmp_gt_i16_sdwa s40, v13, v96 src0_sel:BYTE_1 src1_sel:DWORD
	s_mov_b32 s13, 0
	s_and_saveexec_b32 s41, s40
	s_xor_b32 s40, exec_lo, s41
	s_cbranch_execz .LBB2_1519
; %bb.1315:                             ;   in Loop: Header=BB2_839 Depth=2
	v_cmp_eq_u16_sdwa s42, v13, v97 src0_sel:BYTE_1 src1_sel:DWORD
	s_mov_b32 s13, -1
	s_and_saveexec_b32 s41, s42
; %bb.1316:                             ;   in Loop: Header=BB2_839 Depth=2
	s_xor_b32 s13, exec_lo, -1
; %bb.1317:                             ;   in Loop: Header=BB2_839 Depth=2
	s_or_b32 exec_lo, exec_lo, s41
	s_and_b32 s13, s13, exec_lo
	s_or_saveexec_b32 s40, s40
	v_mov_b32_e32 v12, 0x7f800001
	s_xor_b32 exec_lo, exec_lo, s40
	s_cbranch_execnz .LBB2_1520
.LBB2_1318:                             ;   in Loop: Header=BB2_839 Depth=2
	s_or_b32 exec_lo, exec_lo, s40
	s_and_saveexec_b32 s40, s13
.LBB2_1319:                             ;   in Loop: Header=BB2_839 Depth=2
	v_mov_b32_e32 v12, v10
.LBB2_1320:                             ;   in Loop: Header=BB2_839 Depth=2
	s_or_b32 exec_lo, exec_lo, s40
	v_max_f32_e32 v12, v12, v12
	v_max_f32_e32 v11, v11, v11
	s_mov_b32 s13, 0
	v_max_f32_e32 v11, v11, v12
.LBB2_1321:                             ;   in Loop: Header=BB2_839 Depth=2
	s_and_b32 vcc_lo, exec_lo, s13
	s_cbranch_vccz .LBB2_1335
; %bb.1322:                             ;   in Loop: Header=BB2_839 Depth=2
	v_cmp_gt_i16_sdwa s40, v17, v96 src0_sel:BYTE_1 src1_sel:DWORD
	s_mov_b32 s13, 0
	s_and_saveexec_b32 s41, s40
	s_xor_b32 s40, exec_lo, s41
	s_cbranch_execz .LBB2_1521
; %bb.1323:                             ;   in Loop: Header=BB2_839 Depth=2
	v_cmp_eq_u16_sdwa s42, v17, v97 src0_sel:BYTE_1 src1_sel:DWORD
	s_mov_b32 s13, -1
	s_and_saveexec_b32 s41, s42
; %bb.1324:                             ;   in Loop: Header=BB2_839 Depth=2
	s_xor_b32 s13, exec_lo, -1
; %bb.1325:                             ;   in Loop: Header=BB2_839 Depth=2
	s_or_b32 exec_lo, exec_lo, s41
	s_and_b32 s13, s13, exec_lo
	s_or_saveexec_b32 s40, s40
	v_mov_b32_e32 v11, 0x7f800001
	s_xor_b32 exec_lo, exec_lo, s40
	s_cbranch_execnz .LBB2_1522
.LBB2_1326:                             ;   in Loop: Header=BB2_839 Depth=2
	s_or_b32 exec_lo, exec_lo, s40
	s_and_saveexec_b32 s40, s13
	s_cbranch_execz .LBB2_1328
.LBB2_1327:                             ;   in Loop: Header=BB2_839 Depth=2
	v_and_b32_sdwa v11, v98, v17 dst_sel:DWORD dst_unused:UNUSED_PAD src0_sel:DWORD src1_sel:BYTE_1
	v_and_b32_e32 v12, 3, v11
	v_bfe_u32 v46, v11, 2, 5
	v_ffbh_u32_e32 v44, v12
	v_cmp_eq_u32_e32 vcc_lo, 0, v46
	v_min_u32_e32 v44, 32, v44
	v_subrev_nc_u32_e32 v45, 29, v44
	v_sub_nc_u32_e32 v44, 30, v44
	v_lshlrev_b32_e32 v11, v45, v11
	v_lshlrev_b32_e32 v45, 16, v17
	v_cndmask_b32_e32 v44, v46, v44, vcc_lo
	v_and_b32_e32 v11, 3, v11
	v_lshl_add_u32 v44, v44, 23, 0x37800000
	v_cndmask_b32_e32 v11, v12, v11, vcc_lo
	v_and_b32_e32 v12, 0x80000000, v45
	v_lshlrev_b32_e32 v11, 21, v11
	v_or3_b32 v11, v12, v44, v11
.LBB2_1328:                             ;   in Loop: Header=BB2_839 Depth=2
	s_or_b32 exec_lo, exec_lo, s40
	v_cmp_gt_i16_sdwa s40, v13, v96 src0_sel:BYTE_1 src1_sel:DWORD
	s_mov_b32 s13, 0
	s_and_saveexec_b32 s41, s40
	s_xor_b32 s40, exec_lo, s41
	s_cbranch_execz .LBB2_1523
; %bb.1329:                             ;   in Loop: Header=BB2_839 Depth=2
	v_cmp_eq_u16_sdwa s42, v13, v97 src0_sel:BYTE_1 src1_sel:DWORD
	s_mov_b32 s13, -1
	s_and_saveexec_b32 s41, s42
; %bb.1330:                             ;   in Loop: Header=BB2_839 Depth=2
	s_xor_b32 s13, exec_lo, -1
; %bb.1331:                             ;   in Loop: Header=BB2_839 Depth=2
	s_or_b32 exec_lo, exec_lo, s41
	s_and_b32 s13, s13, exec_lo
	s_or_saveexec_b32 s40, s40
	v_mov_b32_e32 v12, 0x7f800001
	s_xor_b32 exec_lo, exec_lo, s40
	s_cbranch_execnz .LBB2_1524
.LBB2_1332:                             ;   in Loop: Header=BB2_839 Depth=2
	s_or_b32 exec_lo, exec_lo, s40
	s_and_saveexec_b32 s40, s13
.LBB2_1333:                             ;   in Loop: Header=BB2_839 Depth=2
	v_mov_b32_e32 v12, v10
.LBB2_1334:                             ;   in Loop: Header=BB2_839 Depth=2
	s_or_b32 exec_lo, exec_lo, s40
	v_max_f32_e32 v10, v12, v12
	v_max_f32_e32 v11, v11, v11
	v_min_f32_e32 v11, v11, v10
.LBB2_1335:                             ;   in Loop: Header=BB2_839 Depth=2
	v_and_b32_e32 v10, 0x7f800000, v11
	v_mov_b32_e32 v44, 0x8000
	s_mov_b32 s40, exec_lo
	v_cmpx_ne_u32_e32 0x7f800000, v10
	s_cbranch_execz .LBB2_1343
; %bb.1336:                             ;   in Loop: Header=BB2_839 Depth=2
	v_mov_b32_e32 v44, 0
	s_mov_b32 s41, exec_lo
	v_cmpx_ne_u32_e32 0, v11
	s_cbranch_execz .LBB2_1342
; %bb.1337:                             ;   in Loop: Header=BB2_839 Depth=2
	v_bfe_u32 v10, v11, 23, 8
	v_and_b32_e32 v12, 0x7fffff, v11
	v_sub_nc_u32_e32 v44, 0x70, v10
	v_cmp_gt_u32_e32 vcc_lo, 0x71, v10
	v_or_b32_e32 v45, 0x800000, v12
	v_cndmask_b32_e32 v44, 0, v44, vcc_lo
	v_cmp_eq_u32_e32 vcc_lo, 0, v10
	v_add_nc_u32_e32 v10, 0xffffff91, v10
	v_cndmask_b32_e64 v44, v44, 0x6f, vcc_lo
	v_cndmask_b32_e32 v12, v45, v12, vcc_lo
	v_cndmask_b32_e64 v10, v10, 0xffffff92, vcc_lo
	v_lshl_add_u32 v45, 0x200000, v44, -1
	v_lshrrev_b32_e32 v46, v44, v12
	v_lshlrev_b32_e64 v56, v44, 0x100000
	v_add_nc_u32_e32 v44, v44, v10
	v_and_b32_e32 v12, v45, v12
	v_bfe_u32 v47, v46, 21, 1
	v_cmp_eq_u32_e64 s13, v12, v56
	v_add_nc_u32_e32 v45, -1, v47
	v_cndmask_b32_e64 v12, 0, v45, s13
	v_lshrrev_b32_e32 v45, 23, v46
	s_mov_b32 s13, exec_lo
	v_add_nc_u32_e32 v12, v12, v46
	v_xor_b32_e32 v45, 1, v45
	v_and_b32_e32 v10, 0x1fffff, v12
	v_add_nc_u32_e32 v12, v10, v46
                                        ; implicit-def: $vgpr10
	v_cmpx_ne_u32_e64 v44, v45
	s_xor_b32 s13, exec_lo, s13
; %bb.1338:                             ;   in Loop: Header=BB2_839 Depth=2
	v_cmp_lt_u32_e32 vcc_lo, 0xffffff, v12
	v_sub_nc_u32_e32 v10, v44, v45
	v_cndmask_b32_e64 v44, 0, 1, vcc_lo
	v_add_co_ci_u32_e64 v10, null, 0, v10, vcc_lo
	v_lshrrev_b32_e32 v12, v44, v12
; %bb.1339:                             ;   in Loop: Header=BB2_839 Depth=2
	s_andn2_saveexec_b32 s13, s13
; %bb.1340:                             ;   in Loop: Header=BB2_839 Depth=2
	v_bfe_u32 v10, v12, 23, 1
; %bb.1341:                             ;   in Loop: Header=BB2_839 Depth=2
	s_or_b32 exec_lo, exec_lo, s13
	v_lshrrev_b32_e32 v12, 21, v12
	v_min_i32_e32 v44, 31, v10
	v_cmp_gt_i32_e32 vcc_lo, 32, v10
	v_and_b32_sdwa v11, v11, v97 dst_sel:DWORD dst_unused:UNUSED_PAD src0_sel:BYTE_3 src1_sel:DWORD
	v_lshlrev_b32_e32 v44, 2, v44
	v_cndmask_b32_e32 v12, 3, v12, vcc_lo
	v_and_b32_e32 v44, 0xfc, v44
	v_and_b32_e32 v45, 3, v12
	v_or_b32_e32 v10, v10, v12
	v_or3_b32 v11, v11, v44, v45
	v_cmp_ne_u32_e32 vcc_lo, 0, v10
	v_lshlrev_b32_e32 v11, 8, v11
	v_cndmask_b32_e32 v44, 0, v11, vcc_lo
.LBB2_1342:                             ;   in Loop: Header=BB2_839 Depth=2
	s_or_b32 exec_lo, exec_lo, s41
.LBB2_1343:                             ;   in Loop: Header=BB2_839 Depth=2
	s_or_b32 exec_lo, exec_lo, s40
	v_bfe_u32 v10, v13, 16, 2
	v_bfe_u32 v45, v13, 18, 5
	v_lshlrev_b32_e32 v46, 8, v13
	s_mov_b32 s40, -1
	v_ffbh_u32_e32 v11, v10
	v_cmp_eq_u32_e32 vcc_lo, 0, v45
	v_min_u32_e32 v11, 32, v11
	v_subrev_nc_u32_e32 v12, 29, v11
	v_sub_nc_u32_e32 v11, 30, v11
	v_lshlrev_b32_sdwa v12, v12, v13 dst_sel:DWORD dst_unused:UNUSED_PAD src0_sel:DWORD src1_sel:WORD_1
	v_cndmask_b32_e32 v11, v45, v11, vcc_lo
	v_and_b32_e32 v12, 3, v12
	v_lshl_add_u32 v45, v11, 23, 0x37800000
	v_and_b32_sdwa v11, v17, v100 dst_sel:DWORD dst_unused:UNUSED_PAD src0_sel:WORD_1 src1_sel:DWORD
	v_cndmask_b32_e32 v10, v10, v12, vcc_lo
	v_and_b32_e32 v12, 0x80000000, v46
	v_cmp_lt_i16_e64 s13, 0x7f, v11
	s_and_b32 vcc_lo, exec_lo, s29
	v_lshlrev_b32_e32 v10, 21, v10
	v_or3_b32 v10, v12, v45, v10
                                        ; implicit-def: $vgpr12
	s_cbranch_vccz .LBB2_1357
; %bb.1344:                             ;   in Loop: Header=BB2_839 Depth=2
	s_mov_b32 s40, 0
	s_and_saveexec_b32 s41, s13
	s_xor_b32 s13, exec_lo, s41
	s_cbranch_execz .LBB2_1525
; %bb.1345:                             ;   in Loop: Header=BB2_839 Depth=2
	s_mov_b32 s40, -1
	s_mov_b32 s41, exec_lo
	v_cmpx_eq_u16_e32 0x80, v11
; %bb.1346:                             ;   in Loop: Header=BB2_839 Depth=2
	s_xor_b32 s40, exec_lo, -1
; %bb.1347:                             ;   in Loop: Header=BB2_839 Depth=2
	s_or_b32 exec_lo, exec_lo, s41
	s_and_b32 s40, s40, exec_lo
	s_or_saveexec_b32 s13, s13
	v_mov_b32_e32 v12, 0x7f800001
	s_xor_b32 exec_lo, exec_lo, s13
	s_cbranch_execnz .LBB2_1526
.LBB2_1348:                             ;   in Loop: Header=BB2_839 Depth=2
	s_or_b32 exec_lo, exec_lo, s13
	s_and_saveexec_b32 s13, s40
	s_cbranch_execz .LBB2_1350
.LBB2_1349:                             ;   in Loop: Header=BB2_839 Depth=2
	v_bfe_u32 v12, v17, 16, 2
	v_bfe_u32 v47, v17, 18, 5
	v_lshlrev_b32_sdwa v56, v99, v17 dst_sel:DWORD dst_unused:UNUSED_PAD src0_sel:DWORD src1_sel:WORD_1
	v_ffbh_u32_e32 v45, v12
	v_cmp_eq_u32_e32 vcc_lo, 0, v47
	v_min_u32_e32 v45, 32, v45
	v_subrev_nc_u32_e32 v46, 29, v45
	v_sub_nc_u32_e32 v45, 30, v45
	v_lshlrev_b32_sdwa v46, v46, v17 dst_sel:DWORD dst_unused:UNUSED_PAD src0_sel:DWORD src1_sel:WORD_1
	v_cndmask_b32_e32 v45, v47, v45, vcc_lo
	v_and_b32_e32 v46, 3, v46
	v_lshl_add_u32 v45, v45, 23, 0x37800000
	v_cndmask_b32_e32 v12, v12, v46, vcc_lo
	v_and_b32_e32 v46, 0x80000000, v56
	v_lshlrev_b32_e32 v12, 21, v12
	v_or3_b32 v12, v46, v45, v12
.LBB2_1350:                             ;   in Loop: Header=BB2_839 Depth=2
	s_or_b32 exec_lo, exec_lo, s13
	v_and_b32_sdwa v46, v13, v100 dst_sel:DWORD dst_unused:UNUSED_PAD src0_sel:WORD_1 src1_sel:DWORD
	s_mov_b32 s13, 0
	s_mov_b32 s40, exec_lo
	v_cmpx_lt_i16_e32 0x7f, v46
	s_xor_b32 s40, exec_lo, s40
	s_cbranch_execz .LBB2_1527
; %bb.1351:                             ;   in Loop: Header=BB2_839 Depth=2
	s_mov_b32 s13, -1
	s_mov_b32 s41, exec_lo
	v_cmpx_eq_u16_e32 0x80, v46
; %bb.1352:                             ;   in Loop: Header=BB2_839 Depth=2
	s_xor_b32 s13, exec_lo, -1
; %bb.1353:                             ;   in Loop: Header=BB2_839 Depth=2
	s_or_b32 exec_lo, exec_lo, s41
	s_and_b32 s13, s13, exec_lo
                                        ; implicit-def: $vgpr46
	s_or_saveexec_b32 s40, s40
	v_mov_b32_e32 v45, 0x7f800001
	s_xor_b32 exec_lo, exec_lo, s40
	s_cbranch_execnz .LBB2_1528
.LBB2_1354:                             ;   in Loop: Header=BB2_839 Depth=2
	s_or_b32 exec_lo, exec_lo, s40
	s_and_saveexec_b32 s40, s13
.LBB2_1355:                             ;   in Loop: Header=BB2_839 Depth=2
	v_mov_b32_e32 v45, v10
.LBB2_1356:                             ;   in Loop: Header=BB2_839 Depth=2
	s_or_b32 exec_lo, exec_lo, s40
	v_max_f32_e32 v45, v45, v45
	v_max_f32_e32 v12, v12, v12
	s_mov_b32 s40, 0
	v_max_f32_e32 v12, v12, v45
.LBB2_1357:                             ;   in Loop: Header=BB2_839 Depth=2
	s_and_b32 vcc_lo, exec_lo, s40
	s_cbranch_vccz .LBB2_1371
; %bb.1358:                             ;   in Loop: Header=BB2_839 Depth=2
	s_mov_b32 s13, 0
	s_mov_b32 s40, exec_lo
	v_cmpx_lt_i16_e32 0x7f, v11
	s_xor_b32 s40, exec_lo, s40
	s_cbranch_execz .LBB2_1529
; %bb.1359:                             ;   in Loop: Header=BB2_839 Depth=2
	s_mov_b32 s13, -1
	s_mov_b32 s41, exec_lo
	v_cmpx_eq_u16_e32 0x80, v11
; %bb.1360:                             ;   in Loop: Header=BB2_839 Depth=2
	s_xor_b32 s13, exec_lo, -1
; %bb.1361:                             ;   in Loop: Header=BB2_839 Depth=2
	s_or_b32 exec_lo, exec_lo, s41
	s_and_b32 s13, s13, exec_lo
                                        ; implicit-def: $vgpr11
	s_or_saveexec_b32 s40, s40
	v_mov_b32_e32 v12, 0x7f800001
	s_xor_b32 exec_lo, exec_lo, s40
	s_cbranch_execnz .LBB2_1530
.LBB2_1362:                             ;   in Loop: Header=BB2_839 Depth=2
	s_or_b32 exec_lo, exec_lo, s40
	s_and_saveexec_b32 s40, s13
	s_cbranch_execz .LBB2_1364
.LBB2_1363:                             ;   in Loop: Header=BB2_839 Depth=2
	v_bfe_u32 v11, v17, 16, 2
	v_bfe_u32 v46, v17, 18, 5
	v_lshlrev_b32_sdwa v47, v99, v17 dst_sel:DWORD dst_unused:UNUSED_PAD src0_sel:DWORD src1_sel:WORD_1
	v_ffbh_u32_e32 v12, v11
	v_cmp_eq_u32_e32 vcc_lo, 0, v46
	v_min_u32_e32 v12, 32, v12
	v_subrev_nc_u32_e32 v45, 29, v12
	v_sub_nc_u32_e32 v12, 30, v12
	v_lshlrev_b32_sdwa v45, v45, v17 dst_sel:DWORD dst_unused:UNUSED_PAD src0_sel:DWORD src1_sel:WORD_1
	v_cndmask_b32_e32 v12, v46, v12, vcc_lo
	v_and_b32_e32 v45, 3, v45
	v_lshl_add_u32 v12, v12, 23, 0x37800000
	v_cndmask_b32_e32 v11, v11, v45, vcc_lo
	v_and_b32_e32 v45, 0x80000000, v47
	v_lshlrev_b32_e32 v11, 21, v11
	v_or3_b32 v12, v45, v12, v11
.LBB2_1364:                             ;   in Loop: Header=BB2_839 Depth=2
	s_or_b32 exec_lo, exec_lo, s40
	v_and_b32_sdwa v45, v13, v100 dst_sel:DWORD dst_unused:UNUSED_PAD src0_sel:WORD_1 src1_sel:DWORD
	s_mov_b32 s13, 0
	s_mov_b32 s40, exec_lo
	v_cmpx_lt_i16_e32 0x7f, v45
	s_xor_b32 s40, exec_lo, s40
	s_cbranch_execz .LBB2_1531
; %bb.1365:                             ;   in Loop: Header=BB2_839 Depth=2
	s_mov_b32 s13, -1
	s_mov_b32 s41, exec_lo
	v_cmpx_eq_u16_e32 0x80, v45
; %bb.1366:                             ;   in Loop: Header=BB2_839 Depth=2
	s_xor_b32 s13, exec_lo, -1
; %bb.1367:                             ;   in Loop: Header=BB2_839 Depth=2
	s_or_b32 exec_lo, exec_lo, s41
	s_and_b32 s13, s13, exec_lo
                                        ; implicit-def: $vgpr45
	s_or_saveexec_b32 s40, s40
	v_mov_b32_e32 v11, 0x7f800001
	s_xor_b32 exec_lo, exec_lo, s40
	s_cbranch_execnz .LBB2_1532
.LBB2_1368:                             ;   in Loop: Header=BB2_839 Depth=2
	s_or_b32 exec_lo, exec_lo, s40
	s_and_saveexec_b32 s40, s13
.LBB2_1369:                             ;   in Loop: Header=BB2_839 Depth=2
	v_mov_b32_e32 v11, v10
.LBB2_1370:                             ;   in Loop: Header=BB2_839 Depth=2
	s_or_b32 exec_lo, exec_lo, s40
	v_max_f32_e32 v10, v11, v11
	v_max_f32_e32 v11, v12, v12
	v_min_f32_e32 v12, v11, v10
.LBB2_1371:                             ;   in Loop: Header=BB2_839 Depth=2
	v_and_b32_e32 v10, 0x7f800000, v12
	v_mov_b32_e32 v45, 0x80
	s_mov_b32 s40, exec_lo
	v_cmpx_ne_u32_e32 0x7f800000, v10
	s_cbranch_execz .LBB2_1379
; %bb.1372:                             ;   in Loop: Header=BB2_839 Depth=2
	v_mov_b32_e32 v45, 0
	s_mov_b32 s41, exec_lo
	v_cmpx_ne_u32_e32 0, v12
	s_cbranch_execz .LBB2_1378
; %bb.1373:                             ;   in Loop: Header=BB2_839 Depth=2
	v_bfe_u32 v10, v12, 23, 8
	v_and_b32_e32 v11, 0x7fffff, v12
	v_sub_nc_u32_e32 v45, 0x70, v10
	v_cmp_gt_u32_e32 vcc_lo, 0x71, v10
	v_or_b32_e32 v46, 0x800000, v11
	v_cndmask_b32_e32 v45, 0, v45, vcc_lo
	v_cmp_eq_u32_e32 vcc_lo, 0, v10
	v_add_nc_u32_e32 v10, 0xffffff91, v10
	v_cndmask_b32_e64 v45, v45, 0x6f, vcc_lo
	v_cndmask_b32_e32 v11, v46, v11, vcc_lo
	v_cndmask_b32_e64 v10, v10, 0xffffff92, vcc_lo
	v_lshl_add_u32 v46, 0x200000, v45, -1
	v_lshrrev_b32_e32 v47, v45, v11
	v_lshlrev_b32_e64 v57, v45, 0x100000
	v_add_nc_u32_e32 v45, v45, v10
	v_and_b32_e32 v11, v46, v11
	v_bfe_u32 v56, v47, 21, 1
	v_cmp_eq_u32_e64 s13, v11, v57
	v_add_nc_u32_e32 v46, -1, v56
	v_cndmask_b32_e64 v11, 0, v46, s13
	v_lshrrev_b32_e32 v46, 23, v47
	s_mov_b32 s13, exec_lo
	v_add_nc_u32_e32 v11, v11, v47
	v_xor_b32_e32 v46, 1, v46
	v_and_b32_e32 v10, 0x1fffff, v11
	v_add_nc_u32_e32 v11, v10, v47
                                        ; implicit-def: $vgpr10
	v_cmpx_ne_u32_e64 v45, v46
	s_xor_b32 s13, exec_lo, s13
; %bb.1374:                             ;   in Loop: Header=BB2_839 Depth=2
	v_cmp_lt_u32_e32 vcc_lo, 0xffffff, v11
	v_sub_nc_u32_e32 v10, v45, v46
	v_cndmask_b32_e64 v45, 0, 1, vcc_lo
	v_add_co_ci_u32_e64 v10, null, 0, v10, vcc_lo
	v_lshrrev_b32_e32 v11, v45, v11
; %bb.1375:                             ;   in Loop: Header=BB2_839 Depth=2
	s_andn2_saveexec_b32 s13, s13
; %bb.1376:                             ;   in Loop: Header=BB2_839 Depth=2
	v_bfe_u32 v10, v11, 23, 1
; %bb.1377:                             ;   in Loop: Header=BB2_839 Depth=2
	s_or_b32 exec_lo, exec_lo, s13
	v_lshrrev_b32_e32 v11, 21, v11
	v_min_i32_e32 v45, 31, v10
	v_cmp_gt_i32_e32 vcc_lo, 32, v10
	v_and_b32_sdwa v12, v12, v97 dst_sel:DWORD dst_unused:UNUSED_PAD src0_sel:BYTE_3 src1_sel:DWORD
	v_lshlrev_b32_e32 v45, 2, v45
	v_cndmask_b32_e32 v11, 3, v11, vcc_lo
	v_and_b32_e32 v45, 0xfc, v45
	v_and_b32_e32 v46, 3, v11
	v_or_b32_e32 v10, v10, v11
	v_or3_b32 v11, v45, v12, v46
	v_cmp_ne_u32_e32 vcc_lo, 0, v10
	v_cndmask_b32_e32 v45, 0, v11, vcc_lo
.LBB2_1378:                             ;   in Loop: Header=BB2_839 Depth=2
	s_or_b32 exec_lo, exec_lo, s41
.LBB2_1379:                             ;   in Loop: Header=BB2_839 Depth=2
	s_or_b32 exec_lo, exec_lo, s40
	v_bfe_u32 v10, v13, 24, 2
	v_bfe_u32 v46, v13, 26, 5
	v_cmp_gt_i16_sdwa s40, v17, v96 src0_sel:BYTE_3 src1_sel:DWORD
	s_mov_b32 s13, -1
	v_ffbh_u32_e32 v11, v10
	v_cmp_eq_u32_e32 vcc_lo, 0, v46
	v_min_u32_e32 v11, 32, v11
	v_subrev_nc_u32_e32 v12, 29, v11
	v_sub_nc_u32_e32 v11, 30, v11
	v_lshlrev_b32_sdwa v12, v12, v13 dst_sel:DWORD dst_unused:UNUSED_PAD src0_sel:DWORD src1_sel:BYTE_3
	v_cndmask_b32_e32 v11, v46, v11, vcc_lo
	v_and_b32_e32 v12, 3, v12
	v_lshl_add_u32 v11, v11, 23, 0x37800000
	v_cndmask_b32_e32 v10, v10, v12, vcc_lo
	v_and_b32_e32 v12, 0x80000000, v13
	s_and_b32 vcc_lo, exec_lo, s29
	v_lshlrev_b32_e32 v10, 21, v10
	v_or3_b32 v46, v12, v11, v10
                                        ; implicit-def: $vgpr10
	s_cbranch_vccz .LBB2_1393
; %bb.1380:                             ;   in Loop: Header=BB2_839 Depth=2
	s_mov_b32 s13, 0
	s_and_saveexec_b32 s41, s40
	s_xor_b32 s40, exec_lo, s41
	s_cbranch_execz .LBB2_1533
; %bb.1381:                             ;   in Loop: Header=BB2_839 Depth=2
	v_cmp_eq_u16_sdwa s42, v17, v97 src0_sel:BYTE_3 src1_sel:DWORD
	s_mov_b32 s13, -1
	s_and_saveexec_b32 s41, s42
; %bb.1382:                             ;   in Loop: Header=BB2_839 Depth=2
	s_xor_b32 s13, exec_lo, -1
; %bb.1383:                             ;   in Loop: Header=BB2_839 Depth=2
	s_or_b32 exec_lo, exec_lo, s41
	s_and_b32 s13, s13, exec_lo
	s_or_saveexec_b32 s40, s40
	v_mov_b32_e32 v10, 0x7f800001
	s_xor_b32 exec_lo, exec_lo, s40
	s_cbranch_execnz .LBB2_1534
.LBB2_1384:                             ;   in Loop: Header=BB2_839 Depth=2
	s_or_b32 exec_lo, exec_lo, s40
	s_and_saveexec_b32 s40, s13
	s_cbranch_execz .LBB2_1386
.LBB2_1385:                             ;   in Loop: Header=BB2_839 Depth=2
	v_bfe_u32 v10, v17, 24, 2
	v_bfe_u32 v47, v17, 26, 5
	v_ffbh_u32_e32 v11, v10
	v_cmp_eq_u32_e32 vcc_lo, 0, v47
	v_min_u32_e32 v11, 32, v11
	v_subrev_nc_u32_e32 v12, 29, v11
	v_sub_nc_u32_e32 v11, 30, v11
	v_lshlrev_b32_sdwa v12, v12, v17 dst_sel:DWORD dst_unused:UNUSED_PAD src0_sel:DWORD src1_sel:BYTE_3
	v_cndmask_b32_e32 v11, v47, v11, vcc_lo
	v_and_b32_e32 v12, 3, v12
	v_lshl_add_u32 v11, v11, 23, 0x37800000
	v_cndmask_b32_e32 v10, v10, v12, vcc_lo
	v_and_b32_e32 v12, 0x80000000, v17
	v_lshlrev_b32_e32 v10, 21, v10
	v_or3_b32 v10, v12, v11, v10
.LBB2_1386:                             ;   in Loop: Header=BB2_839 Depth=2
	s_or_b32 exec_lo, exec_lo, s40
	v_cmp_gt_i16_sdwa s40, v13, v96 src0_sel:BYTE_3 src1_sel:DWORD
	s_mov_b32 s13, 0
	s_and_saveexec_b32 s41, s40
	s_xor_b32 s40, exec_lo, s41
	s_cbranch_execz .LBB2_1535
; %bb.1387:                             ;   in Loop: Header=BB2_839 Depth=2
	v_cmp_eq_u16_sdwa s42, v13, v97 src0_sel:BYTE_3 src1_sel:DWORD
	s_mov_b32 s13, -1
	s_and_saveexec_b32 s41, s42
; %bb.1388:                             ;   in Loop: Header=BB2_839 Depth=2
	s_xor_b32 s13, exec_lo, -1
; %bb.1389:                             ;   in Loop: Header=BB2_839 Depth=2
	s_or_b32 exec_lo, exec_lo, s41
	s_and_b32 s13, s13, exec_lo
	s_or_saveexec_b32 s40, s40
	v_mov_b32_e32 v11, 0x7f800001
	s_xor_b32 exec_lo, exec_lo, s40
	s_cbranch_execnz .LBB2_1536
.LBB2_1390:                             ;   in Loop: Header=BB2_839 Depth=2
	s_or_b32 exec_lo, exec_lo, s40
	s_and_saveexec_b32 s40, s13
.LBB2_1391:                             ;   in Loop: Header=BB2_839 Depth=2
	v_mov_b32_e32 v11, v46
.LBB2_1392:                             ;   in Loop: Header=BB2_839 Depth=2
	s_or_b32 exec_lo, exec_lo, s40
	v_max_f32_e32 v11, v11, v11
	v_max_f32_e32 v10, v10, v10
	s_mov_b32 s13, 0
	v_max_f32_e32 v10, v10, v11
.LBB2_1393:                             ;   in Loop: Header=BB2_839 Depth=2
	s_and_b32 vcc_lo, exec_lo, s13
	s_cbranch_vccz .LBB2_1407
; %bb.1394:                             ;   in Loop: Header=BB2_839 Depth=2
	v_cmp_gt_i16_sdwa s40, v17, v96 src0_sel:BYTE_3 src1_sel:DWORD
	s_mov_b32 s13, 0
	s_and_saveexec_b32 s41, s40
	s_xor_b32 s40, exec_lo, s41
	s_cbranch_execz .LBB2_1537
; %bb.1395:                             ;   in Loop: Header=BB2_839 Depth=2
	v_cmp_eq_u16_sdwa s42, v17, v97 src0_sel:BYTE_3 src1_sel:DWORD
	s_mov_b32 s13, -1
	s_and_saveexec_b32 s41, s42
; %bb.1396:                             ;   in Loop: Header=BB2_839 Depth=2
	s_xor_b32 s13, exec_lo, -1
; %bb.1397:                             ;   in Loop: Header=BB2_839 Depth=2
	s_or_b32 exec_lo, exec_lo, s41
	s_and_b32 s13, s13, exec_lo
	s_or_saveexec_b32 s40, s40
	v_mov_b32_e32 v47, 0x7f800001
	s_xor_b32 exec_lo, exec_lo, s40
	s_cbranch_execnz .LBB2_1538
.LBB2_1398:                             ;   in Loop: Header=BB2_839 Depth=2
	s_or_b32 exec_lo, exec_lo, s40
	s_and_saveexec_b32 s40, s13
	s_cbranch_execz .LBB2_1400
.LBB2_1399:                             ;   in Loop: Header=BB2_839 Depth=2
	v_bfe_u32 v10, v17, 24, 2
	v_bfe_u32 v47, v17, 26, 5
	v_ffbh_u32_e32 v11, v10
	v_cmp_eq_u32_e32 vcc_lo, 0, v47
	v_min_u32_e32 v11, 32, v11
	v_subrev_nc_u32_e32 v12, 29, v11
	v_sub_nc_u32_e32 v11, 30, v11
	v_lshlrev_b32_sdwa v12, v12, v17 dst_sel:DWORD dst_unused:UNUSED_PAD src0_sel:DWORD src1_sel:BYTE_3
	v_cndmask_b32_e32 v11, v47, v11, vcc_lo
	v_and_b32_e32 v12, 3, v12
	v_lshl_add_u32 v11, v11, 23, 0x37800000
	v_cndmask_b32_e32 v10, v10, v12, vcc_lo
	v_and_b32_e32 v12, 0x80000000, v17
	v_lshlrev_b32_e32 v10, 21, v10
	v_or3_b32 v47, v12, v11, v10
.LBB2_1400:                             ;   in Loop: Header=BB2_839 Depth=2
	s_or_b32 exec_lo, exec_lo, s40
	v_cmp_gt_i16_sdwa s40, v13, v96 src0_sel:BYTE_3 src1_sel:DWORD
	s_mov_b32 s13, 0
	s_and_saveexec_b32 s41, s40
	s_xor_b32 s40, exec_lo, s41
	s_cbranch_execz .LBB2_1539
; %bb.1401:                             ;   in Loop: Header=BB2_839 Depth=2
	v_cmp_eq_u16_sdwa s42, v13, v97 src0_sel:BYTE_3 src1_sel:DWORD
	s_mov_b32 s13, -1
	s_and_saveexec_b32 s41, s42
; %bb.1402:                             ;   in Loop: Header=BB2_839 Depth=2
	s_xor_b32 s13, exec_lo, -1
; %bb.1403:                             ;   in Loop: Header=BB2_839 Depth=2
	s_or_b32 exec_lo, exec_lo, s41
	s_and_b32 s13, s13, exec_lo
                                        ; implicit-def: $vgpr10_vgpr11_vgpr12_vgpr13
	s_or_saveexec_b32 s40, s40
	v_mov_b32_e32 v10, 0x7f800001
	s_xor_b32 exec_lo, exec_lo, s40
	s_cbranch_execnz .LBB2_1540
.LBB2_1404:                             ;   in Loop: Header=BB2_839 Depth=2
	s_or_b32 exec_lo, exec_lo, s40
	s_and_saveexec_b32 s40, s13
.LBB2_1405:                             ;   in Loop: Header=BB2_839 Depth=2
	v_mov_b32_e32 v10, v46
.LBB2_1406:                             ;   in Loop: Header=BB2_839 Depth=2
	s_or_b32 exec_lo, exec_lo, s40
	v_max_f32_e32 v10, v10, v10
	v_max_f32_e32 v11, v47, v47
	v_min_f32_e32 v10, v11, v10
.LBB2_1407:                             ;   in Loop: Header=BB2_839 Depth=2
	v_and_b32_e32 v11, 0x7f800000, v10
	v_cmp_ne_u32_e32 vcc_lo, 0x7f800000, v11
	v_mov_b32_e32 v11, 0x8000
	s_and_saveexec_b32 s40, vcc_lo
	s_cbranch_execz .LBB2_838
; %bb.1408:                             ;   in Loop: Header=BB2_839 Depth=2
	v_mov_b32_e32 v11, 0
	s_mov_b32 s41, exec_lo
	v_cmpx_ne_u32_e32 0, v10
	s_cbranch_execz .LBB2_837
; %bb.1409:                             ;   in Loop: Header=BB2_839 Depth=2
	v_bfe_u32 v11, v10, 23, 8
	v_and_b32_e32 v12, 0x7fffff, v10
	v_sub_nc_u32_e32 v13, 0x70, v11
	v_cmp_gt_u32_e32 vcc_lo, 0x71, v11
	v_or_b32_e32 v17, 0x800000, v12
	v_cndmask_b32_e32 v13, 0, v13, vcc_lo
	v_cmp_eq_u32_e32 vcc_lo, 0, v11
	v_add_nc_u32_e32 v11, 0xffffff91, v11
	v_cndmask_b32_e64 v13, v13, 0x6f, vcc_lo
	v_cndmask_b32_e32 v12, v17, v12, vcc_lo
	v_cndmask_b32_e64 v11, v11, 0xffffff92, vcc_lo
	v_lshl_add_u32 v17, 0x200000, v13, -1
	v_lshrrev_b32_e32 v46, v13, v12
	v_lshlrev_b32_e64 v56, v13, 0x100000
	v_add_nc_u32_e32 v13, v13, v11
	v_and_b32_e32 v12, v17, v12
	v_bfe_u32 v47, v46, 21, 1
	v_cmp_eq_u32_e64 s13, v12, v56
	v_add_nc_u32_e32 v17, -1, v47
	v_cndmask_b32_e64 v12, 0, v17, s13
	v_lshrrev_b32_e32 v17, 23, v46
	s_mov_b32 s13, exec_lo
	v_add_nc_u32_e32 v12, v12, v46
	v_xor_b32_e32 v17, 1, v17
	v_and_b32_e32 v11, 0x1fffff, v12
	v_add_nc_u32_e32 v12, v11, v46
                                        ; implicit-def: $vgpr11
	v_cmpx_ne_u32_e64 v13, v17
	s_xor_b32 s13, exec_lo, s13
; %bb.1410:                             ;   in Loop: Header=BB2_839 Depth=2
	v_cmp_lt_u32_e32 vcc_lo, 0xffffff, v12
	v_sub_nc_u32_e32 v11, v13, v17
	v_cndmask_b32_e64 v13, 0, 1, vcc_lo
	v_add_co_ci_u32_e64 v11, null, 0, v11, vcc_lo
	v_lshrrev_b32_e32 v12, v13, v12
; %bb.1411:                             ;   in Loop: Header=BB2_839 Depth=2
	s_andn2_saveexec_b32 s13, s13
	s_cbranch_execz .LBB2_836
; %bb.1412:                             ;   in Loop: Header=BB2_839 Depth=2
	v_bfe_u32 v11, v12, 23, 1
	s_branch .LBB2_836
.LBB2_1413:                             ;   in Loop: Header=BB2_839 Depth=2
	s_or_saveexec_b32 s40, s40
	v_mov_b32_e32 v115, 0x7f800001
	s_xor_b32 exec_lo, exec_lo, s40
	s_cbranch_execz .LBB2_844
.LBB2_1414:                             ;   in Loop: Header=BB2_839 Depth=2
	v_cmp_ne_u16_sdwa s41, v14, v36 src0_sel:BYTE_0 src1_sel:DWORD
	v_mov_b32_e32 v115, 0
	s_andn2_b32 s13, s13, exec_lo
	s_and_b32 s41, s41, exec_lo
	s_or_b32 s13, s13, s41
	s_or_b32 exec_lo, exec_lo, s40
	s_and_saveexec_b32 s40, s13
	s_cbranch_execnz .LBB2_845
	s_branch .LBB2_846
.LBB2_1415:                             ;   in Loop: Header=BB2_839 Depth=2
	s_or_saveexec_b32 s40, s40
	v_mov_b32_e32 v116, 0x7f800001
	s_xor_b32 exec_lo, exec_lo, s40
	s_cbranch_execz .LBB2_850
.LBB2_1416:                             ;   in Loop: Header=BB2_839 Depth=2
	v_cmp_ne_u16_sdwa s41, v10, v36 src0_sel:BYTE_0 src1_sel:DWORD
	v_mov_b32_e32 v116, 0
	s_andn2_b32 s13, s13, exec_lo
	s_and_b32 s41, s41, exec_lo
	s_or_b32 s13, s13, s41
	s_or_b32 exec_lo, exec_lo, s40
	s_and_saveexec_b32 s40, s13
	s_cbranch_execnz .LBB2_851
	s_branch .LBB2_852
.LBB2_1417:                             ;   in Loop: Header=BB2_839 Depth=2
	s_or_saveexec_b32 s40, s40
	v_mov_b32_e32 v115, 0x7f800001
	s_xor_b32 exec_lo, exec_lo, s40
	s_cbranch_execz .LBB2_858
.LBB2_1418:                             ;   in Loop: Header=BB2_839 Depth=2
	v_cmp_ne_u16_sdwa s41, v14, v36 src0_sel:BYTE_0 src1_sel:DWORD
	v_mov_b32_e32 v115, 0
	s_andn2_b32 s13, s13, exec_lo
	s_and_b32 s41, s41, exec_lo
	s_or_b32 s13, s13, s41
	s_or_b32 exec_lo, exec_lo, s40
	s_and_saveexec_b32 s40, s13
	s_cbranch_execnz .LBB2_859
	s_branch .LBB2_860
.LBB2_1419:                             ;   in Loop: Header=BB2_839 Depth=2
	s_or_saveexec_b32 s40, s40
	v_mov_b32_e32 v116, 0x7f800001
	s_xor_b32 exec_lo, exec_lo, s40
	s_cbranch_execz .LBB2_864
.LBB2_1420:                             ;   in Loop: Header=BB2_839 Depth=2
	v_cmp_ne_u16_sdwa s41, v10, v36 src0_sel:BYTE_0 src1_sel:DWORD
	v_mov_b32_e32 v116, 0
	s_andn2_b32 s13, s13, exec_lo
	s_and_b32 s41, s41, exec_lo
	s_or_b32 s13, s13, s41
	s_or_b32 exec_lo, exec_lo, s40
	s_and_saveexec_b32 s40, s13
	s_cbranch_execnz .LBB2_865
	s_branch .LBB2_866
.LBB2_1421:                             ;   in Loop: Header=BB2_839 Depth=2
	s_or_saveexec_b32 s40, s40
	v_mov_b32_e32 v116, 0x7f800001
	s_xor_b32 exec_lo, exec_lo, s40
	s_cbranch_execz .LBB2_880
.LBB2_1422:                             ;   in Loop: Header=BB2_839 Depth=2
	v_cmp_ne_u16_sdwa s41, v14, v36 src0_sel:BYTE_1 src1_sel:DWORD
	v_mov_b32_e32 v116, 0
	s_andn2_b32 s13, s13, exec_lo
	s_and_b32 s41, s41, exec_lo
	s_or_b32 s13, s13, s41
	s_or_b32 exec_lo, exec_lo, s40
	s_and_saveexec_b32 s40, s13
	s_cbranch_execnz .LBB2_881
	s_branch .LBB2_882
.LBB2_1423:                             ;   in Loop: Header=BB2_839 Depth=2
	s_or_saveexec_b32 s40, s40
	v_mov_b32_e32 v117, 0x7f800001
	s_xor_b32 exec_lo, exec_lo, s40
	s_cbranch_execz .LBB2_886
.LBB2_1424:                             ;   in Loop: Header=BB2_839 Depth=2
	v_cmp_ne_u16_sdwa s41, v10, v36 src0_sel:BYTE_1 src1_sel:DWORD
	v_mov_b32_e32 v117, 0
	s_andn2_b32 s13, s13, exec_lo
	s_and_b32 s41, s41, exec_lo
	s_or_b32 s13, s13, s41
	s_or_b32 exec_lo, exec_lo, s40
	s_and_saveexec_b32 s40, s13
	s_cbranch_execnz .LBB2_887
	s_branch .LBB2_888
.LBB2_1425:                             ;   in Loop: Header=BB2_839 Depth=2
	s_or_saveexec_b32 s40, s40
	v_mov_b32_e32 v116, 0x7f800001
	s_xor_b32 exec_lo, exec_lo, s40
	s_cbranch_execz .LBB2_894
.LBB2_1426:                             ;   in Loop: Header=BB2_839 Depth=2
	v_cmp_ne_u16_sdwa s41, v14, v36 src0_sel:BYTE_1 src1_sel:DWORD
	v_mov_b32_e32 v116, 0
	s_andn2_b32 s13, s13, exec_lo
	s_and_b32 s41, s41, exec_lo
	s_or_b32 s13, s13, s41
	s_or_b32 exec_lo, exec_lo, s40
	s_and_saveexec_b32 s40, s13
	s_cbranch_execnz .LBB2_895
	s_branch .LBB2_896
.LBB2_1427:                             ;   in Loop: Header=BB2_839 Depth=2
	s_or_saveexec_b32 s40, s40
	v_mov_b32_e32 v117, 0x7f800001
	s_xor_b32 exec_lo, exec_lo, s40
	s_cbranch_execz .LBB2_900
.LBB2_1428:                             ;   in Loop: Header=BB2_839 Depth=2
	v_cmp_ne_u16_sdwa s41, v10, v36 src0_sel:BYTE_1 src1_sel:DWORD
	v_mov_b32_e32 v117, 0
	s_andn2_b32 s13, s13, exec_lo
	s_and_b32 s41, s41, exec_lo
	s_or_b32 s13, s13, s41
	s_or_b32 exec_lo, exec_lo, s40
	s_and_saveexec_b32 s40, s13
	s_cbranch_execnz .LBB2_901
	s_branch .LBB2_902
.LBB2_1429:                             ;   in Loop: Header=BB2_839 Depth=2
	s_or_saveexec_b32 s13, s13
	v_mov_b32_e32 v118, 0x7f800001
	s_xor_b32 exec_lo, exec_lo, s13
	s_cbranch_execz .LBB2_916
.LBB2_1430:                             ;   in Loop: Header=BB2_839 Depth=2
	v_cmp_ne_u16_e32 vcc_lo, 0, v117
	v_mov_b32_e32 v118, 0
	s_andn2_b32 s40, s40, exec_lo
	s_and_b32 s41, vcc_lo, exec_lo
	s_or_b32 s40, s40, s41
	s_or_b32 exec_lo, exec_lo, s13
	s_and_saveexec_b32 s13, s40
	s_cbranch_execnz .LBB2_917
	s_branch .LBB2_918
.LBB2_1431:                             ;   in Loop: Header=BB2_839 Depth=2
	s_or_saveexec_b32 s40, s40
	v_mov_b32_e32 v119, 0x7f800001
	s_xor_b32 exec_lo, exec_lo, s40
	s_cbranch_execz .LBB2_922
.LBB2_1432:                             ;   in Loop: Header=BB2_839 Depth=2
	v_cmp_ne_u16_e32 vcc_lo, 0, v40
	v_mov_b32_e32 v119, 0
	s_andn2_b32 s13, s13, exec_lo
	s_and_b32 s41, vcc_lo, exec_lo
	s_or_b32 s13, s13, s41
	s_or_b32 exec_lo, exec_lo, s40
	s_and_saveexec_b32 s40, s13
	s_cbranch_execnz .LBB2_923
	s_branch .LBB2_924
.LBB2_1433:                             ;   in Loop: Header=BB2_839 Depth=2
	s_or_saveexec_b32 s40, s40
	v_mov_b32_e32 v118, 0x7f800001
	s_xor_b32 exec_lo, exec_lo, s40
	s_cbranch_execz .LBB2_930
.LBB2_1434:                             ;   in Loop: Header=BB2_839 Depth=2
	v_cmp_ne_u16_e32 vcc_lo, 0, v117
	v_mov_b32_e32 v118, 0
	s_andn2_b32 s13, s13, exec_lo
	s_and_b32 s41, vcc_lo, exec_lo
	s_or_b32 s13, s13, s41
	s_or_b32 exec_lo, exec_lo, s40
	s_and_saveexec_b32 s40, s13
	s_cbranch_execnz .LBB2_931
	s_branch .LBB2_932
.LBB2_1435:                             ;   in Loop: Header=BB2_839 Depth=2
	s_or_saveexec_b32 s40, s40
	v_mov_b32_e32 v117, 0x7f800001
	s_xor_b32 exec_lo, exec_lo, s40
	s_cbranch_execz .LBB2_936
.LBB2_1436:                             ;   in Loop: Header=BB2_839 Depth=2
	v_cmp_ne_u16_e32 vcc_lo, 0, v119
	v_mov_b32_e32 v117, 0
	s_andn2_b32 s13, s13, exec_lo
	s_and_b32 s41, vcc_lo, exec_lo
	s_or_b32 s13, s13, s41
	s_or_b32 exec_lo, exec_lo, s40
	s_and_saveexec_b32 s40, s13
	s_cbranch_execnz .LBB2_937
	s_branch .LBB2_938
.LBB2_1437:                             ;   in Loop: Header=BB2_839 Depth=2
	s_or_saveexec_b32 s40, s40
	v_mov_b32_e32 v118, 0x7f800001
	s_xor_b32 exec_lo, exec_lo, s40
	s_cbranch_execz .LBB2_952
.LBB2_1438:                             ;   in Loop: Header=BB2_839 Depth=2
	v_cmp_ne_u16_sdwa s41, v14, v36 src0_sel:BYTE_3 src1_sel:DWORD
	v_mov_b32_e32 v118, 0
	s_andn2_b32 s13, s13, exec_lo
	s_and_b32 s41, s41, exec_lo
	s_or_b32 s13, s13, s41
	s_or_b32 exec_lo, exec_lo, s40
	s_and_saveexec_b32 s40, s13
	s_cbranch_execnz .LBB2_953
	s_branch .LBB2_954
.LBB2_1439:                             ;   in Loop: Header=BB2_839 Depth=2
	s_or_saveexec_b32 s40, s40
	v_mov_b32_e32 v119, 0x7f800001
	s_xor_b32 exec_lo, exec_lo, s40
	s_cbranch_execz .LBB2_958
.LBB2_1440:                             ;   in Loop: Header=BB2_839 Depth=2
	v_cmp_ne_u16_sdwa s41, v10, v36 src0_sel:BYTE_3 src1_sel:DWORD
	v_mov_b32_e32 v119, 0
	s_andn2_b32 s13, s13, exec_lo
	s_and_b32 s41, s41, exec_lo
	s_or_b32 s13, s13, s41
	s_or_b32 exec_lo, exec_lo, s40
	s_and_saveexec_b32 s40, s13
	s_cbranch_execnz .LBB2_959
	s_branch .LBB2_960
.LBB2_1441:                             ;   in Loop: Header=BB2_839 Depth=2
	s_or_saveexec_b32 s40, s40
	v_mov_b32_e32 v118, 0x7f800001
	s_xor_b32 exec_lo, exec_lo, s40
	s_cbranch_execz .LBB2_966
.LBB2_1442:                             ;   in Loop: Header=BB2_839 Depth=2
	v_cmp_ne_u16_sdwa s41, v14, v36 src0_sel:BYTE_3 src1_sel:DWORD
	v_mov_b32_e32 v118, 0
	s_andn2_b32 s13, s13, exec_lo
	s_and_b32 s41, s41, exec_lo
	s_or_b32 s13, s13, s41
	s_or_b32 exec_lo, exec_lo, s40
	s_and_saveexec_b32 s40, s13
	s_cbranch_execnz .LBB2_967
	s_branch .LBB2_968
.LBB2_1443:                             ;   in Loop: Header=BB2_839 Depth=2
	s_or_saveexec_b32 s40, s40
	v_mov_b32_e32 v14, 0x7f800001
	s_xor_b32 exec_lo, exec_lo, s40
	s_cbranch_execz .LBB2_972
.LBB2_1444:                             ;   in Loop: Header=BB2_839 Depth=2
	v_cmp_ne_u16_sdwa s41, v10, v36 src0_sel:BYTE_3 src1_sel:DWORD
	v_mov_b32_e32 v14, 0
	s_andn2_b32 s13, s13, exec_lo
	s_and_b32 s41, s41, exec_lo
	s_or_b32 s13, s13, s41
	s_or_b32 exec_lo, exec_lo, s40
	s_and_saveexec_b32 s40, s13
	s_cbranch_execnz .LBB2_973
	s_branch .LBB2_974
.LBB2_1445:                             ;   in Loop: Header=BB2_839 Depth=2
	s_or_saveexec_b32 s40, s40
	v_mov_b32_e32 v117, 0x7f800001
	s_xor_b32 exec_lo, exec_lo, s40
	s_cbranch_execz .LBB2_988
.LBB2_1446:                             ;   in Loop: Header=BB2_839 Depth=2
	v_cmp_ne_u16_sdwa s41, v15, v36 src0_sel:BYTE_0 src1_sel:DWORD
	v_mov_b32_e32 v117, 0
	s_andn2_b32 s13, s13, exec_lo
	s_and_b32 s41, s41, exec_lo
	s_or_b32 s13, s13, s41
	s_or_b32 exec_lo, exec_lo, s40
	s_and_saveexec_b32 s40, s13
	s_cbranch_execnz .LBB2_989
	s_branch .LBB2_990
.LBB2_1447:                             ;   in Loop: Header=BB2_839 Depth=2
	s_or_saveexec_b32 s40, s40
	v_mov_b32_e32 v118, 0x7f800001
	s_xor_b32 exec_lo, exec_lo, s40
	s_cbranch_execz .LBB2_994
.LBB2_1448:                             ;   in Loop: Header=BB2_839 Depth=2
	v_cmp_ne_u16_sdwa s41, v11, v36 src0_sel:BYTE_0 src1_sel:DWORD
	v_mov_b32_e32 v118, 0
	s_andn2_b32 s13, s13, exec_lo
	s_and_b32 s41, s41, exec_lo
	s_or_b32 s13, s13, s41
	s_or_b32 exec_lo, exec_lo, s40
	s_and_saveexec_b32 s40, s13
	s_cbranch_execnz .LBB2_995
	s_branch .LBB2_996
.LBB2_1449:                             ;   in Loop: Header=BB2_839 Depth=2
	s_or_saveexec_b32 s40, s40
	v_mov_b32_e32 v117, 0x7f800001
	s_xor_b32 exec_lo, exec_lo, s40
	s_cbranch_execz .LBB2_1002
.LBB2_1450:                             ;   in Loop: Header=BB2_839 Depth=2
	v_cmp_ne_u16_sdwa s41, v15, v36 src0_sel:BYTE_0 src1_sel:DWORD
	v_mov_b32_e32 v117, 0
	s_andn2_b32 s13, s13, exec_lo
	s_and_b32 s41, s41, exec_lo
	s_or_b32 s13, s13, s41
	s_or_b32 exec_lo, exec_lo, s40
	s_and_saveexec_b32 s40, s13
	s_cbranch_execnz .LBB2_1003
	s_branch .LBB2_1004
.LBB2_1451:                             ;   in Loop: Header=BB2_839 Depth=2
	s_or_saveexec_b32 s40, s40
	v_mov_b32_e32 v118, 0x7f800001
	s_xor_b32 exec_lo, exec_lo, s40
	s_cbranch_execz .LBB2_1008
.LBB2_1452:                             ;   in Loop: Header=BB2_839 Depth=2
	v_cmp_ne_u16_sdwa s41, v11, v36 src0_sel:BYTE_0 src1_sel:DWORD
	v_mov_b32_e32 v118, 0
	s_andn2_b32 s13, s13, exec_lo
	s_and_b32 s41, s41, exec_lo
	s_or_b32 s13, s13, s41
	s_or_b32 exec_lo, exec_lo, s40
	s_and_saveexec_b32 s40, s13
	s_cbranch_execnz .LBB2_1009
	s_branch .LBB2_1010
.LBB2_1453:                             ;   in Loop: Header=BB2_839 Depth=2
	s_or_saveexec_b32 s40, s40
	v_mov_b32_e32 v118, 0x7f800001
	s_xor_b32 exec_lo, exec_lo, s40
	s_cbranch_execz .LBB2_1024
.LBB2_1454:                             ;   in Loop: Header=BB2_839 Depth=2
	v_cmp_ne_u16_sdwa s41, v15, v36 src0_sel:BYTE_1 src1_sel:DWORD
	v_mov_b32_e32 v118, 0
	s_andn2_b32 s13, s13, exec_lo
	s_and_b32 s41, s41, exec_lo
	s_or_b32 s13, s13, s41
	s_or_b32 exec_lo, exec_lo, s40
	s_and_saveexec_b32 s40, s13
	s_cbranch_execnz .LBB2_1025
	s_branch .LBB2_1026
.LBB2_1455:                             ;   in Loop: Header=BB2_839 Depth=2
	s_or_saveexec_b32 s40, s40
	v_mov_b32_e32 v119, 0x7f800001
	s_xor_b32 exec_lo, exec_lo, s40
	s_cbranch_execz .LBB2_1030
.LBB2_1456:                             ;   in Loop: Header=BB2_839 Depth=2
	v_cmp_ne_u16_sdwa s41, v11, v36 src0_sel:BYTE_1 src1_sel:DWORD
	v_mov_b32_e32 v119, 0
	s_andn2_b32 s13, s13, exec_lo
	s_and_b32 s41, s41, exec_lo
	s_or_b32 s13, s13, s41
	s_or_b32 exec_lo, exec_lo, s40
	s_and_saveexec_b32 s40, s13
	s_cbranch_execnz .LBB2_1031
	s_branch .LBB2_1032
.LBB2_1457:                             ;   in Loop: Header=BB2_839 Depth=2
	s_or_saveexec_b32 s40, s40
	v_mov_b32_e32 v118, 0x7f800001
	s_xor_b32 exec_lo, exec_lo, s40
	s_cbranch_execz .LBB2_1038
.LBB2_1458:                             ;   in Loop: Header=BB2_839 Depth=2
	v_cmp_ne_u16_sdwa s41, v15, v36 src0_sel:BYTE_1 src1_sel:DWORD
	v_mov_b32_e32 v118, 0
	s_andn2_b32 s13, s13, exec_lo
	s_and_b32 s41, s41, exec_lo
	s_or_b32 s13, s13, s41
	s_or_b32 exec_lo, exec_lo, s40
	s_and_saveexec_b32 s40, s13
	s_cbranch_execnz .LBB2_1039
	s_branch .LBB2_1040
.LBB2_1459:                             ;   in Loop: Header=BB2_839 Depth=2
	s_or_saveexec_b32 s40, s40
	v_mov_b32_e32 v119, 0x7f800001
	s_xor_b32 exec_lo, exec_lo, s40
	s_cbranch_execz .LBB2_1044
.LBB2_1460:                             ;   in Loop: Header=BB2_839 Depth=2
	v_cmp_ne_u16_sdwa s41, v11, v36 src0_sel:BYTE_1 src1_sel:DWORD
	v_mov_b32_e32 v119, 0
	s_andn2_b32 s13, s13, exec_lo
	s_and_b32 s41, s41, exec_lo
	s_or_b32 s13, s13, s41
	s_or_b32 exec_lo, exec_lo, s40
	s_and_saveexec_b32 s40, s13
	s_cbranch_execnz .LBB2_1045
	s_branch .LBB2_1046
.LBB2_1461:                             ;   in Loop: Header=BB2_839 Depth=2
	s_or_saveexec_b32 s13, s13
	v_mov_b32_e32 v40, 0x7f800001
	s_xor_b32 exec_lo, exec_lo, s13
	s_cbranch_execz .LBB2_1060
.LBB2_1462:                             ;   in Loop: Header=BB2_839 Depth=2
	v_cmp_ne_u16_e32 vcc_lo, 0, v119
	v_mov_b32_e32 v40, 0
	s_andn2_b32 s40, s40, exec_lo
	s_and_b32 s41, vcc_lo, exec_lo
	s_or_b32 s40, s40, s41
	s_or_b32 exec_lo, exec_lo, s13
	s_and_saveexec_b32 s13, s40
	s_cbranch_execnz .LBB2_1061
	s_branch .LBB2_1062
.LBB2_1463:                             ;   in Loop: Header=BB2_839 Depth=2
	s_or_saveexec_b32 s40, s40
	v_mov_b32_e32 v41, 0x7f800001
	s_xor_b32 exec_lo, exec_lo, s40
	s_cbranch_execz .LBB2_1066
.LBB2_1464:                             ;   in Loop: Header=BB2_839 Depth=2
	v_cmp_ne_u16_e32 vcc_lo, 0, v42
	v_mov_b32_e32 v41, 0
	s_andn2_b32 s13, s13, exec_lo
	s_and_b32 s41, vcc_lo, exec_lo
	s_or_b32 s13, s13, s41
	s_or_b32 exec_lo, exec_lo, s40
	s_and_saveexec_b32 s40, s13
	s_cbranch_execnz .LBB2_1067
	s_branch .LBB2_1068
.LBB2_1465:                             ;   in Loop: Header=BB2_839 Depth=2
	s_or_saveexec_b32 s40, s40
	v_mov_b32_e32 v40, 0x7f800001
	s_xor_b32 exec_lo, exec_lo, s40
	s_cbranch_execz .LBB2_1074
.LBB2_1466:                             ;   in Loop: Header=BB2_839 Depth=2
	v_cmp_ne_u16_e32 vcc_lo, 0, v119
	v_mov_b32_e32 v40, 0
	s_andn2_b32 s13, s13, exec_lo
	s_and_b32 s41, vcc_lo, exec_lo
	s_or_b32 s13, s13, s41
	s_or_b32 exec_lo, exec_lo, s40
	s_and_saveexec_b32 s40, s13
	s_cbranch_execnz .LBB2_1075
	s_branch .LBB2_1076
.LBB2_1467:                             ;   in Loop: Header=BB2_839 Depth=2
	s_or_saveexec_b32 s40, s40
	v_mov_b32_e32 v119, 0x7f800001
	s_xor_b32 exec_lo, exec_lo, s40
	s_cbranch_execz .LBB2_1080
.LBB2_1468:                             ;   in Loop: Header=BB2_839 Depth=2
	v_cmp_ne_u16_e32 vcc_lo, 0, v41
	v_mov_b32_e32 v119, 0
	s_andn2_b32 s13, s13, exec_lo
	s_and_b32 s41, vcc_lo, exec_lo
	s_or_b32 s13, s13, s41
	s_or_b32 exec_lo, exec_lo, s40
	s_and_saveexec_b32 s40, s13
	s_cbranch_execnz .LBB2_1081
	s_branch .LBB2_1082
.LBB2_1469:                             ;   in Loop: Header=BB2_839 Depth=2
	s_or_saveexec_b32 s40, s40
	v_mov_b32_e32 v40, 0x7f800001
	s_xor_b32 exec_lo, exec_lo, s40
	s_cbranch_execz .LBB2_1096
.LBB2_1470:                             ;   in Loop: Header=BB2_839 Depth=2
	v_cmp_ne_u16_sdwa s41, v15, v36 src0_sel:BYTE_3 src1_sel:DWORD
	v_mov_b32_e32 v40, 0
	s_andn2_b32 s13, s13, exec_lo
	s_and_b32 s41, s41, exec_lo
	s_or_b32 s13, s13, s41
	s_or_b32 exec_lo, exec_lo, s40
	s_and_saveexec_b32 s40, s13
	s_cbranch_execnz .LBB2_1097
	s_branch .LBB2_1098
.LBB2_1471:                             ;   in Loop: Header=BB2_839 Depth=2
	s_or_saveexec_b32 s40, s40
	v_mov_b32_e32 v41, 0x7f800001
	s_xor_b32 exec_lo, exec_lo, s40
	s_cbranch_execz .LBB2_1102
.LBB2_1472:                             ;   in Loop: Header=BB2_839 Depth=2
	v_cmp_ne_u16_sdwa s41, v11, v36 src0_sel:BYTE_3 src1_sel:DWORD
	v_mov_b32_e32 v41, 0
	s_andn2_b32 s13, s13, exec_lo
	s_and_b32 s41, s41, exec_lo
	s_or_b32 s13, s13, s41
	s_or_b32 exec_lo, exec_lo, s40
	s_and_saveexec_b32 s40, s13
	s_cbranch_execnz .LBB2_1103
	s_branch .LBB2_1104
.LBB2_1473:                             ;   in Loop: Header=BB2_839 Depth=2
	s_or_saveexec_b32 s40, s40
	v_mov_b32_e32 v40, 0x7f800001
	s_xor_b32 exec_lo, exec_lo, s40
	s_cbranch_execz .LBB2_1110
.LBB2_1474:                             ;   in Loop: Header=BB2_839 Depth=2
	v_cmp_ne_u16_sdwa s41, v15, v36 src0_sel:BYTE_3 src1_sel:DWORD
	v_mov_b32_e32 v40, 0
	s_andn2_b32 s13, s13, exec_lo
	s_and_b32 s41, s41, exec_lo
	s_or_b32 s13, s13, s41
	s_or_b32 exec_lo, exec_lo, s40
	s_and_saveexec_b32 s40, s13
	s_cbranch_execnz .LBB2_1111
	s_branch .LBB2_1112
.LBB2_1475:                             ;   in Loop: Header=BB2_839 Depth=2
	s_or_saveexec_b32 s40, s40
	v_mov_b32_e32 v15, 0x7f800001
	s_xor_b32 exec_lo, exec_lo, s40
	s_cbranch_execz .LBB2_1116
.LBB2_1476:                             ;   in Loop: Header=BB2_839 Depth=2
	v_cmp_ne_u16_sdwa s41, v11, v36 src0_sel:BYTE_3 src1_sel:DWORD
	v_mov_b32_e32 v15, 0
	s_andn2_b32 s13, s13, exec_lo
	s_and_b32 s41, s41, exec_lo
	s_or_b32 s13, s13, s41
	s_or_b32 exec_lo, exec_lo, s40
	s_and_saveexec_b32 s40, s13
	s_cbranch_execnz .LBB2_1117
	s_branch .LBB2_1118
.LBB2_1477:                             ;   in Loop: Header=BB2_839 Depth=2
	s_or_saveexec_b32 s40, s40
	v_mov_b32_e32 v11, 0x7f800001
	s_xor_b32 exec_lo, exec_lo, s40
	s_cbranch_execz .LBB2_1132
.LBB2_1478:                             ;   in Loop: Header=BB2_839 Depth=2
	v_cmp_ne_u16_sdwa s41, v16, v36 src0_sel:BYTE_0 src1_sel:DWORD
	v_mov_b32_e32 v11, 0
	s_andn2_b32 s13, s13, exec_lo
	s_and_b32 s41, s41, exec_lo
	s_or_b32 s13, s13, s41
	s_or_b32 exec_lo, exec_lo, s40
	s_and_saveexec_b32 s40, s13
	s_cbranch_execnz .LBB2_1133
	s_branch .LBB2_1134
.LBB2_1479:                             ;   in Loop: Header=BB2_839 Depth=2
	s_or_saveexec_b32 s40, s40
	v_mov_b32_e32 v40, 0x7f800001
	s_xor_b32 exec_lo, exec_lo, s40
	s_cbranch_execz .LBB2_1138
.LBB2_1480:                             ;   in Loop: Header=BB2_839 Depth=2
	v_cmp_ne_u16_sdwa s41, v12, v36 src0_sel:BYTE_0 src1_sel:DWORD
	v_mov_b32_e32 v40, 0
	s_andn2_b32 s13, s13, exec_lo
	s_and_b32 s41, s41, exec_lo
	s_or_b32 s13, s13, s41
	s_or_b32 exec_lo, exec_lo, s40
	s_and_saveexec_b32 s40, s13
	s_cbranch_execnz .LBB2_1139
	s_branch .LBB2_1140
.LBB2_1481:                             ;   in Loop: Header=BB2_839 Depth=2
	s_or_saveexec_b32 s40, s40
	v_mov_b32_e32 v11, 0x7f800001
	s_xor_b32 exec_lo, exec_lo, s40
	s_cbranch_execz .LBB2_1146
.LBB2_1482:                             ;   in Loop: Header=BB2_839 Depth=2
	v_cmp_ne_u16_sdwa s41, v16, v36 src0_sel:BYTE_0 src1_sel:DWORD
	v_mov_b32_e32 v11, 0
	s_andn2_b32 s13, s13, exec_lo
	s_and_b32 s41, s41, exec_lo
	s_or_b32 s13, s13, s41
	s_or_b32 exec_lo, exec_lo, s40
	s_and_saveexec_b32 s40, s13
	s_cbranch_execnz .LBB2_1147
	s_branch .LBB2_1148
.LBB2_1483:                             ;   in Loop: Header=BB2_839 Depth=2
	s_or_saveexec_b32 s40, s40
	v_mov_b32_e32 v40, 0x7f800001
	s_xor_b32 exec_lo, exec_lo, s40
	s_cbranch_execz .LBB2_1152
.LBB2_1484:                             ;   in Loop: Header=BB2_839 Depth=2
	v_cmp_ne_u16_sdwa s41, v12, v36 src0_sel:BYTE_0 src1_sel:DWORD
	v_mov_b32_e32 v40, 0
	s_andn2_b32 s13, s13, exec_lo
	s_and_b32 s41, s41, exec_lo
	s_or_b32 s13, s13, s41
	s_or_b32 exec_lo, exec_lo, s40
	s_and_saveexec_b32 s40, s13
	s_cbranch_execnz .LBB2_1153
	s_branch .LBB2_1154
.LBB2_1485:                             ;   in Loop: Header=BB2_839 Depth=2
	s_or_saveexec_b32 s40, s40
	v_mov_b32_e32 v11, 0x7f800001
	s_xor_b32 exec_lo, exec_lo, s40
	s_cbranch_execz .LBB2_1168
.LBB2_1486:                             ;   in Loop: Header=BB2_839 Depth=2
	v_cmp_ne_u16_sdwa s41, v16, v36 src0_sel:BYTE_1 src1_sel:DWORD
	v_mov_b32_e32 v11, 0
	s_andn2_b32 s13, s13, exec_lo
	s_and_b32 s41, s41, exec_lo
	s_or_b32 s13, s13, s41
	s_or_b32 exec_lo, exec_lo, s40
	s_and_saveexec_b32 s40, s13
	s_cbranch_execnz .LBB2_1169
	s_branch .LBB2_1170
.LBB2_1487:                             ;   in Loop: Header=BB2_839 Depth=2
	s_or_saveexec_b32 s40, s40
	v_mov_b32_e32 v41, 0x7f800001
	s_xor_b32 exec_lo, exec_lo, s40
	s_cbranch_execz .LBB2_1174
.LBB2_1488:                             ;   in Loop: Header=BB2_839 Depth=2
	v_cmp_ne_u16_sdwa s41, v12, v36 src0_sel:BYTE_1 src1_sel:DWORD
	v_mov_b32_e32 v41, 0
	s_andn2_b32 s13, s13, exec_lo
	s_and_b32 s41, s41, exec_lo
	s_or_b32 s13, s13, s41
	s_or_b32 exec_lo, exec_lo, s40
	s_and_saveexec_b32 s40, s13
	s_cbranch_execnz .LBB2_1175
	s_branch .LBB2_1176
.LBB2_1489:                             ;   in Loop: Header=BB2_839 Depth=2
	s_or_saveexec_b32 s40, s40
	v_mov_b32_e32 v11, 0x7f800001
	s_xor_b32 exec_lo, exec_lo, s40
	s_cbranch_execz .LBB2_1182
.LBB2_1490:                             ;   in Loop: Header=BB2_839 Depth=2
	v_cmp_ne_u16_sdwa s41, v16, v36 src0_sel:BYTE_1 src1_sel:DWORD
	v_mov_b32_e32 v11, 0
	s_andn2_b32 s13, s13, exec_lo
	s_and_b32 s41, s41, exec_lo
	s_or_b32 s13, s13, s41
	s_or_b32 exec_lo, exec_lo, s40
	s_and_saveexec_b32 s40, s13
	s_cbranch_execnz .LBB2_1183
	s_branch .LBB2_1184
.LBB2_1491:                             ;   in Loop: Header=BB2_839 Depth=2
	s_or_saveexec_b32 s40, s40
	v_mov_b32_e32 v41, 0x7f800001
	s_xor_b32 exec_lo, exec_lo, s40
	s_cbranch_execz .LBB2_1188
.LBB2_1492:                             ;   in Loop: Header=BB2_839 Depth=2
	v_cmp_ne_u16_sdwa s41, v12, v36 src0_sel:BYTE_1 src1_sel:DWORD
	v_mov_b32_e32 v41, 0
	s_andn2_b32 s13, s13, exec_lo
	s_and_b32 s41, s41, exec_lo
	s_or_b32 s13, s13, s41
	s_or_b32 exec_lo, exec_lo, s40
	s_and_saveexec_b32 s40, s13
	s_cbranch_execnz .LBB2_1189
	s_branch .LBB2_1190
.LBB2_1493:                             ;   in Loop: Header=BB2_839 Depth=2
	s_or_saveexec_b32 s13, s13
	v_mov_b32_e32 v42, 0x7f800001
	s_xor_b32 exec_lo, exec_lo, s13
	s_cbranch_execz .LBB2_1204
.LBB2_1494:                             ;   in Loop: Header=BB2_839 Depth=2
	v_cmp_ne_u16_e32 vcc_lo, 0, v11
	v_mov_b32_e32 v42, 0
	s_andn2_b32 s40, s40, exec_lo
	s_and_b32 s41, vcc_lo, exec_lo
	s_or_b32 s40, s40, s41
	s_or_b32 exec_lo, exec_lo, s13
	s_and_saveexec_b32 s13, s40
	s_cbranch_execnz .LBB2_1205
	s_branch .LBB2_1206
.LBB2_1495:                             ;   in Loop: Header=BB2_839 Depth=2
	s_or_saveexec_b32 s40, s40
	v_mov_b32_e32 v43, 0x7f800001
	s_xor_b32 exec_lo, exec_lo, s40
	s_cbranch_execz .LBB2_1210
.LBB2_1496:                             ;   in Loop: Header=BB2_839 Depth=2
	v_cmp_ne_u16_e32 vcc_lo, 0, v44
	v_mov_b32_e32 v43, 0
	s_andn2_b32 s13, s13, exec_lo
	s_and_b32 s41, vcc_lo, exec_lo
	s_or_b32 s13, s13, s41
	s_or_b32 exec_lo, exec_lo, s40
	s_and_saveexec_b32 s40, s13
	s_cbranch_execnz .LBB2_1211
	s_branch .LBB2_1212
.LBB2_1497:                             ;   in Loop: Header=BB2_839 Depth=2
	s_or_saveexec_b32 s40, s40
	v_mov_b32_e32 v42, 0x7f800001
	s_xor_b32 exec_lo, exec_lo, s40
	s_cbranch_execz .LBB2_1218
.LBB2_1498:                             ;   in Loop: Header=BB2_839 Depth=2
	v_cmp_ne_u16_e32 vcc_lo, 0, v11
	v_mov_b32_e32 v42, 0
	s_andn2_b32 s13, s13, exec_lo
	s_and_b32 s41, vcc_lo, exec_lo
	s_or_b32 s13, s13, s41
	s_or_b32 exec_lo, exec_lo, s40
	s_and_saveexec_b32 s40, s13
	s_cbranch_execnz .LBB2_1219
	s_branch .LBB2_1220
.LBB2_1499:                             ;   in Loop: Header=BB2_839 Depth=2
	s_or_saveexec_b32 s40, s40
	v_mov_b32_e32 v11, 0x7f800001
	s_xor_b32 exec_lo, exec_lo, s40
	s_cbranch_execz .LBB2_1224
.LBB2_1500:                             ;   in Loop: Header=BB2_839 Depth=2
	v_cmp_ne_u16_e32 vcc_lo, 0, v43
	v_mov_b32_e32 v11, 0
	s_andn2_b32 s13, s13, exec_lo
	s_and_b32 s41, vcc_lo, exec_lo
	s_or_b32 s13, s13, s41
	s_or_b32 exec_lo, exec_lo, s40
	s_and_saveexec_b32 s40, s13
	s_cbranch_execnz .LBB2_1225
	s_branch .LBB2_1226
.LBB2_1501:                             ;   in Loop: Header=BB2_839 Depth=2
	s_or_saveexec_b32 s40, s40
	v_mov_b32_e32 v11, 0x7f800001
	s_xor_b32 exec_lo, exec_lo, s40
	s_cbranch_execz .LBB2_1240
.LBB2_1502:                             ;   in Loop: Header=BB2_839 Depth=2
	v_cmp_ne_u16_sdwa s41, v16, v36 src0_sel:BYTE_3 src1_sel:DWORD
	v_mov_b32_e32 v11, 0
	s_andn2_b32 s13, s13, exec_lo
	s_and_b32 s41, s41, exec_lo
	s_or_b32 s13, s13, s41
	s_or_b32 exec_lo, exec_lo, s40
	s_and_saveexec_b32 s40, s13
	s_cbranch_execnz .LBB2_1241
	s_branch .LBB2_1242
.LBB2_1503:                             ;   in Loop: Header=BB2_839 Depth=2
	s_or_saveexec_b32 s40, s40
	v_mov_b32_e32 v43, 0x7f800001
	s_xor_b32 exec_lo, exec_lo, s40
	s_cbranch_execz .LBB2_1246
.LBB2_1504:                             ;   in Loop: Header=BB2_839 Depth=2
	v_cmp_ne_u16_sdwa s41, v12, v36 src0_sel:BYTE_3 src1_sel:DWORD
	v_mov_b32_e32 v43, 0
	s_andn2_b32 s13, s13, exec_lo
	s_and_b32 s41, s41, exec_lo
	s_or_b32 s13, s13, s41
	s_or_b32 exec_lo, exec_lo, s40
	s_and_saveexec_b32 s40, s13
	s_cbranch_execnz .LBB2_1247
	s_branch .LBB2_1248
.LBB2_1505:                             ;   in Loop: Header=BB2_839 Depth=2
	s_or_saveexec_b32 s40, s40
	v_mov_b32_e32 v11, 0x7f800001
	s_xor_b32 exec_lo, exec_lo, s40
	s_cbranch_execz .LBB2_1254
.LBB2_1506:                             ;   in Loop: Header=BB2_839 Depth=2
	v_cmp_ne_u16_sdwa s41, v16, v36 src0_sel:BYTE_3 src1_sel:DWORD
	v_mov_b32_e32 v11, 0
	s_andn2_b32 s13, s13, exec_lo
	s_and_b32 s41, s41, exec_lo
	s_or_b32 s13, s13, s41
	s_or_b32 exec_lo, exec_lo, s40
	s_and_saveexec_b32 s40, s13
	s_cbranch_execnz .LBB2_1255
	s_branch .LBB2_1256
.LBB2_1507:                             ;   in Loop: Header=BB2_839 Depth=2
	s_or_saveexec_b32 s40, s40
	v_mov_b32_e32 v16, 0x7f800001
	s_xor_b32 exec_lo, exec_lo, s40
	s_cbranch_execz .LBB2_1260
.LBB2_1508:                             ;   in Loop: Header=BB2_839 Depth=2
	v_cmp_ne_u16_sdwa s41, v12, v36 src0_sel:BYTE_3 src1_sel:DWORD
	v_mov_b32_e32 v16, 0
	s_andn2_b32 s13, s13, exec_lo
	s_and_b32 s41, s41, exec_lo
	s_or_b32 s13, s13, s41
	s_or_b32 exec_lo, exec_lo, s40
	s_and_saveexec_b32 s40, s13
	s_cbranch_execnz .LBB2_1261
	s_branch .LBB2_1262
.LBB2_1509:                             ;   in Loop: Header=BB2_839 Depth=2
	s_or_saveexec_b32 s40, s40
	v_mov_b32_e32 v11, 0x7f800001
	s_xor_b32 exec_lo, exec_lo, s40
	s_cbranch_execz .LBB2_1276
.LBB2_1510:                             ;   in Loop: Header=BB2_839 Depth=2
	v_cmp_ne_u16_sdwa s41, v17, v36 src0_sel:BYTE_0 src1_sel:DWORD
	v_mov_b32_e32 v11, 0
	s_andn2_b32 s13, s13, exec_lo
	s_and_b32 s41, s41, exec_lo
	s_or_b32 s13, s13, s41
	s_or_b32 exec_lo, exec_lo, s40
	s_and_saveexec_b32 s40, s13
	s_cbranch_execnz .LBB2_1277
	s_branch .LBB2_1278
.LBB2_1511:                             ;   in Loop: Header=BB2_839 Depth=2
	s_or_saveexec_b32 s40, s40
	v_mov_b32_e32 v12, 0x7f800001
	s_xor_b32 exec_lo, exec_lo, s40
	s_cbranch_execz .LBB2_1282
.LBB2_1512:                             ;   in Loop: Header=BB2_839 Depth=2
	v_cmp_ne_u16_sdwa s41, v13, v36 src0_sel:BYTE_0 src1_sel:DWORD
	v_mov_b32_e32 v12, 0
	s_andn2_b32 s13, s13, exec_lo
	s_and_b32 s41, s41, exec_lo
	s_or_b32 s13, s13, s41
	s_or_b32 exec_lo, exec_lo, s40
	s_and_saveexec_b32 s40, s13
	s_cbranch_execnz .LBB2_1283
	s_branch .LBB2_1284
.LBB2_1513:                             ;   in Loop: Header=BB2_839 Depth=2
	s_or_saveexec_b32 s40, s40
	v_mov_b32_e32 v11, 0x7f800001
	s_xor_b32 exec_lo, exec_lo, s40
	s_cbranch_execz .LBB2_1290
.LBB2_1514:                             ;   in Loop: Header=BB2_839 Depth=2
	v_cmp_ne_u16_sdwa s41, v17, v36 src0_sel:BYTE_0 src1_sel:DWORD
	v_mov_b32_e32 v11, 0
	s_andn2_b32 s13, s13, exec_lo
	s_and_b32 s41, s41, exec_lo
	s_or_b32 s13, s13, s41
	s_or_b32 exec_lo, exec_lo, s40
	s_and_saveexec_b32 s40, s13
	s_cbranch_execnz .LBB2_1291
	s_branch .LBB2_1292
.LBB2_1515:                             ;   in Loop: Header=BB2_839 Depth=2
	s_or_saveexec_b32 s40, s40
	v_mov_b32_e32 v12, 0x7f800001
	s_xor_b32 exec_lo, exec_lo, s40
	s_cbranch_execz .LBB2_1296
.LBB2_1516:                             ;   in Loop: Header=BB2_839 Depth=2
	v_cmp_ne_u16_sdwa s41, v13, v36 src0_sel:BYTE_0 src1_sel:DWORD
	v_mov_b32_e32 v12, 0
	s_andn2_b32 s13, s13, exec_lo
	s_and_b32 s41, s41, exec_lo
	s_or_b32 s13, s13, s41
	s_or_b32 exec_lo, exec_lo, s40
	s_and_saveexec_b32 s40, s13
	s_cbranch_execnz .LBB2_1297
	s_branch .LBB2_1298
.LBB2_1517:                             ;   in Loop: Header=BB2_839 Depth=2
	s_or_saveexec_b32 s40, s40
	v_mov_b32_e32 v11, 0x7f800001
	s_xor_b32 exec_lo, exec_lo, s40
	s_cbranch_execz .LBB2_1312
.LBB2_1518:                             ;   in Loop: Header=BB2_839 Depth=2
	v_cmp_ne_u16_sdwa s41, v17, v36 src0_sel:BYTE_1 src1_sel:DWORD
	v_mov_b32_e32 v11, 0
	s_andn2_b32 s13, s13, exec_lo
	s_and_b32 s41, s41, exec_lo
	s_or_b32 s13, s13, s41
	s_or_b32 exec_lo, exec_lo, s40
	s_and_saveexec_b32 s40, s13
	s_cbranch_execnz .LBB2_1313
	s_branch .LBB2_1314
.LBB2_1519:                             ;   in Loop: Header=BB2_839 Depth=2
	s_or_saveexec_b32 s40, s40
	v_mov_b32_e32 v12, 0x7f800001
	s_xor_b32 exec_lo, exec_lo, s40
	s_cbranch_execz .LBB2_1318
.LBB2_1520:                             ;   in Loop: Header=BB2_839 Depth=2
	v_cmp_ne_u16_sdwa s41, v13, v36 src0_sel:BYTE_1 src1_sel:DWORD
	v_mov_b32_e32 v12, 0
	s_andn2_b32 s13, s13, exec_lo
	s_and_b32 s41, s41, exec_lo
	s_or_b32 s13, s13, s41
	s_or_b32 exec_lo, exec_lo, s40
	s_and_saveexec_b32 s40, s13
	s_cbranch_execnz .LBB2_1319
	s_branch .LBB2_1320
.LBB2_1521:                             ;   in Loop: Header=BB2_839 Depth=2
	s_or_saveexec_b32 s40, s40
	v_mov_b32_e32 v11, 0x7f800001
	s_xor_b32 exec_lo, exec_lo, s40
	s_cbranch_execz .LBB2_1326
.LBB2_1522:                             ;   in Loop: Header=BB2_839 Depth=2
	v_cmp_ne_u16_sdwa s41, v17, v36 src0_sel:BYTE_1 src1_sel:DWORD
	v_mov_b32_e32 v11, 0
	s_andn2_b32 s13, s13, exec_lo
	s_and_b32 s41, s41, exec_lo
	s_or_b32 s13, s13, s41
	s_or_b32 exec_lo, exec_lo, s40
	s_and_saveexec_b32 s40, s13
	s_cbranch_execnz .LBB2_1327
	s_branch .LBB2_1328
.LBB2_1523:                             ;   in Loop: Header=BB2_839 Depth=2
	s_or_saveexec_b32 s40, s40
	v_mov_b32_e32 v12, 0x7f800001
	s_xor_b32 exec_lo, exec_lo, s40
	s_cbranch_execz .LBB2_1332
.LBB2_1524:                             ;   in Loop: Header=BB2_839 Depth=2
	v_cmp_ne_u16_sdwa s41, v13, v36 src0_sel:BYTE_1 src1_sel:DWORD
	v_mov_b32_e32 v12, 0
	s_andn2_b32 s13, s13, exec_lo
	s_and_b32 s41, s41, exec_lo
	s_or_b32 s13, s13, s41
	s_or_b32 exec_lo, exec_lo, s40
	s_and_saveexec_b32 s40, s13
	s_cbranch_execnz .LBB2_1333
	s_branch .LBB2_1334
.LBB2_1525:                             ;   in Loop: Header=BB2_839 Depth=2
	s_or_saveexec_b32 s13, s13
	v_mov_b32_e32 v12, 0x7f800001
	s_xor_b32 exec_lo, exec_lo, s13
	s_cbranch_execz .LBB2_1348
.LBB2_1526:                             ;   in Loop: Header=BB2_839 Depth=2
	v_cmp_ne_u16_e32 vcc_lo, 0, v11
	v_mov_b32_e32 v12, 0
	s_andn2_b32 s40, s40, exec_lo
	s_and_b32 s41, vcc_lo, exec_lo
	s_or_b32 s40, s40, s41
	s_or_b32 exec_lo, exec_lo, s13
	s_and_saveexec_b32 s13, s40
	s_cbranch_execnz .LBB2_1349
	s_branch .LBB2_1350
.LBB2_1527:                             ;   in Loop: Header=BB2_839 Depth=2
	s_or_saveexec_b32 s40, s40
	v_mov_b32_e32 v45, 0x7f800001
	s_xor_b32 exec_lo, exec_lo, s40
	s_cbranch_execz .LBB2_1354
.LBB2_1528:                             ;   in Loop: Header=BB2_839 Depth=2
	v_cmp_ne_u16_e32 vcc_lo, 0, v46
	v_mov_b32_e32 v45, 0
	s_andn2_b32 s13, s13, exec_lo
	s_and_b32 s41, vcc_lo, exec_lo
	s_or_b32 s13, s13, s41
	s_or_b32 exec_lo, exec_lo, s40
	s_and_saveexec_b32 s40, s13
	s_cbranch_execnz .LBB2_1355
	s_branch .LBB2_1356
.LBB2_1529:                             ;   in Loop: Header=BB2_839 Depth=2
	s_or_saveexec_b32 s40, s40
	v_mov_b32_e32 v12, 0x7f800001
	s_xor_b32 exec_lo, exec_lo, s40
	s_cbranch_execz .LBB2_1362
.LBB2_1530:                             ;   in Loop: Header=BB2_839 Depth=2
	v_cmp_ne_u16_e32 vcc_lo, 0, v11
	v_mov_b32_e32 v12, 0
	s_andn2_b32 s13, s13, exec_lo
	s_and_b32 s41, vcc_lo, exec_lo
	s_or_b32 s13, s13, s41
	s_or_b32 exec_lo, exec_lo, s40
	s_and_saveexec_b32 s40, s13
	s_cbranch_execnz .LBB2_1363
	s_branch .LBB2_1364
.LBB2_1531:                             ;   in Loop: Header=BB2_839 Depth=2
	s_or_saveexec_b32 s40, s40
	v_mov_b32_e32 v11, 0x7f800001
	s_xor_b32 exec_lo, exec_lo, s40
	s_cbranch_execz .LBB2_1368
.LBB2_1532:                             ;   in Loop: Header=BB2_839 Depth=2
	v_cmp_ne_u16_e32 vcc_lo, 0, v45
	v_mov_b32_e32 v11, 0
	s_andn2_b32 s13, s13, exec_lo
	s_and_b32 s41, vcc_lo, exec_lo
	s_or_b32 s13, s13, s41
	s_or_b32 exec_lo, exec_lo, s40
	s_and_saveexec_b32 s40, s13
	s_cbranch_execnz .LBB2_1369
	s_branch .LBB2_1370
.LBB2_1533:                             ;   in Loop: Header=BB2_839 Depth=2
	s_or_saveexec_b32 s40, s40
	v_mov_b32_e32 v10, 0x7f800001
	s_xor_b32 exec_lo, exec_lo, s40
	s_cbranch_execz .LBB2_1384
.LBB2_1534:                             ;   in Loop: Header=BB2_839 Depth=2
	v_cmp_ne_u16_sdwa s41, v17, v36 src0_sel:BYTE_3 src1_sel:DWORD
	v_mov_b32_e32 v10, 0
	s_andn2_b32 s13, s13, exec_lo
	s_and_b32 s41, s41, exec_lo
	s_or_b32 s13, s13, s41
	s_or_b32 exec_lo, exec_lo, s40
	s_and_saveexec_b32 s40, s13
	s_cbranch_execnz .LBB2_1385
	s_branch .LBB2_1386
.LBB2_1535:                             ;   in Loop: Header=BB2_839 Depth=2
	s_or_saveexec_b32 s40, s40
	v_mov_b32_e32 v11, 0x7f800001
	s_xor_b32 exec_lo, exec_lo, s40
	s_cbranch_execz .LBB2_1390
.LBB2_1536:                             ;   in Loop: Header=BB2_839 Depth=2
	v_cmp_ne_u16_sdwa s41, v13, v36 src0_sel:BYTE_3 src1_sel:DWORD
	v_mov_b32_e32 v11, 0
	s_andn2_b32 s13, s13, exec_lo
	s_and_b32 s41, s41, exec_lo
	s_or_b32 s13, s13, s41
	s_or_b32 exec_lo, exec_lo, s40
	s_and_saveexec_b32 s40, s13
	s_cbranch_execnz .LBB2_1391
	s_branch .LBB2_1392
.LBB2_1537:                             ;   in Loop: Header=BB2_839 Depth=2
	s_or_saveexec_b32 s40, s40
	v_mov_b32_e32 v47, 0x7f800001
	s_xor_b32 exec_lo, exec_lo, s40
	s_cbranch_execz .LBB2_1398
.LBB2_1538:                             ;   in Loop: Header=BB2_839 Depth=2
	v_cmp_ne_u16_sdwa s41, v17, v36 src0_sel:BYTE_3 src1_sel:DWORD
	v_mov_b32_e32 v47, 0
	s_andn2_b32 s13, s13, exec_lo
	s_and_b32 s41, s41, exec_lo
	s_or_b32 s13, s13, s41
	s_or_b32 exec_lo, exec_lo, s40
	s_and_saveexec_b32 s40, s13
	s_cbranch_execnz .LBB2_1399
	s_branch .LBB2_1400
.LBB2_1539:                             ;   in Loop: Header=BB2_839 Depth=2
	s_or_saveexec_b32 s40, s40
	v_mov_b32_e32 v10, 0x7f800001
	s_xor_b32 exec_lo, exec_lo, s40
	s_cbranch_execz .LBB2_1404
.LBB2_1540:                             ;   in Loop: Header=BB2_839 Depth=2
	v_cmp_ne_u16_sdwa s41, v13, v36 src0_sel:BYTE_3 src1_sel:DWORD
	v_mov_b32_e32 v10, 0
	s_andn2_b32 s13, s13, exec_lo
	s_and_b32 s41, s41, exec_lo
	s_or_b32 s13, s13, s41
	s_or_b32 exec_lo, exec_lo, s40
	s_and_saveexec_b32 s40, s13
	s_cbranch_execnz .LBB2_1405
	s_branch .LBB2_1406
.LBB2_1541:                             ;   in Loop: Header=BB2_49 Depth=1
	s_or_b32 exec_lo, exec_lo, s28
.LBB2_1542:                             ;   in Loop: Header=BB2_49 Depth=1
	s_or_b32 exec_lo, exec_lo, s27
	v_cmp_lt_i32_e32 vcc_lo, 0, v112
	s_mov_b32 s27, exec_lo
	v_cndmask_b32_e32 v10, 0, v80, vcc_lo
	v_sub_nc_u32_e32 v10, v10, v112
	v_lshl_add_u32 v16, v10, 5, v103
.LBB2_1543:                             ;   in Loop: Header=BB2_49 Depth=1
	s_or_b32 exec_lo, exec_lo, s14
	s_and_saveexec_b32 s14, s27
	s_cbranch_execz .LBB2_1948
.LBB2_1544:                             ;   in Loop: Header=BB2_49 Depth=1
	v_ashrrev_i32_e32 v10, 31, v16
	v_lshrrev_b32_e32 v11, 8, v102
	s_mov_b32 s27, exec_lo
	v_lshrrev_b32_e32 v10, 27, v10
	v_add_nc_u32_e32 v10, v16, v10
	v_ashrrev_i32_e32 v17, 5, v10
	v_sub_nc_u32_e32 v54, v11, v17
	v_cmpx_lt_i32_e32 0, v54
	s_cbranch_execz .LBB2_1900
; %bb.1545:                             ;   in Loop: Header=BB2_49 Depth=1
	v_and_b32_e32 v10, 0xffffffe0, v10
	s_trap 2
	ds_read_b64 v[12:13], v0
	v_lshlrev_b32_e32 v11, 8, v17
	v_add_co_u32 v52, vcc_lo, 0xe0, v52
	v_sub_nc_u32_e32 v10, v16, v10
	v_add_co_ci_u32_e64 v53, null, 0, v53, vcc_lo
	s_bitcmp1_b32 s26, 0
	s_mov_b32 s29, 0
	v_add3_u32 v14, v101, v10, v11
	s_cselect_b32 s28, -1, 0
	v_ashrrev_i32_e32 v15, 31, v14
	v_add_co_u32 v10, vcc_lo, v14, v50
	v_add_co_ci_u32_e64 v11, null, v15, v51, vcc_lo
	s_waitcnt lgkmcnt(0)
	v_add_co_u32 v12, vcc_lo, v12, v14
	v_add_co_ci_u32_e64 v13, null, v13, v15, vcc_lo
	v_add_co_u32 v14, vcc_lo, v52, v14
	v_add_co_ci_u32_e64 v15, null, v53, v15, vcc_lo
	s_branch .LBB2_1549
.LBB2_1546:                             ;   in Loop: Header=BB2_1549 Depth=2
	s_or_b32 exec_lo, exec_lo, s13
	v_lshrrev_b32_e32 v51, 21, v51
	v_cmp_gt_i32_e32 vcc_lo, 32, v50
	v_min_i32_e32 v66, 31, v50
	v_and_b32_sdwa v55, v55, v97 dst_sel:DWORD dst_unused:UNUSED_PAD src0_sel:BYTE_3 src1_sel:DWORD
	v_cndmask_b32_e32 v51, 3, v51, vcc_lo
	v_lshlrev_b32_e32 v66, 2, v66
	v_and_b32_e32 v112, 3, v51
	v_or_b32_e32 v50, v50, v51
	v_or3_b32 v51, v66, v55, v112
	v_cmp_ne_u32_e32 vcc_lo, 0, v50
	v_cndmask_b32_e32 v50, 0, v51, vcc_lo
.LBB2_1547:                             ;   in Loop: Header=BB2_1549 Depth=2
	s_or_b32 exec_lo, exec_lo, s41
.LBB2_1548:                             ;   in Loop: Header=BB2_1549 Depth=2
	s_or_b32 exec_lo, exec_lo, s40
	v_add_co_u32 v114, vcc_lo, 0xffffff20, v14
	v_add_co_ci_u32_e64 v115, null, -1, v15, vcc_lo
	v_add_co_u32 v116, vcc_lo, 0xffffff40, v14
	v_add_co_ci_u32_e64 v117, null, -1, v15, vcc_lo
	v_add_co_u32 v51, vcc_lo, 0xffffff60, v14
	flat_store_byte v[114:115], v52 glc slc
	flat_store_byte v[116:117], v64 glc slc
	v_add_co_ci_u32_e64 v52, null, -1, v15, vcc_lo
	v_add_co_u32 v114, vcc_lo, 0xffffff80, v14
	v_add_co_ci_u32_e64 v115, null, -1, v15, vcc_lo
	v_add_co_u32 v116, vcc_lo, 0xffffffa0, v14
	;; [unrolled: 2-line block ×4, first 2 shown]
	v_sub_nc_u32_e32 v54, v54, v80
	v_add_co_ci_u32_e64 v41, null, -1, v15, vcc_lo
	v_add_co_u32 v10, vcc_lo, v10, v84
	v_add_co_ci_u32_e64 v11, null, 0, v11, vcc_lo
	v_add_co_u32 v12, vcc_lo, v12, v84
	flat_store_byte v[51:52], v67 glc slc
	flat_store_byte v[114:115], v113 glc slc
	;; [unrolled: 1-line block ×6, first 2 shown]
	v_add_co_ci_u32_e64 v13, null, 0, v13, vcc_lo
	v_cmp_gt_i32_e32 vcc_lo, 1, v54
	v_add_co_u32 v14, s13, v14, v84
	v_add_co_ci_u32_e64 v15, null, 0, v15, s13
	s_or_b32 s29, vcc_lo, s29
	s_andn2_b32 exec_lo, exec_lo, s29
	s_cbranch_execz .LBB2_1899
.LBB2_1549:                             ;   Parent Loop BB2_49 Depth=1
                                        ; =>  This Inner Loop Header: Depth=2
	s_clause 0x7
	flat_load_ubyte v117, v[10:11] slc
	flat_load_ubyte v116, v[10:11] offset:32 slc
	flat_load_ubyte v115, v[10:11] offset:64 slc
	;; [unrolled: 1-line block ×7, first 2 shown]
	s_clause 0x7
	flat_load_ubyte v52, v[12:13] slc
	flat_load_ubyte v64, v[12:13] offset:32 slc
	flat_load_ubyte v67, v[12:13] offset:64 slc
	;; [unrolled: 1-line block ×7, first 2 shown]
	s_and_b32 vcc_lo, exec_lo, s28
	s_mov_b32 s13, -1
                                        ; implicit-def: $vgpr118
	s_waitcnt vmcnt(15) lgkmcnt(15)
	v_cmp_gt_i16_sdwa s40, v117, v96 src0_sel:BYTE_0 src1_sel:DWORD
	s_cbranch_vccz .LBB2_1563
; %bb.1550:                             ;   in Loop: Header=BB2_1549 Depth=2
	s_mov_b32 s13, 0
	s_and_saveexec_b32 s41, s40
	s_xor_b32 s40, exec_lo, s41
	s_cbranch_execz .LBB2_1835
; %bb.1551:                             ;   in Loop: Header=BB2_1549 Depth=2
	v_cmp_eq_u16_sdwa s42, v117, v97 src0_sel:BYTE_0 src1_sel:DWORD
	s_mov_b32 s13, -1
	s_and_saveexec_b32 s41, s42
; %bb.1552:                             ;   in Loop: Header=BB2_1549 Depth=2
	s_xor_b32 s13, exec_lo, -1
; %bb.1553:                             ;   in Loop: Header=BB2_1549 Depth=2
	s_or_b32 exec_lo, exec_lo, s41
	s_and_b32 s13, s13, exec_lo
	s_or_saveexec_b32 s40, s40
	v_mov_b32_e32 v118, 0x7f800001
	s_xor_b32 exec_lo, exec_lo, s40
	s_cbranch_execnz .LBB2_1836
.LBB2_1554:                             ;   in Loop: Header=BB2_1549 Depth=2
	s_or_b32 exec_lo, exec_lo, s40
	s_and_saveexec_b32 s40, s13
	s_cbranch_execz .LBB2_1556
.LBB2_1555:                             ;   in Loop: Header=BB2_1549 Depth=2
	v_and_b32_e32 v118, 3, v117
	v_lshrrev_b16 v40, 2, v117
	v_lshlrev_b32_e32 v42, 24, v117
	v_ffbh_u32_e32 v119, v118
	v_and_b32_e32 v40, 31, v40
	v_min_u32_e32 v119, 32, v119
	v_cmp_eq_u32_e32 vcc_lo, 0, v40
	v_subrev_nc_u32_e32 v41, 29, v119
	v_sub_nc_u32_e32 v119, 30, v119
	v_lshlrev_b32_e32 v41, v41, v117
	v_cndmask_b32_e32 v119, v40, v119, vcc_lo
	v_and_b32_e32 v40, 0x80000000, v42
	v_and_b32_e32 v41, 3, v41
	v_lshl_add_u32 v119, v119, 23, 0x37800000
	v_cndmask_b32_e32 v118, v118, v41, vcc_lo
	v_lshlrev_b32_e32 v118, 21, v118
	v_or3_b32 v118, v40, v119, v118
.LBB2_1556:                             ;   in Loop: Header=BB2_1549 Depth=2
	s_or_b32 exec_lo, exec_lo, s40
	s_waitcnt vmcnt(7) lgkmcnt(7)
	v_cmp_gt_i16_sdwa s40, v52, v96 src0_sel:BYTE_0 src1_sel:DWORD
	s_mov_b32 s13, 0
	s_and_saveexec_b32 s41, s40
	s_xor_b32 s40, exec_lo, s41
	s_cbranch_execz .LBB2_1837
; %bb.1557:                             ;   in Loop: Header=BB2_1549 Depth=2
	v_cmp_eq_u16_sdwa s42, v52, v97 src0_sel:BYTE_0 src1_sel:DWORD
	s_mov_b32 s13, -1
	s_and_saveexec_b32 s41, s42
; %bb.1558:                             ;   in Loop: Header=BB2_1549 Depth=2
	s_xor_b32 s13, exec_lo, -1
; %bb.1559:                             ;   in Loop: Header=BB2_1549 Depth=2
	s_or_b32 exec_lo, exec_lo, s41
	s_and_b32 s13, s13, exec_lo
	s_or_saveexec_b32 s40, s40
	v_mov_b32_e32 v119, 0x7f800001
	s_xor_b32 exec_lo, exec_lo, s40
	s_cbranch_execnz .LBB2_1838
.LBB2_1560:                             ;   in Loop: Header=BB2_1549 Depth=2
	s_or_b32 exec_lo, exec_lo, s40
	s_and_saveexec_b32 s40, s13
	s_cbranch_execz .LBB2_1562
.LBB2_1561:                             ;   in Loop: Header=BB2_1549 Depth=2
	v_and_b32_e32 v119, 3, v52
	v_lshrrev_b16 v41, 2, v52
	v_lshlrev_b32_e32 v43, 24, v52
	v_ffbh_u32_e32 v40, v119
	v_and_b32_e32 v41, 31, v41
	v_min_u32_e32 v40, 32, v40
	v_cmp_eq_u32_e32 vcc_lo, 0, v41
	v_subrev_nc_u32_e32 v42, 29, v40
	v_sub_nc_u32_e32 v40, 30, v40
	v_lshlrev_b32_e32 v42, v42, v52
	v_cndmask_b32_e32 v40, v41, v40, vcc_lo
	v_and_b32_e32 v41, 0x80000000, v43
	v_and_b32_e32 v42, 3, v42
	v_lshl_add_u32 v40, v40, 23, 0x37800000
	v_cndmask_b32_e32 v119, v119, v42, vcc_lo
	v_lshlrev_b32_e32 v119, 21, v119
	v_or3_b32 v119, v41, v40, v119
.LBB2_1562:                             ;   in Loop: Header=BB2_1549 Depth=2
	s_or_b32 exec_lo, exec_lo, s40
	v_max_f32_e32 v119, v119, v119
	v_max_f32_e32 v118, v118, v118
	s_mov_b32 s13, 0
	v_max_f32_e32 v118, v118, v119
.LBB2_1563:                             ;   in Loop: Header=BB2_1549 Depth=2
	s_and_b32 vcc_lo, exec_lo, s13
	s_cbranch_vccz .LBB2_1577
; %bb.1564:                             ;   in Loop: Header=BB2_1549 Depth=2
	v_cmp_gt_i16_sdwa s40, v117, v96 src0_sel:BYTE_0 src1_sel:DWORD
	s_mov_b32 s13, 0
	s_and_saveexec_b32 s41, s40
	s_xor_b32 s40, exec_lo, s41
	s_cbranch_execz .LBB2_1839
; %bb.1565:                             ;   in Loop: Header=BB2_1549 Depth=2
	v_cmp_eq_u16_sdwa s42, v117, v97 src0_sel:BYTE_0 src1_sel:DWORD
	s_mov_b32 s13, -1
	s_and_saveexec_b32 s41, s42
; %bb.1566:                             ;   in Loop: Header=BB2_1549 Depth=2
	s_xor_b32 s13, exec_lo, -1
; %bb.1567:                             ;   in Loop: Header=BB2_1549 Depth=2
	s_or_b32 exec_lo, exec_lo, s41
	s_and_b32 s13, s13, exec_lo
	s_or_saveexec_b32 s40, s40
	v_mov_b32_e32 v118, 0x7f800001
	s_xor_b32 exec_lo, exec_lo, s40
	s_cbranch_execnz .LBB2_1840
.LBB2_1568:                             ;   in Loop: Header=BB2_1549 Depth=2
	s_or_b32 exec_lo, exec_lo, s40
	s_and_saveexec_b32 s40, s13
	s_cbranch_execz .LBB2_1570
.LBB2_1569:                             ;   in Loop: Header=BB2_1549 Depth=2
	v_and_b32_e32 v118, 3, v117
	v_lshrrev_b16 v40, 2, v117
	v_ffbh_u32_e32 v119, v118
	v_and_b32_e32 v40, 31, v40
	v_min_u32_e32 v119, 32, v119
	v_cmp_eq_u32_e32 vcc_lo, 0, v40
	v_subrev_nc_u32_e32 v41, 29, v119
	v_sub_nc_u32_e32 v119, 30, v119
	v_lshlrev_b32_e32 v41, v41, v117
	v_lshlrev_b32_e32 v117, 24, v117
	v_cndmask_b32_e32 v119, v40, v119, vcc_lo
	v_and_b32_e32 v41, 3, v41
	v_and_b32_e32 v117, 0x80000000, v117
	v_lshl_add_u32 v119, v119, 23, 0x37800000
	v_cndmask_b32_e32 v118, v118, v41, vcc_lo
	v_lshlrev_b32_e32 v118, 21, v118
	v_or3_b32 v118, v117, v119, v118
.LBB2_1570:                             ;   in Loop: Header=BB2_1549 Depth=2
	s_or_b32 exec_lo, exec_lo, s40
	s_waitcnt vmcnt(7) lgkmcnt(7)
	v_cmp_gt_i16_sdwa s40, v52, v96 src0_sel:BYTE_0 src1_sel:DWORD
	s_mov_b32 s13, 0
	s_and_saveexec_b32 s41, s40
	s_xor_b32 s40, exec_lo, s41
	s_cbranch_execz .LBB2_1841
; %bb.1571:                             ;   in Loop: Header=BB2_1549 Depth=2
	v_cmp_eq_u16_sdwa s42, v52, v97 src0_sel:BYTE_0 src1_sel:DWORD
	s_mov_b32 s13, -1
	s_and_saveexec_b32 s41, s42
; %bb.1572:                             ;   in Loop: Header=BB2_1549 Depth=2
	s_xor_b32 s13, exec_lo, -1
; %bb.1573:                             ;   in Loop: Header=BB2_1549 Depth=2
	s_or_b32 exec_lo, exec_lo, s41
	s_and_b32 s13, s13, exec_lo
	s_or_saveexec_b32 s40, s40
	v_mov_b32_e32 v117, 0x7f800001
	s_xor_b32 exec_lo, exec_lo, s40
	s_cbranch_execnz .LBB2_1842
.LBB2_1574:                             ;   in Loop: Header=BB2_1549 Depth=2
	s_or_b32 exec_lo, exec_lo, s40
	s_and_saveexec_b32 s40, s13
	s_cbranch_execz .LBB2_1576
.LBB2_1575:                             ;   in Loop: Header=BB2_1549 Depth=2
	v_and_b32_e32 v117, 3, v52
	v_lshrrev_b16 v40, 2, v52
	v_ffbh_u32_e32 v119, v117
	v_and_b32_e32 v40, 31, v40
	v_min_u32_e32 v119, 32, v119
	v_cmp_eq_u32_e32 vcc_lo, 0, v40
	v_subrev_nc_u32_e32 v41, 29, v119
	v_sub_nc_u32_e32 v119, 30, v119
	v_lshlrev_b32_e32 v41, v41, v52
	v_lshlrev_b32_e32 v52, 24, v52
	v_cndmask_b32_e32 v119, v40, v119, vcc_lo
	v_and_b32_e32 v41, 3, v41
	v_and_b32_e32 v52, 0x80000000, v52
	v_lshl_add_u32 v119, v119, 23, 0x37800000
	v_cndmask_b32_e32 v117, v117, v41, vcc_lo
	v_lshlrev_b32_e32 v117, 21, v117
	v_or3_b32 v117, v52, v119, v117
.LBB2_1576:                             ;   in Loop: Header=BB2_1549 Depth=2
	s_or_b32 exec_lo, exec_lo, s40
	v_max_f32_e32 v52, v117, v117
	v_max_f32_e32 v117, v118, v118
	v_min_f32_e32 v118, v117, v52
.LBB2_1577:                             ;   in Loop: Header=BB2_1549 Depth=2
	s_waitcnt vmcnt(7) lgkmcnt(7)
	v_and_b32_e32 v52, 0x7f800000, v118
	v_cmp_ne_u32_e32 vcc_lo, 0x7f800000, v52
	v_mov_b32_e32 v52, 0x80
	s_and_saveexec_b32 s40, vcc_lo
	s_cbranch_execz .LBB2_1585
; %bb.1578:                             ;   in Loop: Header=BB2_1549 Depth=2
	v_mov_b32_e32 v52, 0
	s_mov_b32 s41, exec_lo
	v_cmpx_ne_u32_e32 0, v118
	s_cbranch_execz .LBB2_1584
; %bb.1579:                             ;   in Loop: Header=BB2_1549 Depth=2
	v_bfe_u32 v52, v118, 23, 8
	v_and_b32_e32 v117, 0x7fffff, v118
	v_sub_nc_u32_e32 v119, 0x70, v52
	v_cmp_gt_u32_e32 vcc_lo, 0x71, v52
	v_or_b32_e32 v40, 0x800000, v117
	v_cndmask_b32_e32 v119, 0, v119, vcc_lo
	v_cmp_eq_u32_e32 vcc_lo, 0, v52
	v_add_nc_u32_e32 v52, 0xffffff91, v52
	v_cndmask_b32_e64 v119, v119, 0x6f, vcc_lo
	v_cndmask_b32_e32 v117, v40, v117, vcc_lo
	v_cndmask_b32_e64 v52, v52, 0xffffff92, vcc_lo
	v_lshl_add_u32 v40, 0x200000, v119, -1
	v_lshrrev_b32_e32 v41, v119, v117
	v_lshlrev_b32_e64 v43, v119, 0x100000
	v_add_nc_u32_e32 v119, v119, v52
	v_and_b32_e32 v117, v40, v117
	v_bfe_u32 v42, v41, 21, 1
	v_cmp_eq_u32_e64 s13, v117, v43
	v_add_nc_u32_e32 v40, -1, v42
	v_cndmask_b32_e64 v117, 0, v40, s13
	v_lshrrev_b32_e32 v40, 23, v41
	s_mov_b32 s13, exec_lo
	v_add_nc_u32_e32 v117, v117, v41
	v_xor_b32_e32 v40, 1, v40
	v_and_b32_e32 v52, 0x1fffff, v117
	v_add_nc_u32_e32 v117, v52, v41
                                        ; implicit-def: $vgpr52
	v_cmpx_ne_u32_e64 v119, v40
	s_xor_b32 s13, exec_lo, s13
; %bb.1580:                             ;   in Loop: Header=BB2_1549 Depth=2
	v_cmp_lt_u32_e32 vcc_lo, 0xffffff, v117
	v_sub_nc_u32_e32 v52, v119, v40
	v_cndmask_b32_e64 v119, 0, 1, vcc_lo
	v_add_co_ci_u32_e64 v52, null, 0, v52, vcc_lo
	v_lshrrev_b32_e32 v117, v119, v117
; %bb.1581:                             ;   in Loop: Header=BB2_1549 Depth=2
	s_andn2_saveexec_b32 s13, s13
; %bb.1582:                             ;   in Loop: Header=BB2_1549 Depth=2
	v_bfe_u32 v52, v117, 23, 1
; %bb.1583:                             ;   in Loop: Header=BB2_1549 Depth=2
	s_or_b32 exec_lo, exec_lo, s13
	v_lshrrev_b32_e32 v117, 21, v117
	v_cmp_gt_i32_e32 vcc_lo, 32, v52
	v_min_i32_e32 v119, 31, v52
	v_and_b32_sdwa v118, v118, v97 dst_sel:DWORD dst_unused:UNUSED_PAD src0_sel:BYTE_3 src1_sel:DWORD
	v_cndmask_b32_e32 v117, 3, v117, vcc_lo
	v_lshlrev_b32_e32 v119, 2, v119
	v_and_b32_e32 v40, 3, v117
	v_or_b32_e32 v52, v52, v117
	v_or3_b32 v117, v119, v118, v40
	v_cmp_ne_u32_e32 vcc_lo, 0, v52
	v_cndmask_b32_e32 v52, 0, v117, vcc_lo
.LBB2_1584:                             ;   in Loop: Header=BB2_1549 Depth=2
	s_or_b32 exec_lo, exec_lo, s41
.LBB2_1585:                             ;   in Loop: Header=BB2_1549 Depth=2
	s_or_b32 exec_lo, exec_lo, s40
	v_cmp_gt_i16_sdwa s40, v116, v96 src0_sel:BYTE_0 src1_sel:DWORD
	s_andn2_b32 vcc_lo, exec_lo, s28
	s_mov_b32 s13, -1
                                        ; implicit-def: $vgpr117
	s_cbranch_vccnz .LBB2_1599
; %bb.1586:                             ;   in Loop: Header=BB2_1549 Depth=2
	s_mov_b32 s13, 0
	s_and_saveexec_b32 s41, s40
	s_xor_b32 s40, exec_lo, s41
	s_cbranch_execz .LBB2_1843
; %bb.1587:                             ;   in Loop: Header=BB2_1549 Depth=2
	v_cmp_eq_u16_sdwa s42, v116, v97 src0_sel:BYTE_0 src1_sel:DWORD
	s_mov_b32 s13, -1
	s_and_saveexec_b32 s41, s42
; %bb.1588:                             ;   in Loop: Header=BB2_1549 Depth=2
	s_xor_b32 s13, exec_lo, -1
; %bb.1589:                             ;   in Loop: Header=BB2_1549 Depth=2
	s_or_b32 exec_lo, exec_lo, s41
	s_and_b32 s13, s13, exec_lo
	s_or_saveexec_b32 s40, s40
	v_mov_b32_e32 v117, 0x7f800001
	s_xor_b32 exec_lo, exec_lo, s40
	s_cbranch_execnz .LBB2_1844
.LBB2_1590:                             ;   in Loop: Header=BB2_1549 Depth=2
	s_or_b32 exec_lo, exec_lo, s40
	s_and_saveexec_b32 s40, s13
	s_cbranch_execz .LBB2_1592
.LBB2_1591:                             ;   in Loop: Header=BB2_1549 Depth=2
	v_and_b32_e32 v117, 3, v116
	v_lshrrev_b16 v119, 2, v116
	v_lshlrev_b32_e32 v41, 24, v116
	v_ffbh_u32_e32 v118, v117
	v_and_b32_e32 v119, 31, v119
	v_min_u32_e32 v118, 32, v118
	v_cmp_eq_u32_e32 vcc_lo, 0, v119
	v_subrev_nc_u32_e32 v40, 29, v118
	v_sub_nc_u32_e32 v118, 30, v118
	v_lshlrev_b32_e32 v40, v40, v116
	v_cndmask_b32_e32 v118, v119, v118, vcc_lo
	v_and_b32_e32 v119, 0x80000000, v41
	v_and_b32_e32 v40, 3, v40
	v_lshl_add_u32 v118, v118, 23, 0x37800000
	v_cndmask_b32_e32 v117, v117, v40, vcc_lo
	v_lshlrev_b32_e32 v117, 21, v117
	v_or3_b32 v117, v119, v118, v117
.LBB2_1592:                             ;   in Loop: Header=BB2_1549 Depth=2
	s_or_b32 exec_lo, exec_lo, s40
	s_waitcnt vmcnt(6) lgkmcnt(6)
	v_cmp_gt_i16_sdwa s40, v64, v96 src0_sel:BYTE_0 src1_sel:DWORD
	s_mov_b32 s13, 0
	s_and_saveexec_b32 s41, s40
	s_xor_b32 s40, exec_lo, s41
	s_cbranch_execz .LBB2_1845
; %bb.1593:                             ;   in Loop: Header=BB2_1549 Depth=2
	v_cmp_eq_u16_sdwa s42, v64, v97 src0_sel:BYTE_0 src1_sel:DWORD
	s_mov_b32 s13, -1
	s_and_saveexec_b32 s41, s42
; %bb.1594:                             ;   in Loop: Header=BB2_1549 Depth=2
	s_xor_b32 s13, exec_lo, -1
; %bb.1595:                             ;   in Loop: Header=BB2_1549 Depth=2
	s_or_b32 exec_lo, exec_lo, s41
	s_and_b32 s13, s13, exec_lo
	s_or_saveexec_b32 s40, s40
	v_mov_b32_e32 v118, 0x7f800001
	s_xor_b32 exec_lo, exec_lo, s40
	s_cbranch_execnz .LBB2_1846
.LBB2_1596:                             ;   in Loop: Header=BB2_1549 Depth=2
	s_or_b32 exec_lo, exec_lo, s40
	s_and_saveexec_b32 s40, s13
	s_cbranch_execz .LBB2_1598
.LBB2_1597:                             ;   in Loop: Header=BB2_1549 Depth=2
	v_and_b32_e32 v118, 3, v64
	v_lshrrev_b16 v40, 2, v64
	v_lshlrev_b32_e32 v42, 24, v64
	v_ffbh_u32_e32 v119, v118
	v_and_b32_e32 v40, 31, v40
	v_min_u32_e32 v119, 32, v119
	v_cmp_eq_u32_e32 vcc_lo, 0, v40
	v_subrev_nc_u32_e32 v41, 29, v119
	v_sub_nc_u32_e32 v119, 30, v119
	v_lshlrev_b32_e32 v41, v41, v64
	v_cndmask_b32_e32 v119, v40, v119, vcc_lo
	v_and_b32_e32 v40, 0x80000000, v42
	v_and_b32_e32 v41, 3, v41
	v_lshl_add_u32 v119, v119, 23, 0x37800000
	v_cndmask_b32_e32 v118, v118, v41, vcc_lo
	v_lshlrev_b32_e32 v118, 21, v118
	v_or3_b32 v118, v40, v119, v118
.LBB2_1598:                             ;   in Loop: Header=BB2_1549 Depth=2
	s_or_b32 exec_lo, exec_lo, s40
	v_max_f32_e32 v118, v118, v118
	v_max_f32_e32 v117, v117, v117
	s_mov_b32 s13, 0
	v_max_f32_e32 v117, v117, v118
.LBB2_1599:                             ;   in Loop: Header=BB2_1549 Depth=2
	s_and_b32 vcc_lo, exec_lo, s13
	s_cbranch_vccz .LBB2_1613
; %bb.1600:                             ;   in Loop: Header=BB2_1549 Depth=2
	v_cmp_gt_i16_sdwa s40, v116, v96 src0_sel:BYTE_0 src1_sel:DWORD
	s_mov_b32 s13, 0
	s_and_saveexec_b32 s41, s40
	s_xor_b32 s40, exec_lo, s41
	s_cbranch_execz .LBB2_1847
; %bb.1601:                             ;   in Loop: Header=BB2_1549 Depth=2
	v_cmp_eq_u16_sdwa s42, v116, v97 src0_sel:BYTE_0 src1_sel:DWORD
	s_mov_b32 s13, -1
	s_and_saveexec_b32 s41, s42
; %bb.1602:                             ;   in Loop: Header=BB2_1549 Depth=2
	s_xor_b32 s13, exec_lo, -1
; %bb.1603:                             ;   in Loop: Header=BB2_1549 Depth=2
	s_or_b32 exec_lo, exec_lo, s41
	s_and_b32 s13, s13, exec_lo
	s_or_saveexec_b32 s40, s40
	v_mov_b32_e32 v117, 0x7f800001
	s_xor_b32 exec_lo, exec_lo, s40
	s_cbranch_execnz .LBB2_1848
.LBB2_1604:                             ;   in Loop: Header=BB2_1549 Depth=2
	s_or_b32 exec_lo, exec_lo, s40
	s_and_saveexec_b32 s40, s13
	s_cbranch_execz .LBB2_1606
.LBB2_1605:                             ;   in Loop: Header=BB2_1549 Depth=2
	v_and_b32_e32 v117, 3, v116
	v_lshrrev_b16 v119, 2, v116
	v_ffbh_u32_e32 v118, v117
	v_and_b32_e32 v119, 31, v119
	v_min_u32_e32 v118, 32, v118
	v_cmp_eq_u32_e32 vcc_lo, 0, v119
	v_subrev_nc_u32_e32 v40, 29, v118
	v_sub_nc_u32_e32 v118, 30, v118
	v_lshlrev_b32_e32 v40, v40, v116
	v_lshlrev_b32_e32 v116, 24, v116
	v_cndmask_b32_e32 v118, v119, v118, vcc_lo
	v_and_b32_e32 v40, 3, v40
	v_and_b32_e32 v116, 0x80000000, v116
	v_lshl_add_u32 v118, v118, 23, 0x37800000
	v_cndmask_b32_e32 v117, v117, v40, vcc_lo
	v_lshlrev_b32_e32 v117, 21, v117
	v_or3_b32 v117, v116, v118, v117
.LBB2_1606:                             ;   in Loop: Header=BB2_1549 Depth=2
	s_or_b32 exec_lo, exec_lo, s40
	s_waitcnt vmcnt(6) lgkmcnt(6)
	v_cmp_gt_i16_sdwa s40, v64, v96 src0_sel:BYTE_0 src1_sel:DWORD
	s_mov_b32 s13, 0
	s_and_saveexec_b32 s41, s40
	s_xor_b32 s40, exec_lo, s41
	s_cbranch_execz .LBB2_1849
; %bb.1607:                             ;   in Loop: Header=BB2_1549 Depth=2
	v_cmp_eq_u16_sdwa s42, v64, v97 src0_sel:BYTE_0 src1_sel:DWORD
	s_mov_b32 s13, -1
	s_and_saveexec_b32 s41, s42
; %bb.1608:                             ;   in Loop: Header=BB2_1549 Depth=2
	s_xor_b32 s13, exec_lo, -1
; %bb.1609:                             ;   in Loop: Header=BB2_1549 Depth=2
	s_or_b32 exec_lo, exec_lo, s41
	s_and_b32 s13, s13, exec_lo
	s_or_saveexec_b32 s40, s40
	v_mov_b32_e32 v116, 0x7f800001
	s_xor_b32 exec_lo, exec_lo, s40
	s_cbranch_execnz .LBB2_1850
.LBB2_1610:                             ;   in Loop: Header=BB2_1549 Depth=2
	s_or_b32 exec_lo, exec_lo, s40
	s_and_saveexec_b32 s40, s13
	s_cbranch_execz .LBB2_1612
.LBB2_1611:                             ;   in Loop: Header=BB2_1549 Depth=2
	v_and_b32_e32 v116, 3, v64
	v_lshrrev_b16 v119, 2, v64
	v_ffbh_u32_e32 v118, v116
	v_and_b32_e32 v119, 31, v119
	v_min_u32_e32 v118, 32, v118
	v_cmp_eq_u32_e32 vcc_lo, 0, v119
	v_subrev_nc_u32_e32 v40, 29, v118
	v_sub_nc_u32_e32 v118, 30, v118
	v_lshlrev_b32_e32 v40, v40, v64
	v_lshlrev_b32_e32 v64, 24, v64
	v_cndmask_b32_e32 v118, v119, v118, vcc_lo
	v_and_b32_e32 v40, 3, v40
	v_and_b32_e32 v64, 0x80000000, v64
	v_lshl_add_u32 v118, v118, 23, 0x37800000
	v_cndmask_b32_e32 v116, v116, v40, vcc_lo
	v_lshlrev_b32_e32 v116, 21, v116
	v_or3_b32 v116, v64, v118, v116
.LBB2_1612:                             ;   in Loop: Header=BB2_1549 Depth=2
	s_or_b32 exec_lo, exec_lo, s40
	v_max_f32_e32 v64, v116, v116
	v_max_f32_e32 v116, v117, v117
	v_min_f32_e32 v117, v116, v64
.LBB2_1613:                             ;   in Loop: Header=BB2_1549 Depth=2
	s_waitcnt vmcnt(6) lgkmcnt(6)
	v_and_b32_e32 v64, 0x7f800000, v117
	v_cmp_ne_u32_e32 vcc_lo, 0x7f800000, v64
	v_mov_b32_e32 v64, 0x80
	s_and_saveexec_b32 s40, vcc_lo
	s_cbranch_execz .LBB2_1621
; %bb.1614:                             ;   in Loop: Header=BB2_1549 Depth=2
	v_mov_b32_e32 v64, 0
	s_mov_b32 s41, exec_lo
	v_cmpx_ne_u32_e32 0, v117
	s_cbranch_execz .LBB2_1620
; %bb.1615:                             ;   in Loop: Header=BB2_1549 Depth=2
	v_bfe_u32 v64, v117, 23, 8
	v_and_b32_e32 v116, 0x7fffff, v117
	v_sub_nc_u32_e32 v118, 0x70, v64
	v_cmp_gt_u32_e32 vcc_lo, 0x71, v64
	v_or_b32_e32 v119, 0x800000, v116
	v_cndmask_b32_e32 v118, 0, v118, vcc_lo
	v_cmp_eq_u32_e32 vcc_lo, 0, v64
	v_add_nc_u32_e32 v64, 0xffffff91, v64
	v_cndmask_b32_e64 v118, v118, 0x6f, vcc_lo
	v_cndmask_b32_e32 v116, v119, v116, vcc_lo
	v_cndmask_b32_e64 v64, v64, 0xffffff92, vcc_lo
	v_lshl_add_u32 v119, 0x200000, v118, -1
	v_lshrrev_b32_e32 v40, v118, v116
	v_lshlrev_b32_e64 v42, v118, 0x100000
	v_add_nc_u32_e32 v118, v118, v64
	v_and_b32_e32 v116, v119, v116
	v_bfe_u32 v41, v40, 21, 1
	v_cmp_eq_u32_e64 s13, v116, v42
	v_add_nc_u32_e32 v119, -1, v41
	v_cndmask_b32_e64 v116, 0, v119, s13
	v_lshrrev_b32_e32 v119, 23, v40
	s_mov_b32 s13, exec_lo
	v_add_nc_u32_e32 v116, v116, v40
	v_xor_b32_e32 v119, 1, v119
	v_and_b32_e32 v64, 0x1fffff, v116
	v_add_nc_u32_e32 v116, v64, v40
                                        ; implicit-def: $vgpr64
	v_cmpx_ne_u32_e64 v118, v119
	s_xor_b32 s13, exec_lo, s13
; %bb.1616:                             ;   in Loop: Header=BB2_1549 Depth=2
	v_cmp_lt_u32_e32 vcc_lo, 0xffffff, v116
	v_sub_nc_u32_e32 v64, v118, v119
	v_cndmask_b32_e64 v118, 0, 1, vcc_lo
	v_add_co_ci_u32_e64 v64, null, 0, v64, vcc_lo
	v_lshrrev_b32_e32 v116, v118, v116
; %bb.1617:                             ;   in Loop: Header=BB2_1549 Depth=2
	s_andn2_saveexec_b32 s13, s13
; %bb.1618:                             ;   in Loop: Header=BB2_1549 Depth=2
	v_bfe_u32 v64, v116, 23, 1
; %bb.1619:                             ;   in Loop: Header=BB2_1549 Depth=2
	s_or_b32 exec_lo, exec_lo, s13
	v_lshrrev_b32_e32 v116, 21, v116
	v_cmp_gt_i32_e32 vcc_lo, 32, v64
	v_min_i32_e32 v118, 31, v64
	v_and_b32_sdwa v117, v117, v97 dst_sel:DWORD dst_unused:UNUSED_PAD src0_sel:BYTE_3 src1_sel:DWORD
	v_cndmask_b32_e32 v116, 3, v116, vcc_lo
	v_lshlrev_b32_e32 v118, 2, v118
	v_and_b32_e32 v119, 3, v116
	v_or_b32_e32 v64, v64, v116
	v_or3_b32 v116, v118, v117, v119
	v_cmp_ne_u32_e32 vcc_lo, 0, v64
	v_cndmask_b32_e32 v64, 0, v116, vcc_lo
.LBB2_1620:                             ;   in Loop: Header=BB2_1549 Depth=2
	s_or_b32 exec_lo, exec_lo, s41
.LBB2_1621:                             ;   in Loop: Header=BB2_1549 Depth=2
	s_or_b32 exec_lo, exec_lo, s40
	v_cmp_gt_i16_sdwa s40, v115, v96 src0_sel:BYTE_0 src1_sel:DWORD
	s_andn2_b32 vcc_lo, exec_lo, s28
	s_mov_b32 s13, -1
                                        ; implicit-def: $vgpr116
	s_cbranch_vccnz .LBB2_1635
; %bb.1622:                             ;   in Loop: Header=BB2_1549 Depth=2
	s_mov_b32 s13, 0
	s_and_saveexec_b32 s41, s40
	s_xor_b32 s40, exec_lo, s41
	s_cbranch_execz .LBB2_1851
; %bb.1623:                             ;   in Loop: Header=BB2_1549 Depth=2
	v_cmp_eq_u16_sdwa s42, v115, v97 src0_sel:BYTE_0 src1_sel:DWORD
	s_mov_b32 s13, -1
	s_and_saveexec_b32 s41, s42
; %bb.1624:                             ;   in Loop: Header=BB2_1549 Depth=2
	s_xor_b32 s13, exec_lo, -1
; %bb.1625:                             ;   in Loop: Header=BB2_1549 Depth=2
	s_or_b32 exec_lo, exec_lo, s41
	s_and_b32 s13, s13, exec_lo
	s_or_saveexec_b32 s40, s40
	v_mov_b32_e32 v116, 0x7f800001
	s_xor_b32 exec_lo, exec_lo, s40
	s_cbranch_execnz .LBB2_1852
.LBB2_1626:                             ;   in Loop: Header=BB2_1549 Depth=2
	s_or_b32 exec_lo, exec_lo, s40
	s_and_saveexec_b32 s40, s13
	s_cbranch_execz .LBB2_1628
.LBB2_1627:                             ;   in Loop: Header=BB2_1549 Depth=2
	v_and_b32_e32 v116, 3, v115
	v_lshrrev_b16 v118, 2, v115
	v_lshlrev_b32_e32 v40, 24, v115
	v_ffbh_u32_e32 v117, v116
	v_and_b32_e32 v118, 31, v118
	v_min_u32_e32 v117, 32, v117
	v_cmp_eq_u32_e32 vcc_lo, 0, v118
	v_subrev_nc_u32_e32 v119, 29, v117
	v_sub_nc_u32_e32 v117, 30, v117
	v_lshlrev_b32_e32 v119, v119, v115
	v_cndmask_b32_e32 v117, v118, v117, vcc_lo
	v_and_b32_e32 v118, 0x80000000, v40
	v_and_b32_e32 v119, 3, v119
	v_lshl_add_u32 v117, v117, 23, 0x37800000
	v_cndmask_b32_e32 v116, v116, v119, vcc_lo
	v_lshlrev_b32_e32 v116, 21, v116
	v_or3_b32 v116, v118, v117, v116
.LBB2_1628:                             ;   in Loop: Header=BB2_1549 Depth=2
	s_or_b32 exec_lo, exec_lo, s40
	s_waitcnt vmcnt(5) lgkmcnt(5)
	v_cmp_gt_i16_sdwa s40, v67, v96 src0_sel:BYTE_0 src1_sel:DWORD
	s_mov_b32 s13, 0
	s_and_saveexec_b32 s41, s40
	s_xor_b32 s40, exec_lo, s41
	s_cbranch_execz .LBB2_1853
; %bb.1629:                             ;   in Loop: Header=BB2_1549 Depth=2
	v_cmp_eq_u16_sdwa s42, v67, v97 src0_sel:BYTE_0 src1_sel:DWORD
	s_mov_b32 s13, -1
	s_and_saveexec_b32 s41, s42
; %bb.1630:                             ;   in Loop: Header=BB2_1549 Depth=2
	s_xor_b32 s13, exec_lo, -1
; %bb.1631:                             ;   in Loop: Header=BB2_1549 Depth=2
	s_or_b32 exec_lo, exec_lo, s41
	s_and_b32 s13, s13, exec_lo
	s_or_saveexec_b32 s40, s40
	v_mov_b32_e32 v117, 0x7f800001
	s_xor_b32 exec_lo, exec_lo, s40
	s_cbranch_execnz .LBB2_1854
.LBB2_1632:                             ;   in Loop: Header=BB2_1549 Depth=2
	s_or_b32 exec_lo, exec_lo, s40
	s_and_saveexec_b32 s40, s13
	s_cbranch_execz .LBB2_1634
.LBB2_1633:                             ;   in Loop: Header=BB2_1549 Depth=2
	v_and_b32_e32 v117, 3, v67
	v_lshrrev_b16 v119, 2, v67
	v_lshlrev_b32_e32 v41, 24, v67
	v_ffbh_u32_e32 v118, v117
	v_and_b32_e32 v119, 31, v119
	v_min_u32_e32 v118, 32, v118
	v_cmp_eq_u32_e32 vcc_lo, 0, v119
	v_subrev_nc_u32_e32 v40, 29, v118
	v_sub_nc_u32_e32 v118, 30, v118
	v_lshlrev_b32_e32 v40, v40, v67
	v_cndmask_b32_e32 v118, v119, v118, vcc_lo
	v_and_b32_e32 v119, 0x80000000, v41
	v_and_b32_e32 v40, 3, v40
	v_lshl_add_u32 v118, v118, 23, 0x37800000
	v_cndmask_b32_e32 v117, v117, v40, vcc_lo
	v_lshlrev_b32_e32 v117, 21, v117
	v_or3_b32 v117, v119, v118, v117
.LBB2_1634:                             ;   in Loop: Header=BB2_1549 Depth=2
	s_or_b32 exec_lo, exec_lo, s40
	v_max_f32_e32 v117, v117, v117
	v_max_f32_e32 v116, v116, v116
	s_mov_b32 s13, 0
	v_max_f32_e32 v116, v116, v117
.LBB2_1635:                             ;   in Loop: Header=BB2_1549 Depth=2
	s_and_b32 vcc_lo, exec_lo, s13
	s_cbranch_vccz .LBB2_1649
; %bb.1636:                             ;   in Loop: Header=BB2_1549 Depth=2
	v_cmp_gt_i16_sdwa s40, v115, v96 src0_sel:BYTE_0 src1_sel:DWORD
	s_mov_b32 s13, 0
	s_and_saveexec_b32 s41, s40
	s_xor_b32 s40, exec_lo, s41
	s_cbranch_execz .LBB2_1855
; %bb.1637:                             ;   in Loop: Header=BB2_1549 Depth=2
	v_cmp_eq_u16_sdwa s42, v115, v97 src0_sel:BYTE_0 src1_sel:DWORD
	s_mov_b32 s13, -1
	s_and_saveexec_b32 s41, s42
; %bb.1638:                             ;   in Loop: Header=BB2_1549 Depth=2
	s_xor_b32 s13, exec_lo, -1
; %bb.1639:                             ;   in Loop: Header=BB2_1549 Depth=2
	s_or_b32 exec_lo, exec_lo, s41
	s_and_b32 s13, s13, exec_lo
	s_or_saveexec_b32 s40, s40
	v_mov_b32_e32 v116, 0x7f800001
	s_xor_b32 exec_lo, exec_lo, s40
	s_cbranch_execnz .LBB2_1856
.LBB2_1640:                             ;   in Loop: Header=BB2_1549 Depth=2
	s_or_b32 exec_lo, exec_lo, s40
	s_and_saveexec_b32 s40, s13
	s_cbranch_execz .LBB2_1642
.LBB2_1641:                             ;   in Loop: Header=BB2_1549 Depth=2
	v_and_b32_e32 v116, 3, v115
	v_lshrrev_b16 v118, 2, v115
	v_ffbh_u32_e32 v117, v116
	v_and_b32_e32 v118, 31, v118
	v_min_u32_e32 v117, 32, v117
	v_cmp_eq_u32_e32 vcc_lo, 0, v118
	v_subrev_nc_u32_e32 v119, 29, v117
	v_sub_nc_u32_e32 v117, 30, v117
	v_lshlrev_b32_e32 v119, v119, v115
	v_lshlrev_b32_e32 v115, 24, v115
	v_cndmask_b32_e32 v117, v118, v117, vcc_lo
	v_and_b32_e32 v119, 3, v119
	v_and_b32_e32 v115, 0x80000000, v115
	v_lshl_add_u32 v117, v117, 23, 0x37800000
	v_cndmask_b32_e32 v116, v116, v119, vcc_lo
	v_lshlrev_b32_e32 v116, 21, v116
	v_or3_b32 v116, v115, v117, v116
.LBB2_1642:                             ;   in Loop: Header=BB2_1549 Depth=2
	s_or_b32 exec_lo, exec_lo, s40
	s_waitcnt vmcnt(5) lgkmcnt(5)
	v_cmp_gt_i16_sdwa s40, v67, v96 src0_sel:BYTE_0 src1_sel:DWORD
	s_mov_b32 s13, 0
	s_and_saveexec_b32 s41, s40
	s_xor_b32 s40, exec_lo, s41
	s_cbranch_execz .LBB2_1857
; %bb.1643:                             ;   in Loop: Header=BB2_1549 Depth=2
	v_cmp_eq_u16_sdwa s42, v67, v97 src0_sel:BYTE_0 src1_sel:DWORD
	s_mov_b32 s13, -1
	s_and_saveexec_b32 s41, s42
; %bb.1644:                             ;   in Loop: Header=BB2_1549 Depth=2
	s_xor_b32 s13, exec_lo, -1
; %bb.1645:                             ;   in Loop: Header=BB2_1549 Depth=2
	s_or_b32 exec_lo, exec_lo, s41
	s_and_b32 s13, s13, exec_lo
	s_or_saveexec_b32 s40, s40
	v_mov_b32_e32 v115, 0x7f800001
	s_xor_b32 exec_lo, exec_lo, s40
	s_cbranch_execnz .LBB2_1858
.LBB2_1646:                             ;   in Loop: Header=BB2_1549 Depth=2
	s_or_b32 exec_lo, exec_lo, s40
	s_and_saveexec_b32 s40, s13
	s_cbranch_execz .LBB2_1648
.LBB2_1647:                             ;   in Loop: Header=BB2_1549 Depth=2
	v_and_b32_e32 v115, 3, v67
	v_lshrrev_b16 v118, 2, v67
	v_ffbh_u32_e32 v117, v115
	v_and_b32_e32 v118, 31, v118
	v_min_u32_e32 v117, 32, v117
	v_cmp_eq_u32_e32 vcc_lo, 0, v118
	v_subrev_nc_u32_e32 v119, 29, v117
	v_sub_nc_u32_e32 v117, 30, v117
	v_lshlrev_b32_e32 v119, v119, v67
	v_lshlrev_b32_e32 v67, 24, v67
	v_cndmask_b32_e32 v117, v118, v117, vcc_lo
	v_and_b32_e32 v119, 3, v119
	v_and_b32_e32 v67, 0x80000000, v67
	v_lshl_add_u32 v117, v117, 23, 0x37800000
	v_cndmask_b32_e32 v115, v115, v119, vcc_lo
	v_lshlrev_b32_e32 v115, 21, v115
	v_or3_b32 v115, v67, v117, v115
.LBB2_1648:                             ;   in Loop: Header=BB2_1549 Depth=2
	s_or_b32 exec_lo, exec_lo, s40
	v_max_f32_e32 v67, v115, v115
	v_max_f32_e32 v115, v116, v116
	v_min_f32_e32 v116, v115, v67
.LBB2_1649:                             ;   in Loop: Header=BB2_1549 Depth=2
	s_waitcnt vmcnt(5) lgkmcnt(5)
	v_and_b32_e32 v67, 0x7f800000, v116
	v_cmp_ne_u32_e32 vcc_lo, 0x7f800000, v67
	v_mov_b32_e32 v67, 0x80
	s_and_saveexec_b32 s40, vcc_lo
	s_cbranch_execz .LBB2_1657
; %bb.1650:                             ;   in Loop: Header=BB2_1549 Depth=2
	v_mov_b32_e32 v67, 0
	s_mov_b32 s41, exec_lo
	v_cmpx_ne_u32_e32 0, v116
	s_cbranch_execz .LBB2_1656
; %bb.1651:                             ;   in Loop: Header=BB2_1549 Depth=2
	v_bfe_u32 v67, v116, 23, 8
	v_and_b32_e32 v115, 0x7fffff, v116
	v_sub_nc_u32_e32 v117, 0x70, v67
	v_cmp_gt_u32_e32 vcc_lo, 0x71, v67
	v_or_b32_e32 v118, 0x800000, v115
	v_cndmask_b32_e32 v117, 0, v117, vcc_lo
	v_cmp_eq_u32_e32 vcc_lo, 0, v67
	v_add_nc_u32_e32 v67, 0xffffff91, v67
	v_cndmask_b32_e64 v117, v117, 0x6f, vcc_lo
	v_cndmask_b32_e32 v115, v118, v115, vcc_lo
	v_cndmask_b32_e64 v67, v67, 0xffffff92, vcc_lo
	v_lshl_add_u32 v118, 0x200000, v117, -1
	v_lshrrev_b32_e32 v119, v117, v115
	v_lshlrev_b32_e64 v41, v117, 0x100000
	v_add_nc_u32_e32 v117, v117, v67
	v_and_b32_e32 v115, v118, v115
	v_bfe_u32 v40, v119, 21, 1
	v_cmp_eq_u32_e64 s13, v115, v41
	v_add_nc_u32_e32 v118, -1, v40
	v_cndmask_b32_e64 v115, 0, v118, s13
	v_lshrrev_b32_e32 v118, 23, v119
	s_mov_b32 s13, exec_lo
	v_add_nc_u32_e32 v115, v115, v119
	v_xor_b32_e32 v118, 1, v118
	v_and_b32_e32 v67, 0x1fffff, v115
	v_add_nc_u32_e32 v115, v67, v119
                                        ; implicit-def: $vgpr67
	v_cmpx_ne_u32_e64 v117, v118
	s_xor_b32 s13, exec_lo, s13
; %bb.1652:                             ;   in Loop: Header=BB2_1549 Depth=2
	v_cmp_lt_u32_e32 vcc_lo, 0xffffff, v115
	v_sub_nc_u32_e32 v67, v117, v118
	v_cndmask_b32_e64 v117, 0, 1, vcc_lo
	v_add_co_ci_u32_e64 v67, null, 0, v67, vcc_lo
	v_lshrrev_b32_e32 v115, v117, v115
; %bb.1653:                             ;   in Loop: Header=BB2_1549 Depth=2
	s_andn2_saveexec_b32 s13, s13
; %bb.1654:                             ;   in Loop: Header=BB2_1549 Depth=2
	v_bfe_u32 v67, v115, 23, 1
; %bb.1655:                             ;   in Loop: Header=BB2_1549 Depth=2
	s_or_b32 exec_lo, exec_lo, s13
	v_lshrrev_b32_e32 v115, 21, v115
	v_cmp_gt_i32_e32 vcc_lo, 32, v67
	v_min_i32_e32 v117, 31, v67
	v_and_b32_sdwa v116, v116, v97 dst_sel:DWORD dst_unused:UNUSED_PAD src0_sel:BYTE_3 src1_sel:DWORD
	v_cndmask_b32_e32 v115, 3, v115, vcc_lo
	v_lshlrev_b32_e32 v117, 2, v117
	v_and_b32_e32 v118, 3, v115
	v_or_b32_e32 v67, v67, v115
	v_or3_b32 v115, v117, v116, v118
	v_cmp_ne_u32_e32 vcc_lo, 0, v67
	v_cndmask_b32_e32 v67, 0, v115, vcc_lo
.LBB2_1656:                             ;   in Loop: Header=BB2_1549 Depth=2
	s_or_b32 exec_lo, exec_lo, s41
.LBB2_1657:                             ;   in Loop: Header=BB2_1549 Depth=2
	s_or_b32 exec_lo, exec_lo, s40
	v_cmp_gt_i16_sdwa s40, v114, v96 src0_sel:BYTE_0 src1_sel:DWORD
	s_andn2_b32 vcc_lo, exec_lo, s28
	s_mov_b32 s13, -1
                                        ; implicit-def: $vgpr115
	s_cbranch_vccnz .LBB2_1671
; %bb.1658:                             ;   in Loop: Header=BB2_1549 Depth=2
	s_mov_b32 s13, 0
	s_and_saveexec_b32 s41, s40
	s_xor_b32 s40, exec_lo, s41
	s_cbranch_execz .LBB2_1859
; %bb.1659:                             ;   in Loop: Header=BB2_1549 Depth=2
	v_cmp_eq_u16_sdwa s42, v114, v97 src0_sel:BYTE_0 src1_sel:DWORD
	s_mov_b32 s13, -1
	s_and_saveexec_b32 s41, s42
; %bb.1660:                             ;   in Loop: Header=BB2_1549 Depth=2
	s_xor_b32 s13, exec_lo, -1
; %bb.1661:                             ;   in Loop: Header=BB2_1549 Depth=2
	s_or_b32 exec_lo, exec_lo, s41
	s_and_b32 s13, s13, exec_lo
	s_or_saveexec_b32 s40, s40
	v_mov_b32_e32 v115, 0x7f800001
	s_xor_b32 exec_lo, exec_lo, s40
	s_cbranch_execnz .LBB2_1860
.LBB2_1662:                             ;   in Loop: Header=BB2_1549 Depth=2
	s_or_b32 exec_lo, exec_lo, s40
	s_and_saveexec_b32 s40, s13
	s_cbranch_execz .LBB2_1664
.LBB2_1663:                             ;   in Loop: Header=BB2_1549 Depth=2
	v_and_b32_e32 v115, 3, v114
	v_lshrrev_b16 v117, 2, v114
	v_lshlrev_b32_e32 v119, 24, v114
	v_ffbh_u32_e32 v116, v115
	v_and_b32_e32 v117, 31, v117
	v_min_u32_e32 v116, 32, v116
	v_cmp_eq_u32_e32 vcc_lo, 0, v117
	v_subrev_nc_u32_e32 v118, 29, v116
	v_sub_nc_u32_e32 v116, 30, v116
	v_lshlrev_b32_e32 v118, v118, v114
	v_cndmask_b32_e32 v116, v117, v116, vcc_lo
	v_and_b32_e32 v117, 0x80000000, v119
	v_and_b32_e32 v118, 3, v118
	v_lshl_add_u32 v116, v116, 23, 0x37800000
	v_cndmask_b32_e32 v115, v115, v118, vcc_lo
	v_lshlrev_b32_e32 v115, 21, v115
	v_or3_b32 v115, v117, v116, v115
.LBB2_1664:                             ;   in Loop: Header=BB2_1549 Depth=2
	s_or_b32 exec_lo, exec_lo, s40
	s_waitcnt vmcnt(4) lgkmcnt(4)
	v_cmp_gt_i16_sdwa s40, v113, v96 src0_sel:BYTE_0 src1_sel:DWORD
	s_mov_b32 s13, 0
	s_and_saveexec_b32 s41, s40
	s_xor_b32 s40, exec_lo, s41
	s_cbranch_execz .LBB2_1861
; %bb.1665:                             ;   in Loop: Header=BB2_1549 Depth=2
	v_cmp_eq_u16_sdwa s42, v113, v97 src0_sel:BYTE_0 src1_sel:DWORD
	s_mov_b32 s13, -1
	s_and_saveexec_b32 s41, s42
; %bb.1666:                             ;   in Loop: Header=BB2_1549 Depth=2
	s_xor_b32 s13, exec_lo, -1
; %bb.1667:                             ;   in Loop: Header=BB2_1549 Depth=2
	s_or_b32 exec_lo, exec_lo, s41
	s_and_b32 s13, s13, exec_lo
	s_or_saveexec_b32 s40, s40
	v_mov_b32_e32 v116, 0x7f800001
	s_xor_b32 exec_lo, exec_lo, s40
	s_cbranch_execnz .LBB2_1862
.LBB2_1668:                             ;   in Loop: Header=BB2_1549 Depth=2
	s_or_b32 exec_lo, exec_lo, s40
	s_and_saveexec_b32 s40, s13
	s_cbranch_execz .LBB2_1670
.LBB2_1669:                             ;   in Loop: Header=BB2_1549 Depth=2
	v_and_b32_e32 v116, 3, v113
	v_lshrrev_b16 v118, 2, v113
	v_lshlrev_b32_e32 v40, 24, v113
	v_ffbh_u32_e32 v117, v116
	v_and_b32_e32 v118, 31, v118
	v_min_u32_e32 v117, 32, v117
	v_cmp_eq_u32_e32 vcc_lo, 0, v118
	v_subrev_nc_u32_e32 v119, 29, v117
	v_sub_nc_u32_e32 v117, 30, v117
	v_lshlrev_b32_e32 v119, v119, v113
	v_cndmask_b32_e32 v117, v118, v117, vcc_lo
	v_and_b32_e32 v118, 0x80000000, v40
	v_and_b32_e32 v119, 3, v119
	v_lshl_add_u32 v117, v117, 23, 0x37800000
	v_cndmask_b32_e32 v116, v116, v119, vcc_lo
	v_lshlrev_b32_e32 v116, 21, v116
	v_or3_b32 v116, v118, v117, v116
.LBB2_1670:                             ;   in Loop: Header=BB2_1549 Depth=2
	s_or_b32 exec_lo, exec_lo, s40
	v_max_f32_e32 v116, v116, v116
	v_max_f32_e32 v115, v115, v115
	s_mov_b32 s13, 0
	v_max_f32_e32 v115, v115, v116
.LBB2_1671:                             ;   in Loop: Header=BB2_1549 Depth=2
	s_and_b32 vcc_lo, exec_lo, s13
	s_cbranch_vccz .LBB2_1685
; %bb.1672:                             ;   in Loop: Header=BB2_1549 Depth=2
	v_cmp_gt_i16_sdwa s40, v114, v96 src0_sel:BYTE_0 src1_sel:DWORD
	s_mov_b32 s13, 0
	s_and_saveexec_b32 s41, s40
	s_xor_b32 s40, exec_lo, s41
	s_cbranch_execz .LBB2_1863
; %bb.1673:                             ;   in Loop: Header=BB2_1549 Depth=2
	v_cmp_eq_u16_sdwa s42, v114, v97 src0_sel:BYTE_0 src1_sel:DWORD
	s_mov_b32 s13, -1
	s_and_saveexec_b32 s41, s42
; %bb.1674:                             ;   in Loop: Header=BB2_1549 Depth=2
	s_xor_b32 s13, exec_lo, -1
; %bb.1675:                             ;   in Loop: Header=BB2_1549 Depth=2
	s_or_b32 exec_lo, exec_lo, s41
	s_and_b32 s13, s13, exec_lo
	s_or_saveexec_b32 s40, s40
	v_mov_b32_e32 v115, 0x7f800001
	s_xor_b32 exec_lo, exec_lo, s40
	s_cbranch_execnz .LBB2_1864
.LBB2_1676:                             ;   in Loop: Header=BB2_1549 Depth=2
	s_or_b32 exec_lo, exec_lo, s40
	s_and_saveexec_b32 s40, s13
	s_cbranch_execz .LBB2_1678
.LBB2_1677:                             ;   in Loop: Header=BB2_1549 Depth=2
	v_and_b32_e32 v115, 3, v114
	v_lshrrev_b16 v117, 2, v114
	v_ffbh_u32_e32 v116, v115
	v_and_b32_e32 v117, 31, v117
	v_min_u32_e32 v116, 32, v116
	v_cmp_eq_u32_e32 vcc_lo, 0, v117
	v_subrev_nc_u32_e32 v118, 29, v116
	v_sub_nc_u32_e32 v116, 30, v116
	v_lshlrev_b32_e32 v118, v118, v114
	v_lshlrev_b32_e32 v114, 24, v114
	v_cndmask_b32_e32 v116, v117, v116, vcc_lo
	v_and_b32_e32 v118, 3, v118
	v_and_b32_e32 v114, 0x80000000, v114
	v_lshl_add_u32 v116, v116, 23, 0x37800000
	v_cndmask_b32_e32 v115, v115, v118, vcc_lo
	v_lshlrev_b32_e32 v115, 21, v115
	v_or3_b32 v115, v114, v116, v115
.LBB2_1678:                             ;   in Loop: Header=BB2_1549 Depth=2
	s_or_b32 exec_lo, exec_lo, s40
	s_waitcnt vmcnt(4) lgkmcnt(4)
	v_cmp_gt_i16_sdwa s40, v113, v96 src0_sel:BYTE_0 src1_sel:DWORD
	s_mov_b32 s13, 0
	s_and_saveexec_b32 s41, s40
	s_xor_b32 s40, exec_lo, s41
	s_cbranch_execz .LBB2_1865
; %bb.1679:                             ;   in Loop: Header=BB2_1549 Depth=2
	v_cmp_eq_u16_sdwa s42, v113, v97 src0_sel:BYTE_0 src1_sel:DWORD
	s_mov_b32 s13, -1
	s_and_saveexec_b32 s41, s42
; %bb.1680:                             ;   in Loop: Header=BB2_1549 Depth=2
	s_xor_b32 s13, exec_lo, -1
; %bb.1681:                             ;   in Loop: Header=BB2_1549 Depth=2
	s_or_b32 exec_lo, exec_lo, s41
	s_and_b32 s13, s13, exec_lo
	s_or_saveexec_b32 s40, s40
	v_mov_b32_e32 v114, 0x7f800001
	s_xor_b32 exec_lo, exec_lo, s40
	s_cbranch_execnz .LBB2_1866
.LBB2_1682:                             ;   in Loop: Header=BB2_1549 Depth=2
	s_or_b32 exec_lo, exec_lo, s40
	s_and_saveexec_b32 s40, s13
	s_cbranch_execz .LBB2_1684
.LBB2_1683:                             ;   in Loop: Header=BB2_1549 Depth=2
	v_and_b32_e32 v114, 3, v113
	v_lshrrev_b16 v117, 2, v113
	v_ffbh_u32_e32 v116, v114
	v_and_b32_e32 v117, 31, v117
	v_min_u32_e32 v116, 32, v116
	v_cmp_eq_u32_e32 vcc_lo, 0, v117
	v_subrev_nc_u32_e32 v118, 29, v116
	v_sub_nc_u32_e32 v116, 30, v116
	v_lshlrev_b32_e32 v118, v118, v113
	v_lshlrev_b32_e32 v113, 24, v113
	v_cndmask_b32_e32 v116, v117, v116, vcc_lo
	v_and_b32_e32 v118, 3, v118
	v_and_b32_e32 v113, 0x80000000, v113
	v_lshl_add_u32 v116, v116, 23, 0x37800000
	v_cndmask_b32_e32 v114, v114, v118, vcc_lo
	v_lshlrev_b32_e32 v114, 21, v114
	v_or3_b32 v114, v113, v116, v114
.LBB2_1684:                             ;   in Loop: Header=BB2_1549 Depth=2
	s_or_b32 exec_lo, exec_lo, s40
	v_max_f32_e32 v113, v114, v114
	v_max_f32_e32 v114, v115, v115
	v_min_f32_e32 v115, v114, v113
.LBB2_1685:                             ;   in Loop: Header=BB2_1549 Depth=2
	s_waitcnt vmcnt(4) lgkmcnt(4)
	v_and_b32_e32 v113, 0x7f800000, v115
	v_cmp_ne_u32_e32 vcc_lo, 0x7f800000, v113
	v_mov_b32_e32 v113, 0x80
	s_and_saveexec_b32 s40, vcc_lo
	s_cbranch_execz .LBB2_1693
; %bb.1686:                             ;   in Loop: Header=BB2_1549 Depth=2
	v_mov_b32_e32 v113, 0
	s_mov_b32 s41, exec_lo
	v_cmpx_ne_u32_e32 0, v115
	s_cbranch_execz .LBB2_1692
; %bb.1687:                             ;   in Loop: Header=BB2_1549 Depth=2
	v_bfe_u32 v113, v115, 23, 8
	v_and_b32_e32 v114, 0x7fffff, v115
	v_sub_nc_u32_e32 v116, 0x70, v113
	v_cmp_gt_u32_e32 vcc_lo, 0x71, v113
	v_or_b32_e32 v117, 0x800000, v114
	v_cndmask_b32_e32 v116, 0, v116, vcc_lo
	v_cmp_eq_u32_e32 vcc_lo, 0, v113
	v_add_nc_u32_e32 v113, 0xffffff91, v113
	v_cndmask_b32_e64 v116, v116, 0x6f, vcc_lo
	v_cndmask_b32_e32 v114, v117, v114, vcc_lo
	v_cndmask_b32_e64 v113, v113, 0xffffff92, vcc_lo
	v_lshl_add_u32 v117, 0x200000, v116, -1
	v_lshrrev_b32_e32 v118, v116, v114
	v_lshlrev_b32_e64 v40, v116, 0x100000
	v_add_nc_u32_e32 v116, v116, v113
	v_and_b32_e32 v114, v117, v114
	v_bfe_u32 v119, v118, 21, 1
	v_cmp_eq_u32_e64 s13, v114, v40
	v_add_nc_u32_e32 v117, -1, v119
	v_cndmask_b32_e64 v114, 0, v117, s13
	v_lshrrev_b32_e32 v117, 23, v118
	s_mov_b32 s13, exec_lo
	v_add_nc_u32_e32 v114, v114, v118
	v_xor_b32_e32 v117, 1, v117
	v_and_b32_e32 v113, 0x1fffff, v114
	v_add_nc_u32_e32 v114, v113, v118
                                        ; implicit-def: $vgpr113
	v_cmpx_ne_u32_e64 v116, v117
	s_xor_b32 s13, exec_lo, s13
; %bb.1688:                             ;   in Loop: Header=BB2_1549 Depth=2
	v_cmp_lt_u32_e32 vcc_lo, 0xffffff, v114
	v_sub_nc_u32_e32 v113, v116, v117
	v_cndmask_b32_e64 v116, 0, 1, vcc_lo
	v_add_co_ci_u32_e64 v113, null, 0, v113, vcc_lo
	v_lshrrev_b32_e32 v114, v116, v114
; %bb.1689:                             ;   in Loop: Header=BB2_1549 Depth=2
	s_andn2_saveexec_b32 s13, s13
; %bb.1690:                             ;   in Loop: Header=BB2_1549 Depth=2
	v_bfe_u32 v113, v114, 23, 1
; %bb.1691:                             ;   in Loop: Header=BB2_1549 Depth=2
	s_or_b32 exec_lo, exec_lo, s13
	v_lshrrev_b32_e32 v114, 21, v114
	v_cmp_gt_i32_e32 vcc_lo, 32, v113
	v_min_i32_e32 v116, 31, v113
	v_and_b32_sdwa v115, v115, v97 dst_sel:DWORD dst_unused:UNUSED_PAD src0_sel:BYTE_3 src1_sel:DWORD
	v_cndmask_b32_e32 v114, 3, v114, vcc_lo
	v_lshlrev_b32_e32 v116, 2, v116
	v_and_b32_e32 v117, 3, v114
	v_or_b32_e32 v113, v113, v114
	v_or3_b32 v114, v116, v115, v117
	v_cmp_ne_u32_e32 vcc_lo, 0, v113
	v_cndmask_b32_e32 v113, 0, v114, vcc_lo
.LBB2_1692:                             ;   in Loop: Header=BB2_1549 Depth=2
	s_or_b32 exec_lo, exec_lo, s41
.LBB2_1693:                             ;   in Loop: Header=BB2_1549 Depth=2
	s_or_b32 exec_lo, exec_lo, s40
	v_cmp_gt_i16_sdwa s40, v112, v96 src0_sel:BYTE_0 src1_sel:DWORD
	s_andn2_b32 vcc_lo, exec_lo, s28
	s_mov_b32 s13, -1
                                        ; implicit-def: $vgpr114
	s_cbranch_vccnz .LBB2_1707
; %bb.1694:                             ;   in Loop: Header=BB2_1549 Depth=2
	s_mov_b32 s13, 0
	s_and_saveexec_b32 s41, s40
	s_xor_b32 s40, exec_lo, s41
	s_cbranch_execz .LBB2_1867
; %bb.1695:                             ;   in Loop: Header=BB2_1549 Depth=2
	v_cmp_eq_u16_sdwa s42, v112, v97 src0_sel:BYTE_0 src1_sel:DWORD
	s_mov_b32 s13, -1
	s_and_saveexec_b32 s41, s42
; %bb.1696:                             ;   in Loop: Header=BB2_1549 Depth=2
	s_xor_b32 s13, exec_lo, -1
; %bb.1697:                             ;   in Loop: Header=BB2_1549 Depth=2
	s_or_b32 exec_lo, exec_lo, s41
	s_and_b32 s13, s13, exec_lo
	s_or_saveexec_b32 s40, s40
	v_mov_b32_e32 v114, 0x7f800001
	s_xor_b32 exec_lo, exec_lo, s40
	s_cbranch_execnz .LBB2_1868
.LBB2_1698:                             ;   in Loop: Header=BB2_1549 Depth=2
	s_or_b32 exec_lo, exec_lo, s40
	s_and_saveexec_b32 s40, s13
	s_cbranch_execz .LBB2_1700
.LBB2_1699:                             ;   in Loop: Header=BB2_1549 Depth=2
	v_and_b32_e32 v114, 3, v112
	v_lshrrev_b16 v116, 2, v112
	v_lshlrev_b32_e32 v118, 24, v112
	v_ffbh_u32_e32 v115, v114
	v_and_b32_e32 v116, 31, v116
	v_min_u32_e32 v115, 32, v115
	v_cmp_eq_u32_e32 vcc_lo, 0, v116
	v_subrev_nc_u32_e32 v117, 29, v115
	v_sub_nc_u32_e32 v115, 30, v115
	v_lshlrev_b32_e32 v117, v117, v112
	v_cndmask_b32_e32 v115, v116, v115, vcc_lo
	v_and_b32_e32 v116, 0x80000000, v118
	v_and_b32_e32 v117, 3, v117
	v_lshl_add_u32 v115, v115, 23, 0x37800000
	v_cndmask_b32_e32 v114, v114, v117, vcc_lo
	v_lshlrev_b32_e32 v114, 21, v114
	v_or3_b32 v114, v116, v115, v114
.LBB2_1700:                             ;   in Loop: Header=BB2_1549 Depth=2
	s_or_b32 exec_lo, exec_lo, s40
	s_waitcnt vmcnt(3) lgkmcnt(3)
	v_cmp_gt_i16_sdwa s40, v103, v96 src0_sel:BYTE_0 src1_sel:DWORD
	s_mov_b32 s13, 0
	s_and_saveexec_b32 s41, s40
	s_xor_b32 s40, exec_lo, s41
	s_cbranch_execz .LBB2_1869
; %bb.1701:                             ;   in Loop: Header=BB2_1549 Depth=2
	v_cmp_eq_u16_sdwa s42, v103, v97 src0_sel:BYTE_0 src1_sel:DWORD
	s_mov_b32 s13, -1
	s_and_saveexec_b32 s41, s42
; %bb.1702:                             ;   in Loop: Header=BB2_1549 Depth=2
	s_xor_b32 s13, exec_lo, -1
; %bb.1703:                             ;   in Loop: Header=BB2_1549 Depth=2
	s_or_b32 exec_lo, exec_lo, s41
	s_and_b32 s13, s13, exec_lo
	s_or_saveexec_b32 s40, s40
	v_mov_b32_e32 v115, 0x7f800001
	s_xor_b32 exec_lo, exec_lo, s40
	s_cbranch_execnz .LBB2_1870
.LBB2_1704:                             ;   in Loop: Header=BB2_1549 Depth=2
	s_or_b32 exec_lo, exec_lo, s40
	s_and_saveexec_b32 s40, s13
	s_cbranch_execz .LBB2_1706
.LBB2_1705:                             ;   in Loop: Header=BB2_1549 Depth=2
	v_and_b32_e32 v115, 3, v103
	v_lshrrev_b16 v117, 2, v103
	v_lshlrev_b32_e32 v119, 24, v103
	v_ffbh_u32_e32 v116, v115
	v_and_b32_e32 v117, 31, v117
	v_min_u32_e32 v116, 32, v116
	v_cmp_eq_u32_e32 vcc_lo, 0, v117
	v_subrev_nc_u32_e32 v118, 29, v116
	v_sub_nc_u32_e32 v116, 30, v116
	v_lshlrev_b32_e32 v118, v118, v103
	v_cndmask_b32_e32 v116, v117, v116, vcc_lo
	v_and_b32_e32 v117, 0x80000000, v119
	v_and_b32_e32 v118, 3, v118
	v_lshl_add_u32 v116, v116, 23, 0x37800000
	v_cndmask_b32_e32 v115, v115, v118, vcc_lo
	v_lshlrev_b32_e32 v115, 21, v115
	v_or3_b32 v115, v117, v116, v115
.LBB2_1706:                             ;   in Loop: Header=BB2_1549 Depth=2
	s_or_b32 exec_lo, exec_lo, s40
	v_max_f32_e32 v115, v115, v115
	v_max_f32_e32 v114, v114, v114
	s_mov_b32 s13, 0
	v_max_f32_e32 v114, v114, v115
.LBB2_1707:                             ;   in Loop: Header=BB2_1549 Depth=2
	s_and_b32 vcc_lo, exec_lo, s13
	s_cbranch_vccz .LBB2_1721
; %bb.1708:                             ;   in Loop: Header=BB2_1549 Depth=2
	v_cmp_gt_i16_sdwa s40, v112, v96 src0_sel:BYTE_0 src1_sel:DWORD
	s_mov_b32 s13, 0
	s_and_saveexec_b32 s41, s40
	s_xor_b32 s40, exec_lo, s41
	s_cbranch_execz .LBB2_1871
; %bb.1709:                             ;   in Loop: Header=BB2_1549 Depth=2
	v_cmp_eq_u16_sdwa s42, v112, v97 src0_sel:BYTE_0 src1_sel:DWORD
	s_mov_b32 s13, -1
	s_and_saveexec_b32 s41, s42
; %bb.1710:                             ;   in Loop: Header=BB2_1549 Depth=2
	s_xor_b32 s13, exec_lo, -1
; %bb.1711:                             ;   in Loop: Header=BB2_1549 Depth=2
	s_or_b32 exec_lo, exec_lo, s41
	s_and_b32 s13, s13, exec_lo
	s_or_saveexec_b32 s40, s40
	v_mov_b32_e32 v114, 0x7f800001
	s_xor_b32 exec_lo, exec_lo, s40
	s_cbranch_execnz .LBB2_1872
.LBB2_1712:                             ;   in Loop: Header=BB2_1549 Depth=2
	s_or_b32 exec_lo, exec_lo, s40
	s_and_saveexec_b32 s40, s13
	s_cbranch_execz .LBB2_1714
.LBB2_1713:                             ;   in Loop: Header=BB2_1549 Depth=2
	v_and_b32_e32 v114, 3, v112
	v_lshrrev_b16 v116, 2, v112
	v_ffbh_u32_e32 v115, v114
	v_and_b32_e32 v116, 31, v116
	v_min_u32_e32 v115, 32, v115
	v_cmp_eq_u32_e32 vcc_lo, 0, v116
	v_subrev_nc_u32_e32 v117, 29, v115
	v_sub_nc_u32_e32 v115, 30, v115
	v_lshlrev_b32_e32 v117, v117, v112
	v_lshlrev_b32_e32 v112, 24, v112
	v_cndmask_b32_e32 v115, v116, v115, vcc_lo
	v_and_b32_e32 v117, 3, v117
	v_and_b32_e32 v112, 0x80000000, v112
	v_lshl_add_u32 v115, v115, 23, 0x37800000
	v_cndmask_b32_e32 v114, v114, v117, vcc_lo
	v_lshlrev_b32_e32 v114, 21, v114
	v_or3_b32 v114, v112, v115, v114
.LBB2_1714:                             ;   in Loop: Header=BB2_1549 Depth=2
	s_or_b32 exec_lo, exec_lo, s40
	s_waitcnt vmcnt(3) lgkmcnt(3)
	v_cmp_gt_i16_sdwa s40, v103, v96 src0_sel:BYTE_0 src1_sel:DWORD
	s_mov_b32 s13, 0
	s_and_saveexec_b32 s41, s40
	s_xor_b32 s40, exec_lo, s41
	s_cbranch_execz .LBB2_1873
; %bb.1715:                             ;   in Loop: Header=BB2_1549 Depth=2
	v_cmp_eq_u16_sdwa s42, v103, v97 src0_sel:BYTE_0 src1_sel:DWORD
	s_mov_b32 s13, -1
	s_and_saveexec_b32 s41, s42
; %bb.1716:                             ;   in Loop: Header=BB2_1549 Depth=2
	s_xor_b32 s13, exec_lo, -1
; %bb.1717:                             ;   in Loop: Header=BB2_1549 Depth=2
	s_or_b32 exec_lo, exec_lo, s41
	s_and_b32 s13, s13, exec_lo
	s_or_saveexec_b32 s40, s40
	v_mov_b32_e32 v112, 0x7f800001
	s_xor_b32 exec_lo, exec_lo, s40
	s_cbranch_execnz .LBB2_1874
.LBB2_1718:                             ;   in Loop: Header=BB2_1549 Depth=2
	s_or_b32 exec_lo, exec_lo, s40
	s_and_saveexec_b32 s40, s13
	s_cbranch_execz .LBB2_1720
.LBB2_1719:                             ;   in Loop: Header=BB2_1549 Depth=2
	v_and_b32_e32 v112, 3, v103
	v_lshrrev_b16 v116, 2, v103
	v_ffbh_u32_e32 v115, v112
	v_and_b32_e32 v116, 31, v116
	v_min_u32_e32 v115, 32, v115
	v_cmp_eq_u32_e32 vcc_lo, 0, v116
	v_subrev_nc_u32_e32 v117, 29, v115
	v_sub_nc_u32_e32 v115, 30, v115
	v_lshlrev_b32_e32 v117, v117, v103
	v_lshlrev_b32_e32 v103, 24, v103
	v_cndmask_b32_e32 v115, v116, v115, vcc_lo
	v_and_b32_e32 v117, 3, v117
	v_and_b32_e32 v103, 0x80000000, v103
	v_lshl_add_u32 v115, v115, 23, 0x37800000
	v_cndmask_b32_e32 v112, v112, v117, vcc_lo
	v_lshlrev_b32_e32 v112, 21, v112
	v_or3_b32 v112, v103, v115, v112
.LBB2_1720:                             ;   in Loop: Header=BB2_1549 Depth=2
	s_or_b32 exec_lo, exec_lo, s40
	v_max_f32_e32 v103, v112, v112
	v_max_f32_e32 v112, v114, v114
	v_min_f32_e32 v114, v112, v103
.LBB2_1721:                             ;   in Loop: Header=BB2_1549 Depth=2
	s_waitcnt vmcnt(3) lgkmcnt(3)
	v_and_b32_e32 v103, 0x7f800000, v114
	v_cmp_ne_u32_e32 vcc_lo, 0x7f800000, v103
	v_mov_b32_e32 v103, 0x80
	s_and_saveexec_b32 s40, vcc_lo
	s_cbranch_execz .LBB2_1729
; %bb.1722:                             ;   in Loop: Header=BB2_1549 Depth=2
	v_mov_b32_e32 v103, 0
	s_mov_b32 s41, exec_lo
	v_cmpx_ne_u32_e32 0, v114
	s_cbranch_execz .LBB2_1728
; %bb.1723:                             ;   in Loop: Header=BB2_1549 Depth=2
	v_bfe_u32 v103, v114, 23, 8
	v_and_b32_e32 v112, 0x7fffff, v114
	v_sub_nc_u32_e32 v115, 0x70, v103
	v_cmp_gt_u32_e32 vcc_lo, 0x71, v103
	v_or_b32_e32 v116, 0x800000, v112
	v_cndmask_b32_e32 v115, 0, v115, vcc_lo
	v_cmp_eq_u32_e32 vcc_lo, 0, v103
	v_add_nc_u32_e32 v103, 0xffffff91, v103
	v_cndmask_b32_e64 v115, v115, 0x6f, vcc_lo
	v_cndmask_b32_e32 v112, v116, v112, vcc_lo
	v_cndmask_b32_e64 v103, v103, 0xffffff92, vcc_lo
	v_lshl_add_u32 v116, 0x200000, v115, -1
	v_lshrrev_b32_e32 v117, v115, v112
	v_lshlrev_b32_e64 v119, v115, 0x100000
	v_add_nc_u32_e32 v115, v115, v103
	v_and_b32_e32 v112, v116, v112
	v_bfe_u32 v118, v117, 21, 1
	v_cmp_eq_u32_e64 s13, v112, v119
	v_add_nc_u32_e32 v116, -1, v118
	v_cndmask_b32_e64 v112, 0, v116, s13
	v_lshrrev_b32_e32 v116, 23, v117
	s_mov_b32 s13, exec_lo
	v_add_nc_u32_e32 v112, v112, v117
	v_xor_b32_e32 v116, 1, v116
	v_and_b32_e32 v103, 0x1fffff, v112
	v_add_nc_u32_e32 v112, v103, v117
                                        ; implicit-def: $vgpr103
	v_cmpx_ne_u32_e64 v115, v116
	s_xor_b32 s13, exec_lo, s13
; %bb.1724:                             ;   in Loop: Header=BB2_1549 Depth=2
	v_cmp_lt_u32_e32 vcc_lo, 0xffffff, v112
	v_sub_nc_u32_e32 v103, v115, v116
	v_cndmask_b32_e64 v115, 0, 1, vcc_lo
	v_add_co_ci_u32_e64 v103, null, 0, v103, vcc_lo
	v_lshrrev_b32_e32 v112, v115, v112
; %bb.1725:                             ;   in Loop: Header=BB2_1549 Depth=2
	s_andn2_saveexec_b32 s13, s13
; %bb.1726:                             ;   in Loop: Header=BB2_1549 Depth=2
	v_bfe_u32 v103, v112, 23, 1
; %bb.1727:                             ;   in Loop: Header=BB2_1549 Depth=2
	s_or_b32 exec_lo, exec_lo, s13
	v_lshrrev_b32_e32 v112, 21, v112
	v_cmp_gt_i32_e32 vcc_lo, 32, v103
	v_min_i32_e32 v115, 31, v103
	v_and_b32_sdwa v114, v114, v97 dst_sel:DWORD dst_unused:UNUSED_PAD src0_sel:BYTE_3 src1_sel:DWORD
	v_cndmask_b32_e32 v112, 3, v112, vcc_lo
	v_lshlrev_b32_e32 v115, 2, v115
	v_and_b32_e32 v116, 3, v112
	v_or_b32_e32 v103, v103, v112
	v_or3_b32 v112, v115, v114, v116
	v_cmp_ne_u32_e32 vcc_lo, 0, v103
	v_cndmask_b32_e32 v103, 0, v112, vcc_lo
.LBB2_1728:                             ;   in Loop: Header=BB2_1549 Depth=2
	s_or_b32 exec_lo, exec_lo, s41
.LBB2_1729:                             ;   in Loop: Header=BB2_1549 Depth=2
	s_or_b32 exec_lo, exec_lo, s40
	v_cmp_gt_i16_sdwa s40, v66, v96 src0_sel:BYTE_0 src1_sel:DWORD
	s_andn2_b32 vcc_lo, exec_lo, s28
	s_mov_b32 s13, -1
                                        ; implicit-def: $vgpr112
	s_cbranch_vccnz .LBB2_1743
; %bb.1730:                             ;   in Loop: Header=BB2_1549 Depth=2
	s_mov_b32 s13, 0
	s_and_saveexec_b32 s41, s40
	s_xor_b32 s40, exec_lo, s41
	s_cbranch_execz .LBB2_1875
; %bb.1731:                             ;   in Loop: Header=BB2_1549 Depth=2
	v_cmp_eq_u16_sdwa s42, v66, v97 src0_sel:BYTE_0 src1_sel:DWORD
	s_mov_b32 s13, -1
	s_and_saveexec_b32 s41, s42
; %bb.1732:                             ;   in Loop: Header=BB2_1549 Depth=2
	s_xor_b32 s13, exec_lo, -1
; %bb.1733:                             ;   in Loop: Header=BB2_1549 Depth=2
	s_or_b32 exec_lo, exec_lo, s41
	s_and_b32 s13, s13, exec_lo
	s_or_saveexec_b32 s40, s40
	v_mov_b32_e32 v112, 0x7f800001
	s_xor_b32 exec_lo, exec_lo, s40
	s_cbranch_execnz .LBB2_1876
.LBB2_1734:                             ;   in Loop: Header=BB2_1549 Depth=2
	s_or_b32 exec_lo, exec_lo, s40
	s_and_saveexec_b32 s40, s13
	s_cbranch_execz .LBB2_1736
.LBB2_1735:                             ;   in Loop: Header=BB2_1549 Depth=2
	v_and_b32_e32 v112, 3, v66
	v_lshrrev_b16 v115, 2, v66
	v_lshlrev_b32_e32 v117, 24, v66
	v_ffbh_u32_e32 v114, v112
	v_and_b32_e32 v115, 31, v115
	v_min_u32_e32 v114, 32, v114
	v_cmp_eq_u32_e32 vcc_lo, 0, v115
	v_subrev_nc_u32_e32 v116, 29, v114
	v_sub_nc_u32_e32 v114, 30, v114
	v_lshlrev_b32_e32 v116, v116, v66
	v_cndmask_b32_e32 v114, v115, v114, vcc_lo
	v_and_b32_e32 v115, 0x80000000, v117
	v_and_b32_e32 v116, 3, v116
	v_lshl_add_u32 v114, v114, 23, 0x37800000
	v_cndmask_b32_e32 v112, v112, v116, vcc_lo
	v_lshlrev_b32_e32 v112, 21, v112
	v_or3_b32 v112, v115, v114, v112
.LBB2_1736:                             ;   in Loop: Header=BB2_1549 Depth=2
	s_or_b32 exec_lo, exec_lo, s40
	s_waitcnt vmcnt(2) lgkmcnt(2)
	v_cmp_gt_i16_sdwa s40, v65, v96 src0_sel:BYTE_0 src1_sel:DWORD
	s_mov_b32 s13, 0
	s_and_saveexec_b32 s41, s40
	s_xor_b32 s40, exec_lo, s41
	s_cbranch_execz .LBB2_1877
; %bb.1737:                             ;   in Loop: Header=BB2_1549 Depth=2
	v_cmp_eq_u16_sdwa s42, v65, v97 src0_sel:BYTE_0 src1_sel:DWORD
	s_mov_b32 s13, -1
	s_and_saveexec_b32 s41, s42
; %bb.1738:                             ;   in Loop: Header=BB2_1549 Depth=2
	s_xor_b32 s13, exec_lo, -1
; %bb.1739:                             ;   in Loop: Header=BB2_1549 Depth=2
	s_or_b32 exec_lo, exec_lo, s41
	s_and_b32 s13, s13, exec_lo
	s_or_saveexec_b32 s40, s40
	v_mov_b32_e32 v114, 0x7f800001
	s_xor_b32 exec_lo, exec_lo, s40
	s_cbranch_execnz .LBB2_1878
.LBB2_1740:                             ;   in Loop: Header=BB2_1549 Depth=2
	s_or_b32 exec_lo, exec_lo, s40
	s_and_saveexec_b32 s40, s13
	s_cbranch_execz .LBB2_1742
.LBB2_1741:                             ;   in Loop: Header=BB2_1549 Depth=2
	v_and_b32_e32 v114, 3, v65
	v_lshrrev_b16 v116, 2, v65
	v_lshlrev_b32_e32 v118, 24, v65
	v_ffbh_u32_e32 v115, v114
	v_and_b32_e32 v116, 31, v116
	v_min_u32_e32 v115, 32, v115
	v_cmp_eq_u32_e32 vcc_lo, 0, v116
	v_subrev_nc_u32_e32 v117, 29, v115
	v_sub_nc_u32_e32 v115, 30, v115
	v_lshlrev_b32_e32 v117, v117, v65
	v_cndmask_b32_e32 v115, v116, v115, vcc_lo
	v_and_b32_e32 v116, 0x80000000, v118
	v_and_b32_e32 v117, 3, v117
	v_lshl_add_u32 v115, v115, 23, 0x37800000
	v_cndmask_b32_e32 v114, v114, v117, vcc_lo
	v_lshlrev_b32_e32 v114, 21, v114
	v_or3_b32 v114, v116, v115, v114
.LBB2_1742:                             ;   in Loop: Header=BB2_1549 Depth=2
	s_or_b32 exec_lo, exec_lo, s40
	v_max_f32_e32 v114, v114, v114
	v_max_f32_e32 v112, v112, v112
	s_mov_b32 s13, 0
	v_max_f32_e32 v112, v112, v114
.LBB2_1743:                             ;   in Loop: Header=BB2_1549 Depth=2
	s_and_b32 vcc_lo, exec_lo, s13
	s_cbranch_vccz .LBB2_1757
; %bb.1744:                             ;   in Loop: Header=BB2_1549 Depth=2
	v_cmp_gt_i16_sdwa s40, v66, v96 src0_sel:BYTE_0 src1_sel:DWORD
	s_mov_b32 s13, 0
	s_and_saveexec_b32 s41, s40
	s_xor_b32 s40, exec_lo, s41
	s_cbranch_execz .LBB2_1879
; %bb.1745:                             ;   in Loop: Header=BB2_1549 Depth=2
	v_cmp_eq_u16_sdwa s42, v66, v97 src0_sel:BYTE_0 src1_sel:DWORD
	s_mov_b32 s13, -1
	s_and_saveexec_b32 s41, s42
; %bb.1746:                             ;   in Loop: Header=BB2_1549 Depth=2
	s_xor_b32 s13, exec_lo, -1
; %bb.1747:                             ;   in Loop: Header=BB2_1549 Depth=2
	s_or_b32 exec_lo, exec_lo, s41
	s_and_b32 s13, s13, exec_lo
	s_or_saveexec_b32 s40, s40
	v_mov_b32_e32 v112, 0x7f800001
	s_xor_b32 exec_lo, exec_lo, s40
	s_cbranch_execnz .LBB2_1880
.LBB2_1748:                             ;   in Loop: Header=BB2_1549 Depth=2
	s_or_b32 exec_lo, exec_lo, s40
	s_and_saveexec_b32 s40, s13
	s_cbranch_execz .LBB2_1750
.LBB2_1749:                             ;   in Loop: Header=BB2_1549 Depth=2
	v_and_b32_e32 v112, 3, v66
	v_lshrrev_b16 v115, 2, v66
	v_ffbh_u32_e32 v114, v112
	v_and_b32_e32 v115, 31, v115
	v_min_u32_e32 v114, 32, v114
	v_cmp_eq_u32_e32 vcc_lo, 0, v115
	v_subrev_nc_u32_e32 v116, 29, v114
	v_sub_nc_u32_e32 v114, 30, v114
	v_lshlrev_b32_e32 v116, v116, v66
	v_lshlrev_b32_e32 v66, 24, v66
	v_cndmask_b32_e32 v114, v115, v114, vcc_lo
	v_and_b32_e32 v116, 3, v116
	v_and_b32_e32 v66, 0x80000000, v66
	v_lshl_add_u32 v114, v114, 23, 0x37800000
	v_cndmask_b32_e32 v112, v112, v116, vcc_lo
	v_lshlrev_b32_e32 v112, 21, v112
	v_or3_b32 v112, v66, v114, v112
.LBB2_1750:                             ;   in Loop: Header=BB2_1549 Depth=2
	s_or_b32 exec_lo, exec_lo, s40
	s_waitcnt vmcnt(2) lgkmcnt(2)
	v_cmp_gt_i16_sdwa s40, v65, v96 src0_sel:BYTE_0 src1_sel:DWORD
	s_mov_b32 s13, 0
	s_and_saveexec_b32 s41, s40
	s_xor_b32 s40, exec_lo, s41
	s_cbranch_execz .LBB2_1881
; %bb.1751:                             ;   in Loop: Header=BB2_1549 Depth=2
	v_cmp_eq_u16_sdwa s42, v65, v97 src0_sel:BYTE_0 src1_sel:DWORD
	s_mov_b32 s13, -1
	s_and_saveexec_b32 s41, s42
; %bb.1752:                             ;   in Loop: Header=BB2_1549 Depth=2
	s_xor_b32 s13, exec_lo, -1
; %bb.1753:                             ;   in Loop: Header=BB2_1549 Depth=2
	s_or_b32 exec_lo, exec_lo, s41
	s_and_b32 s13, s13, exec_lo
	s_or_saveexec_b32 s40, s40
	v_mov_b32_e32 v66, 0x7f800001
	s_xor_b32 exec_lo, exec_lo, s40
	s_cbranch_execnz .LBB2_1882
.LBB2_1754:                             ;   in Loop: Header=BB2_1549 Depth=2
	s_or_b32 exec_lo, exec_lo, s40
	s_and_saveexec_b32 s40, s13
	s_cbranch_execz .LBB2_1756
.LBB2_1755:                             ;   in Loop: Header=BB2_1549 Depth=2
	v_and_b32_e32 v66, 3, v65
	v_lshrrev_b16 v115, 2, v65
	v_ffbh_u32_e32 v114, v66
	v_and_b32_e32 v115, 31, v115
	v_min_u32_e32 v114, 32, v114
	v_cmp_eq_u32_e32 vcc_lo, 0, v115
	v_subrev_nc_u32_e32 v116, 29, v114
	v_sub_nc_u32_e32 v114, 30, v114
	v_lshlrev_b32_e32 v116, v116, v65
	v_lshlrev_b32_e32 v65, 24, v65
	v_cndmask_b32_e32 v114, v115, v114, vcc_lo
	v_and_b32_e32 v116, 3, v116
	v_and_b32_e32 v65, 0x80000000, v65
	v_lshl_add_u32 v114, v114, 23, 0x37800000
	v_cndmask_b32_e32 v66, v66, v116, vcc_lo
	v_lshlrev_b32_e32 v66, 21, v66
	v_or3_b32 v66, v65, v114, v66
.LBB2_1756:                             ;   in Loop: Header=BB2_1549 Depth=2
	s_or_b32 exec_lo, exec_lo, s40
	v_max_f32_e32 v65, v66, v66
	v_max_f32_e32 v66, v112, v112
	v_min_f32_e32 v112, v66, v65
.LBB2_1757:                             ;   in Loop: Header=BB2_1549 Depth=2
	s_waitcnt vmcnt(2) lgkmcnt(2)
	v_and_b32_e32 v65, 0x7f800000, v112
	v_cmp_ne_u32_e32 vcc_lo, 0x7f800000, v65
	v_mov_b32_e32 v65, 0x80
	s_and_saveexec_b32 s40, vcc_lo
	s_cbranch_execz .LBB2_1765
; %bb.1758:                             ;   in Loop: Header=BB2_1549 Depth=2
	v_mov_b32_e32 v65, 0
	s_mov_b32 s41, exec_lo
	v_cmpx_ne_u32_e32 0, v112
	s_cbranch_execz .LBB2_1764
; %bb.1759:                             ;   in Loop: Header=BB2_1549 Depth=2
	v_bfe_u32 v65, v112, 23, 8
	v_and_b32_e32 v66, 0x7fffff, v112
	v_sub_nc_u32_e32 v114, 0x70, v65
	v_cmp_gt_u32_e32 vcc_lo, 0x71, v65
	v_or_b32_e32 v115, 0x800000, v66
	v_cndmask_b32_e32 v114, 0, v114, vcc_lo
	v_cmp_eq_u32_e32 vcc_lo, 0, v65
	v_add_nc_u32_e32 v65, 0xffffff91, v65
	v_cndmask_b32_e64 v114, v114, 0x6f, vcc_lo
	v_cndmask_b32_e32 v66, v115, v66, vcc_lo
	v_cndmask_b32_e64 v65, v65, 0xffffff92, vcc_lo
	v_lshl_add_u32 v115, 0x200000, v114, -1
	v_lshrrev_b32_e32 v116, v114, v66
	v_lshlrev_b32_e64 v118, v114, 0x100000
	v_add_nc_u32_e32 v114, v114, v65
	v_and_b32_e32 v66, v115, v66
	v_bfe_u32 v117, v116, 21, 1
	v_cmp_eq_u32_e64 s13, v66, v118
	v_add_nc_u32_e32 v115, -1, v117
	v_cndmask_b32_e64 v66, 0, v115, s13
	v_lshrrev_b32_e32 v115, 23, v116
	s_mov_b32 s13, exec_lo
	v_add_nc_u32_e32 v66, v66, v116
	v_xor_b32_e32 v115, 1, v115
	v_and_b32_e32 v65, 0x1fffff, v66
	v_add_nc_u32_e32 v66, v65, v116
                                        ; implicit-def: $vgpr65
	v_cmpx_ne_u32_e64 v114, v115
	s_xor_b32 s13, exec_lo, s13
; %bb.1760:                             ;   in Loop: Header=BB2_1549 Depth=2
	v_cmp_lt_u32_e32 vcc_lo, 0xffffff, v66
	v_sub_nc_u32_e32 v65, v114, v115
	v_cndmask_b32_e64 v114, 0, 1, vcc_lo
	v_add_co_ci_u32_e64 v65, null, 0, v65, vcc_lo
	v_lshrrev_b32_e32 v66, v114, v66
; %bb.1761:                             ;   in Loop: Header=BB2_1549 Depth=2
	s_andn2_saveexec_b32 s13, s13
; %bb.1762:                             ;   in Loop: Header=BB2_1549 Depth=2
	v_bfe_u32 v65, v66, 23, 1
; %bb.1763:                             ;   in Loop: Header=BB2_1549 Depth=2
	s_or_b32 exec_lo, exec_lo, s13
	v_lshrrev_b32_e32 v66, 21, v66
	v_cmp_gt_i32_e32 vcc_lo, 32, v65
	v_min_i32_e32 v114, 31, v65
	v_and_b32_sdwa v112, v112, v97 dst_sel:DWORD dst_unused:UNUSED_PAD src0_sel:BYTE_3 src1_sel:DWORD
	v_cndmask_b32_e32 v66, 3, v66, vcc_lo
	v_lshlrev_b32_e32 v114, 2, v114
	v_and_b32_e32 v115, 3, v66
	v_or_b32_e32 v65, v65, v66
	v_or3_b32 v66, v114, v112, v115
	v_cmp_ne_u32_e32 vcc_lo, 0, v65
	v_cndmask_b32_e32 v65, 0, v66, vcc_lo
.LBB2_1764:                             ;   in Loop: Header=BB2_1549 Depth=2
	s_or_b32 exec_lo, exec_lo, s41
.LBB2_1765:                             ;   in Loop: Header=BB2_1549 Depth=2
	s_or_b32 exec_lo, exec_lo, s40
	v_cmp_gt_i16_sdwa s40, v55, v96 src0_sel:BYTE_0 src1_sel:DWORD
	s_andn2_b32 vcc_lo, exec_lo, s28
	s_mov_b32 s13, -1
                                        ; implicit-def: $vgpr66
	s_cbranch_vccnz .LBB2_1779
; %bb.1766:                             ;   in Loop: Header=BB2_1549 Depth=2
	s_mov_b32 s13, 0
	s_and_saveexec_b32 s41, s40
	s_xor_b32 s40, exec_lo, s41
	s_cbranch_execz .LBB2_1883
; %bb.1767:                             ;   in Loop: Header=BB2_1549 Depth=2
	v_cmp_eq_u16_sdwa s42, v55, v97 src0_sel:BYTE_0 src1_sel:DWORD
	s_mov_b32 s13, -1
	s_and_saveexec_b32 s41, s42
; %bb.1768:                             ;   in Loop: Header=BB2_1549 Depth=2
	s_xor_b32 s13, exec_lo, -1
; %bb.1769:                             ;   in Loop: Header=BB2_1549 Depth=2
	s_or_b32 exec_lo, exec_lo, s41
	s_and_b32 s13, s13, exec_lo
	s_or_saveexec_b32 s40, s40
	v_mov_b32_e32 v66, 0x7f800001
	s_xor_b32 exec_lo, exec_lo, s40
	s_cbranch_execnz .LBB2_1884
.LBB2_1770:                             ;   in Loop: Header=BB2_1549 Depth=2
	s_or_b32 exec_lo, exec_lo, s40
	s_and_saveexec_b32 s40, s13
	s_cbranch_execz .LBB2_1772
.LBB2_1771:                             ;   in Loop: Header=BB2_1549 Depth=2
	v_and_b32_e32 v66, 3, v55
	v_lshrrev_b16 v114, 2, v55
	v_lshlrev_b32_e32 v116, 24, v55
	v_ffbh_u32_e32 v112, v66
	v_and_b32_e32 v114, 31, v114
	v_min_u32_e32 v112, 32, v112
	v_cmp_eq_u32_e32 vcc_lo, 0, v114
	v_subrev_nc_u32_e32 v115, 29, v112
	v_sub_nc_u32_e32 v112, 30, v112
	v_lshlrev_b32_e32 v115, v115, v55
	v_cndmask_b32_e32 v112, v114, v112, vcc_lo
	v_and_b32_e32 v114, 0x80000000, v116
	v_and_b32_e32 v115, 3, v115
	v_lshl_add_u32 v112, v112, 23, 0x37800000
	v_cndmask_b32_e32 v66, v66, v115, vcc_lo
	v_lshlrev_b32_e32 v66, 21, v66
	v_or3_b32 v66, v114, v112, v66
.LBB2_1772:                             ;   in Loop: Header=BB2_1549 Depth=2
	s_or_b32 exec_lo, exec_lo, s40
	s_waitcnt vmcnt(1) lgkmcnt(1)
	v_cmp_gt_i16_sdwa s40, v53, v96 src0_sel:BYTE_0 src1_sel:DWORD
	s_mov_b32 s13, 0
	s_and_saveexec_b32 s41, s40
	s_xor_b32 s40, exec_lo, s41
	s_cbranch_execz .LBB2_1885
; %bb.1773:                             ;   in Loop: Header=BB2_1549 Depth=2
	v_cmp_eq_u16_sdwa s42, v53, v97 src0_sel:BYTE_0 src1_sel:DWORD
	s_mov_b32 s13, -1
	s_and_saveexec_b32 s41, s42
; %bb.1774:                             ;   in Loop: Header=BB2_1549 Depth=2
	s_xor_b32 s13, exec_lo, -1
; %bb.1775:                             ;   in Loop: Header=BB2_1549 Depth=2
	s_or_b32 exec_lo, exec_lo, s41
	s_and_b32 s13, s13, exec_lo
	s_or_saveexec_b32 s40, s40
	v_mov_b32_e32 v112, 0x7f800001
	s_xor_b32 exec_lo, exec_lo, s40
	s_cbranch_execnz .LBB2_1886
.LBB2_1776:                             ;   in Loop: Header=BB2_1549 Depth=2
	s_or_b32 exec_lo, exec_lo, s40
	s_and_saveexec_b32 s40, s13
	s_cbranch_execz .LBB2_1778
.LBB2_1777:                             ;   in Loop: Header=BB2_1549 Depth=2
	v_and_b32_e32 v112, 3, v53
	v_lshrrev_b16 v115, 2, v53
	v_lshlrev_b32_e32 v117, 24, v53
	v_ffbh_u32_e32 v114, v112
	v_and_b32_e32 v115, 31, v115
	v_min_u32_e32 v114, 32, v114
	v_cmp_eq_u32_e32 vcc_lo, 0, v115
	v_subrev_nc_u32_e32 v116, 29, v114
	v_sub_nc_u32_e32 v114, 30, v114
	v_lshlrev_b32_e32 v116, v116, v53
	v_cndmask_b32_e32 v114, v115, v114, vcc_lo
	v_and_b32_e32 v115, 0x80000000, v117
	v_and_b32_e32 v116, 3, v116
	v_lshl_add_u32 v114, v114, 23, 0x37800000
	v_cndmask_b32_e32 v112, v112, v116, vcc_lo
	v_lshlrev_b32_e32 v112, 21, v112
	v_or3_b32 v112, v115, v114, v112
.LBB2_1778:                             ;   in Loop: Header=BB2_1549 Depth=2
	s_or_b32 exec_lo, exec_lo, s40
	v_max_f32_e32 v112, v112, v112
	v_max_f32_e32 v66, v66, v66
	s_mov_b32 s13, 0
	v_max_f32_e32 v66, v66, v112
.LBB2_1779:                             ;   in Loop: Header=BB2_1549 Depth=2
	s_and_b32 vcc_lo, exec_lo, s13
	s_cbranch_vccz .LBB2_1793
; %bb.1780:                             ;   in Loop: Header=BB2_1549 Depth=2
	v_cmp_gt_i16_sdwa s40, v55, v96 src0_sel:BYTE_0 src1_sel:DWORD
	s_mov_b32 s13, 0
	s_and_saveexec_b32 s41, s40
	s_xor_b32 s40, exec_lo, s41
	s_cbranch_execz .LBB2_1887
; %bb.1781:                             ;   in Loop: Header=BB2_1549 Depth=2
	v_cmp_eq_u16_sdwa s42, v55, v97 src0_sel:BYTE_0 src1_sel:DWORD
	s_mov_b32 s13, -1
	s_and_saveexec_b32 s41, s42
; %bb.1782:                             ;   in Loop: Header=BB2_1549 Depth=2
	s_xor_b32 s13, exec_lo, -1
; %bb.1783:                             ;   in Loop: Header=BB2_1549 Depth=2
	s_or_b32 exec_lo, exec_lo, s41
	s_and_b32 s13, s13, exec_lo
	s_or_saveexec_b32 s40, s40
	v_mov_b32_e32 v66, 0x7f800001
	s_xor_b32 exec_lo, exec_lo, s40
	s_cbranch_execnz .LBB2_1888
.LBB2_1784:                             ;   in Loop: Header=BB2_1549 Depth=2
	s_or_b32 exec_lo, exec_lo, s40
	s_and_saveexec_b32 s40, s13
	s_cbranch_execz .LBB2_1786
.LBB2_1785:                             ;   in Loop: Header=BB2_1549 Depth=2
	v_and_b32_e32 v66, 3, v55
	v_lshrrev_b16 v114, 2, v55
	v_ffbh_u32_e32 v112, v66
	v_and_b32_e32 v114, 31, v114
	v_min_u32_e32 v112, 32, v112
	v_cmp_eq_u32_e32 vcc_lo, 0, v114
	v_subrev_nc_u32_e32 v115, 29, v112
	v_sub_nc_u32_e32 v112, 30, v112
	v_lshlrev_b32_e32 v115, v115, v55
	v_lshlrev_b32_e32 v55, 24, v55
	v_cndmask_b32_e32 v112, v114, v112, vcc_lo
	v_and_b32_e32 v115, 3, v115
	v_and_b32_e32 v55, 0x80000000, v55
	v_lshl_add_u32 v112, v112, 23, 0x37800000
	v_cndmask_b32_e32 v66, v66, v115, vcc_lo
	v_lshlrev_b32_e32 v66, 21, v66
	v_or3_b32 v66, v55, v112, v66
.LBB2_1786:                             ;   in Loop: Header=BB2_1549 Depth=2
	s_or_b32 exec_lo, exec_lo, s40
	s_waitcnt vmcnt(1) lgkmcnt(1)
	v_cmp_gt_i16_sdwa s40, v53, v96 src0_sel:BYTE_0 src1_sel:DWORD
	s_mov_b32 s13, 0
	s_and_saveexec_b32 s41, s40
	s_xor_b32 s40, exec_lo, s41
	s_cbranch_execz .LBB2_1889
; %bb.1787:                             ;   in Loop: Header=BB2_1549 Depth=2
	v_cmp_eq_u16_sdwa s42, v53, v97 src0_sel:BYTE_0 src1_sel:DWORD
	s_mov_b32 s13, -1
	s_and_saveexec_b32 s41, s42
; %bb.1788:                             ;   in Loop: Header=BB2_1549 Depth=2
	s_xor_b32 s13, exec_lo, -1
; %bb.1789:                             ;   in Loop: Header=BB2_1549 Depth=2
	s_or_b32 exec_lo, exec_lo, s41
	s_and_b32 s13, s13, exec_lo
	s_or_saveexec_b32 s40, s40
	v_mov_b32_e32 v55, 0x7f800001
	s_xor_b32 exec_lo, exec_lo, s40
	s_cbranch_execnz .LBB2_1890
.LBB2_1790:                             ;   in Loop: Header=BB2_1549 Depth=2
	s_or_b32 exec_lo, exec_lo, s40
	s_and_saveexec_b32 s40, s13
	s_cbranch_execz .LBB2_1792
.LBB2_1791:                             ;   in Loop: Header=BB2_1549 Depth=2
	v_and_b32_e32 v55, 3, v53
	v_lshrrev_b16 v114, 2, v53
	v_ffbh_u32_e32 v112, v55
	v_and_b32_e32 v114, 31, v114
	v_min_u32_e32 v112, 32, v112
	v_cmp_eq_u32_e32 vcc_lo, 0, v114
	v_subrev_nc_u32_e32 v115, 29, v112
	v_sub_nc_u32_e32 v112, 30, v112
	v_lshlrev_b32_e32 v115, v115, v53
	v_lshlrev_b32_e32 v53, 24, v53
	v_cndmask_b32_e32 v112, v114, v112, vcc_lo
	v_and_b32_e32 v115, 3, v115
	v_and_b32_e32 v53, 0x80000000, v53
	v_lshl_add_u32 v112, v112, 23, 0x37800000
	v_cndmask_b32_e32 v55, v55, v115, vcc_lo
	v_lshlrev_b32_e32 v55, 21, v55
	v_or3_b32 v55, v53, v112, v55
.LBB2_1792:                             ;   in Loop: Header=BB2_1549 Depth=2
	s_or_b32 exec_lo, exec_lo, s40
	v_max_f32_e32 v53, v55, v55
	v_max_f32_e32 v55, v66, v66
	v_min_f32_e32 v66, v55, v53
.LBB2_1793:                             ;   in Loop: Header=BB2_1549 Depth=2
	s_waitcnt vmcnt(1) lgkmcnt(1)
	v_and_b32_e32 v53, 0x7f800000, v66
	v_cmp_ne_u32_e32 vcc_lo, 0x7f800000, v53
	v_mov_b32_e32 v53, 0x80
	s_and_saveexec_b32 s40, vcc_lo
	s_cbranch_execz .LBB2_1801
; %bb.1794:                             ;   in Loop: Header=BB2_1549 Depth=2
	v_mov_b32_e32 v53, 0
	s_mov_b32 s41, exec_lo
	v_cmpx_ne_u32_e32 0, v66
	s_cbranch_execz .LBB2_1800
; %bb.1795:                             ;   in Loop: Header=BB2_1549 Depth=2
	v_bfe_u32 v53, v66, 23, 8
	v_and_b32_e32 v55, 0x7fffff, v66
	v_sub_nc_u32_e32 v112, 0x70, v53
	v_cmp_gt_u32_e32 vcc_lo, 0x71, v53
	v_or_b32_e32 v114, 0x800000, v55
	v_cndmask_b32_e32 v112, 0, v112, vcc_lo
	v_cmp_eq_u32_e32 vcc_lo, 0, v53
	v_add_nc_u32_e32 v53, 0xffffff91, v53
	v_cndmask_b32_e64 v112, v112, 0x6f, vcc_lo
	v_cndmask_b32_e32 v55, v114, v55, vcc_lo
	v_cndmask_b32_e64 v53, v53, 0xffffff92, vcc_lo
	v_lshl_add_u32 v114, 0x200000, v112, -1
	v_lshrrev_b32_e32 v115, v112, v55
	v_lshlrev_b32_e64 v117, v112, 0x100000
	v_add_nc_u32_e32 v112, v112, v53
	v_and_b32_e32 v55, v114, v55
	v_bfe_u32 v116, v115, 21, 1
	v_cmp_eq_u32_e64 s13, v55, v117
	v_add_nc_u32_e32 v114, -1, v116
	v_cndmask_b32_e64 v55, 0, v114, s13
	v_lshrrev_b32_e32 v114, 23, v115
	s_mov_b32 s13, exec_lo
	v_add_nc_u32_e32 v55, v55, v115
	v_xor_b32_e32 v114, 1, v114
	v_and_b32_e32 v53, 0x1fffff, v55
	v_add_nc_u32_e32 v55, v53, v115
                                        ; implicit-def: $vgpr53
	v_cmpx_ne_u32_e64 v112, v114
	s_xor_b32 s13, exec_lo, s13
; %bb.1796:                             ;   in Loop: Header=BB2_1549 Depth=2
	v_cmp_lt_u32_e32 vcc_lo, 0xffffff, v55
	v_sub_nc_u32_e32 v53, v112, v114
	v_cndmask_b32_e64 v112, 0, 1, vcc_lo
	v_add_co_ci_u32_e64 v53, null, 0, v53, vcc_lo
	v_lshrrev_b32_e32 v55, v112, v55
; %bb.1797:                             ;   in Loop: Header=BB2_1549 Depth=2
	s_andn2_saveexec_b32 s13, s13
; %bb.1798:                             ;   in Loop: Header=BB2_1549 Depth=2
	v_bfe_u32 v53, v55, 23, 1
; %bb.1799:                             ;   in Loop: Header=BB2_1549 Depth=2
	s_or_b32 exec_lo, exec_lo, s13
	v_lshrrev_b32_e32 v55, 21, v55
	v_cmp_gt_i32_e32 vcc_lo, 32, v53
	v_min_i32_e32 v112, 31, v53
	v_and_b32_sdwa v66, v66, v97 dst_sel:DWORD dst_unused:UNUSED_PAD src0_sel:BYTE_3 src1_sel:DWORD
	v_cndmask_b32_e32 v55, 3, v55, vcc_lo
	v_lshlrev_b32_e32 v112, 2, v112
	v_and_b32_e32 v114, 3, v55
	v_or_b32_e32 v53, v53, v55
	v_or3_b32 v55, v112, v66, v114
	v_cmp_ne_u32_e32 vcc_lo, 0, v53
	v_cndmask_b32_e32 v53, 0, v55, vcc_lo
.LBB2_1800:                             ;   in Loop: Header=BB2_1549 Depth=2
	s_or_b32 exec_lo, exec_lo, s41
.LBB2_1801:                             ;   in Loop: Header=BB2_1549 Depth=2
	s_or_b32 exec_lo, exec_lo, s40
	v_cmp_gt_i16_sdwa s40, v51, v96 src0_sel:BYTE_0 src1_sel:DWORD
	s_andn2_b32 vcc_lo, exec_lo, s28
	s_mov_b32 s13, -1
                                        ; implicit-def: $vgpr55
	s_cbranch_vccnz .LBB2_1815
; %bb.1802:                             ;   in Loop: Header=BB2_1549 Depth=2
	s_mov_b32 s13, 0
	s_and_saveexec_b32 s41, s40
	s_xor_b32 s40, exec_lo, s41
	s_cbranch_execz .LBB2_1891
; %bb.1803:                             ;   in Loop: Header=BB2_1549 Depth=2
	v_cmp_eq_u16_sdwa s42, v51, v97 src0_sel:BYTE_0 src1_sel:DWORD
	s_mov_b32 s13, -1
	s_and_saveexec_b32 s41, s42
; %bb.1804:                             ;   in Loop: Header=BB2_1549 Depth=2
	s_xor_b32 s13, exec_lo, -1
; %bb.1805:                             ;   in Loop: Header=BB2_1549 Depth=2
	s_or_b32 exec_lo, exec_lo, s41
	s_and_b32 s13, s13, exec_lo
	s_or_saveexec_b32 s40, s40
	v_mov_b32_e32 v55, 0x7f800001
	s_xor_b32 exec_lo, exec_lo, s40
	s_cbranch_execnz .LBB2_1892
.LBB2_1806:                             ;   in Loop: Header=BB2_1549 Depth=2
	s_or_b32 exec_lo, exec_lo, s40
	s_and_saveexec_b32 s40, s13
	s_cbranch_execz .LBB2_1808
.LBB2_1807:                             ;   in Loop: Header=BB2_1549 Depth=2
	v_and_b32_e32 v55, 3, v51
	v_lshrrev_b16 v112, 2, v51
	v_lshlrev_b32_e32 v115, 24, v51
	v_ffbh_u32_e32 v66, v55
	v_and_b32_e32 v112, 31, v112
	v_min_u32_e32 v66, 32, v66
	v_cmp_eq_u32_e32 vcc_lo, 0, v112
	v_subrev_nc_u32_e32 v114, 29, v66
	v_sub_nc_u32_e32 v66, 30, v66
	v_lshlrev_b32_e32 v114, v114, v51
	v_cndmask_b32_e32 v66, v112, v66, vcc_lo
	v_and_b32_e32 v112, 0x80000000, v115
	v_and_b32_e32 v114, 3, v114
	v_lshl_add_u32 v66, v66, 23, 0x37800000
	v_cndmask_b32_e32 v55, v55, v114, vcc_lo
	v_lshlrev_b32_e32 v55, 21, v55
	v_or3_b32 v55, v112, v66, v55
.LBB2_1808:                             ;   in Loop: Header=BB2_1549 Depth=2
	s_or_b32 exec_lo, exec_lo, s40
	s_waitcnt vmcnt(0) lgkmcnt(0)
	v_cmp_gt_i16_sdwa s40, v50, v96 src0_sel:BYTE_0 src1_sel:DWORD
	s_mov_b32 s13, 0
	s_and_saveexec_b32 s41, s40
	s_xor_b32 s40, exec_lo, s41
	s_cbranch_execz .LBB2_1893
; %bb.1809:                             ;   in Loop: Header=BB2_1549 Depth=2
	v_cmp_eq_u16_sdwa s42, v50, v97 src0_sel:BYTE_0 src1_sel:DWORD
	s_mov_b32 s13, -1
	s_and_saveexec_b32 s41, s42
; %bb.1810:                             ;   in Loop: Header=BB2_1549 Depth=2
	s_xor_b32 s13, exec_lo, -1
; %bb.1811:                             ;   in Loop: Header=BB2_1549 Depth=2
	s_or_b32 exec_lo, exec_lo, s41
	s_and_b32 s13, s13, exec_lo
	s_or_saveexec_b32 s40, s40
	v_mov_b32_e32 v66, 0x7f800001
	s_xor_b32 exec_lo, exec_lo, s40
	s_cbranch_execnz .LBB2_1894
.LBB2_1812:                             ;   in Loop: Header=BB2_1549 Depth=2
	s_or_b32 exec_lo, exec_lo, s40
	s_and_saveexec_b32 s40, s13
	s_cbranch_execz .LBB2_1814
.LBB2_1813:                             ;   in Loop: Header=BB2_1549 Depth=2
	v_and_b32_e32 v66, 3, v50
	v_lshrrev_b16 v114, 2, v50
	v_lshlrev_b32_e32 v116, 24, v50
	v_ffbh_u32_e32 v112, v66
	v_and_b32_e32 v114, 31, v114
	v_min_u32_e32 v112, 32, v112
	v_cmp_eq_u32_e32 vcc_lo, 0, v114
	v_subrev_nc_u32_e32 v115, 29, v112
	v_sub_nc_u32_e32 v112, 30, v112
	v_lshlrev_b32_e32 v115, v115, v50
	v_cndmask_b32_e32 v112, v114, v112, vcc_lo
	v_and_b32_e32 v114, 0x80000000, v116
	v_and_b32_e32 v115, 3, v115
	v_lshl_add_u32 v112, v112, 23, 0x37800000
	v_cndmask_b32_e32 v66, v66, v115, vcc_lo
	v_lshlrev_b32_e32 v66, 21, v66
	v_or3_b32 v66, v114, v112, v66
.LBB2_1814:                             ;   in Loop: Header=BB2_1549 Depth=2
	s_or_b32 exec_lo, exec_lo, s40
	v_max_f32_e32 v66, v66, v66
	v_max_f32_e32 v55, v55, v55
	s_mov_b32 s13, 0
	v_max_f32_e32 v55, v55, v66
.LBB2_1815:                             ;   in Loop: Header=BB2_1549 Depth=2
	s_and_b32 vcc_lo, exec_lo, s13
	s_cbranch_vccz .LBB2_1829
; %bb.1816:                             ;   in Loop: Header=BB2_1549 Depth=2
	v_cmp_gt_i16_sdwa s40, v51, v96 src0_sel:BYTE_0 src1_sel:DWORD
	s_mov_b32 s13, 0
	s_and_saveexec_b32 s41, s40
	s_xor_b32 s40, exec_lo, s41
	s_cbranch_execz .LBB2_1895
; %bb.1817:                             ;   in Loop: Header=BB2_1549 Depth=2
	v_cmp_eq_u16_sdwa s42, v51, v97 src0_sel:BYTE_0 src1_sel:DWORD
	s_mov_b32 s13, -1
	s_and_saveexec_b32 s41, s42
; %bb.1818:                             ;   in Loop: Header=BB2_1549 Depth=2
	s_xor_b32 s13, exec_lo, -1
; %bb.1819:                             ;   in Loop: Header=BB2_1549 Depth=2
	s_or_b32 exec_lo, exec_lo, s41
	s_and_b32 s13, s13, exec_lo
	s_or_saveexec_b32 s40, s40
	v_mov_b32_e32 v55, 0x7f800001
	s_xor_b32 exec_lo, exec_lo, s40
	s_cbranch_execnz .LBB2_1896
.LBB2_1820:                             ;   in Loop: Header=BB2_1549 Depth=2
	s_or_b32 exec_lo, exec_lo, s40
	s_and_saveexec_b32 s40, s13
	s_cbranch_execz .LBB2_1822
.LBB2_1821:                             ;   in Loop: Header=BB2_1549 Depth=2
	v_and_b32_e32 v55, 3, v51
	v_lshrrev_b16 v112, 2, v51
	v_ffbh_u32_e32 v66, v55
	v_and_b32_e32 v112, 31, v112
	v_min_u32_e32 v66, 32, v66
	v_cmp_eq_u32_e32 vcc_lo, 0, v112
	v_subrev_nc_u32_e32 v114, 29, v66
	v_sub_nc_u32_e32 v66, 30, v66
	v_lshlrev_b32_e32 v114, v114, v51
	v_lshlrev_b32_e32 v51, 24, v51
	v_cndmask_b32_e32 v66, v112, v66, vcc_lo
	v_and_b32_e32 v114, 3, v114
	v_and_b32_e32 v51, 0x80000000, v51
	v_lshl_add_u32 v66, v66, 23, 0x37800000
	v_cndmask_b32_e32 v55, v55, v114, vcc_lo
	v_lshlrev_b32_e32 v55, 21, v55
	v_or3_b32 v55, v51, v66, v55
.LBB2_1822:                             ;   in Loop: Header=BB2_1549 Depth=2
	s_or_b32 exec_lo, exec_lo, s40
	s_waitcnt vmcnt(0) lgkmcnt(0)
	v_cmp_gt_i16_sdwa s40, v50, v96 src0_sel:BYTE_0 src1_sel:DWORD
	s_mov_b32 s13, 0
	s_and_saveexec_b32 s41, s40
	s_xor_b32 s40, exec_lo, s41
	s_cbranch_execz .LBB2_1897
; %bb.1823:                             ;   in Loop: Header=BB2_1549 Depth=2
	v_cmp_eq_u16_sdwa s42, v50, v97 src0_sel:BYTE_0 src1_sel:DWORD
	s_mov_b32 s13, -1
	s_and_saveexec_b32 s41, s42
; %bb.1824:                             ;   in Loop: Header=BB2_1549 Depth=2
	s_xor_b32 s13, exec_lo, -1
; %bb.1825:                             ;   in Loop: Header=BB2_1549 Depth=2
	s_or_b32 exec_lo, exec_lo, s41
	s_and_b32 s13, s13, exec_lo
	s_or_saveexec_b32 s40, s40
	v_mov_b32_e32 v51, 0x7f800001
	s_xor_b32 exec_lo, exec_lo, s40
	s_cbranch_execnz .LBB2_1898
.LBB2_1826:                             ;   in Loop: Header=BB2_1549 Depth=2
	s_or_b32 exec_lo, exec_lo, s40
	s_and_saveexec_b32 s40, s13
	s_cbranch_execz .LBB2_1828
.LBB2_1827:                             ;   in Loop: Header=BB2_1549 Depth=2
	v_and_b32_e32 v51, 3, v50
	v_lshrrev_b16 v112, 2, v50
	v_ffbh_u32_e32 v66, v51
	v_and_b32_e32 v112, 31, v112
	v_min_u32_e32 v66, 32, v66
	v_cmp_eq_u32_e32 vcc_lo, 0, v112
	v_subrev_nc_u32_e32 v114, 29, v66
	v_sub_nc_u32_e32 v66, 30, v66
	v_lshlrev_b32_e32 v114, v114, v50
	v_lshlrev_b32_e32 v50, 24, v50
	v_cndmask_b32_e32 v66, v112, v66, vcc_lo
	v_and_b32_e32 v114, 3, v114
	v_and_b32_e32 v50, 0x80000000, v50
	v_lshl_add_u32 v66, v66, 23, 0x37800000
	v_cndmask_b32_e32 v51, v51, v114, vcc_lo
	v_lshlrev_b32_e32 v51, 21, v51
	v_or3_b32 v51, v50, v66, v51
.LBB2_1828:                             ;   in Loop: Header=BB2_1549 Depth=2
	s_or_b32 exec_lo, exec_lo, s40
	v_max_f32_e32 v50, v51, v51
	v_max_f32_e32 v51, v55, v55
	v_min_f32_e32 v55, v51, v50
.LBB2_1829:                             ;   in Loop: Header=BB2_1549 Depth=2
	s_waitcnt vmcnt(0) lgkmcnt(0)
	v_and_b32_e32 v50, 0x7f800000, v55
	v_cmp_ne_u32_e32 vcc_lo, 0x7f800000, v50
	v_mov_b32_e32 v50, 0x80
	s_and_saveexec_b32 s40, vcc_lo
	s_cbranch_execz .LBB2_1548
; %bb.1830:                             ;   in Loop: Header=BB2_1549 Depth=2
	v_mov_b32_e32 v50, 0
	s_mov_b32 s41, exec_lo
	v_cmpx_ne_u32_e32 0, v55
	s_cbranch_execz .LBB2_1547
; %bb.1831:                             ;   in Loop: Header=BB2_1549 Depth=2
	v_bfe_u32 v50, v55, 23, 8
	v_and_b32_e32 v51, 0x7fffff, v55
	v_sub_nc_u32_e32 v66, 0x70, v50
	v_cmp_gt_u32_e32 vcc_lo, 0x71, v50
	v_or_b32_e32 v112, 0x800000, v51
	v_cndmask_b32_e32 v66, 0, v66, vcc_lo
	v_cmp_eq_u32_e32 vcc_lo, 0, v50
	v_add_nc_u32_e32 v50, 0xffffff91, v50
	v_cndmask_b32_e64 v66, v66, 0x6f, vcc_lo
	v_cndmask_b32_e32 v51, v112, v51, vcc_lo
	v_cndmask_b32_e64 v50, v50, 0xffffff92, vcc_lo
	v_lshl_add_u32 v112, 0x200000, v66, -1
	v_lshrrev_b32_e32 v114, v66, v51
	v_lshlrev_b32_e64 v116, v66, 0x100000
	v_add_nc_u32_e32 v66, v66, v50
	v_and_b32_e32 v51, v112, v51
	v_bfe_u32 v115, v114, 21, 1
	v_cmp_eq_u32_e64 s13, v51, v116
	v_add_nc_u32_e32 v112, -1, v115
	v_cndmask_b32_e64 v51, 0, v112, s13
	v_lshrrev_b32_e32 v112, 23, v114
	s_mov_b32 s13, exec_lo
	v_add_nc_u32_e32 v51, v51, v114
	v_xor_b32_e32 v112, 1, v112
	v_and_b32_e32 v50, 0x1fffff, v51
	v_add_nc_u32_e32 v51, v50, v114
                                        ; implicit-def: $vgpr50
	v_cmpx_ne_u32_e64 v66, v112
	s_xor_b32 s13, exec_lo, s13
; %bb.1832:                             ;   in Loop: Header=BB2_1549 Depth=2
	v_cmp_lt_u32_e32 vcc_lo, 0xffffff, v51
	v_sub_nc_u32_e32 v50, v66, v112
	v_cndmask_b32_e64 v66, 0, 1, vcc_lo
	v_add_co_ci_u32_e64 v50, null, 0, v50, vcc_lo
	v_lshrrev_b32_e32 v51, v66, v51
; %bb.1833:                             ;   in Loop: Header=BB2_1549 Depth=2
	s_andn2_saveexec_b32 s13, s13
	s_cbranch_execz .LBB2_1546
; %bb.1834:                             ;   in Loop: Header=BB2_1549 Depth=2
	v_bfe_u32 v50, v51, 23, 1
	s_branch .LBB2_1546
.LBB2_1835:                             ;   in Loop: Header=BB2_1549 Depth=2
	s_or_saveexec_b32 s40, s40
	v_mov_b32_e32 v118, 0x7f800001
	s_xor_b32 exec_lo, exec_lo, s40
	s_cbranch_execz .LBB2_1554
.LBB2_1836:                             ;   in Loop: Header=BB2_1549 Depth=2
	v_cmp_ne_u16_sdwa s41, v117, v36 src0_sel:BYTE_0 src1_sel:DWORD
	v_mov_b32_e32 v118, 0
	s_andn2_b32 s13, s13, exec_lo
	s_and_b32 s41, s41, exec_lo
	s_or_b32 s13, s13, s41
	s_or_b32 exec_lo, exec_lo, s40
	s_and_saveexec_b32 s40, s13
	s_cbranch_execnz .LBB2_1555
	s_branch .LBB2_1556
.LBB2_1837:                             ;   in Loop: Header=BB2_1549 Depth=2
	s_or_saveexec_b32 s40, s40
	v_mov_b32_e32 v119, 0x7f800001
	s_xor_b32 exec_lo, exec_lo, s40
	s_cbranch_execz .LBB2_1560
.LBB2_1838:                             ;   in Loop: Header=BB2_1549 Depth=2
	v_cmp_ne_u16_sdwa s41, v52, v36 src0_sel:BYTE_0 src1_sel:DWORD
	v_mov_b32_e32 v119, 0
	s_andn2_b32 s13, s13, exec_lo
	s_and_b32 s41, s41, exec_lo
	s_or_b32 s13, s13, s41
	s_or_b32 exec_lo, exec_lo, s40
	s_and_saveexec_b32 s40, s13
	s_cbranch_execnz .LBB2_1561
	s_branch .LBB2_1562
.LBB2_1839:                             ;   in Loop: Header=BB2_1549 Depth=2
	s_or_saveexec_b32 s40, s40
	v_mov_b32_e32 v118, 0x7f800001
	s_xor_b32 exec_lo, exec_lo, s40
	s_cbranch_execz .LBB2_1568
.LBB2_1840:                             ;   in Loop: Header=BB2_1549 Depth=2
	v_cmp_ne_u16_sdwa s41, v117, v36 src0_sel:BYTE_0 src1_sel:DWORD
	v_mov_b32_e32 v118, 0
	s_andn2_b32 s13, s13, exec_lo
	s_and_b32 s41, s41, exec_lo
	s_or_b32 s13, s13, s41
	s_or_b32 exec_lo, exec_lo, s40
	s_and_saveexec_b32 s40, s13
	s_cbranch_execnz .LBB2_1569
	s_branch .LBB2_1570
.LBB2_1841:                             ;   in Loop: Header=BB2_1549 Depth=2
	s_or_saveexec_b32 s40, s40
	v_mov_b32_e32 v117, 0x7f800001
	s_xor_b32 exec_lo, exec_lo, s40
	s_cbranch_execz .LBB2_1574
.LBB2_1842:                             ;   in Loop: Header=BB2_1549 Depth=2
	v_cmp_ne_u16_sdwa s41, v52, v36 src0_sel:BYTE_0 src1_sel:DWORD
	v_mov_b32_e32 v117, 0
	s_andn2_b32 s13, s13, exec_lo
	s_and_b32 s41, s41, exec_lo
	s_or_b32 s13, s13, s41
	s_or_b32 exec_lo, exec_lo, s40
	s_and_saveexec_b32 s40, s13
	s_cbranch_execnz .LBB2_1575
	s_branch .LBB2_1576
.LBB2_1843:                             ;   in Loop: Header=BB2_1549 Depth=2
	s_or_saveexec_b32 s40, s40
	v_mov_b32_e32 v117, 0x7f800001
	s_xor_b32 exec_lo, exec_lo, s40
	s_cbranch_execz .LBB2_1590
.LBB2_1844:                             ;   in Loop: Header=BB2_1549 Depth=2
	v_cmp_ne_u16_sdwa s41, v116, v36 src0_sel:BYTE_0 src1_sel:DWORD
	v_mov_b32_e32 v117, 0
	s_andn2_b32 s13, s13, exec_lo
	s_and_b32 s41, s41, exec_lo
	s_or_b32 s13, s13, s41
	s_or_b32 exec_lo, exec_lo, s40
	s_and_saveexec_b32 s40, s13
	s_cbranch_execnz .LBB2_1591
	s_branch .LBB2_1592
.LBB2_1845:                             ;   in Loop: Header=BB2_1549 Depth=2
	s_or_saveexec_b32 s40, s40
	v_mov_b32_e32 v118, 0x7f800001
	s_xor_b32 exec_lo, exec_lo, s40
	s_cbranch_execz .LBB2_1596
.LBB2_1846:                             ;   in Loop: Header=BB2_1549 Depth=2
	v_cmp_ne_u16_sdwa s41, v64, v36 src0_sel:BYTE_0 src1_sel:DWORD
	v_mov_b32_e32 v118, 0
	s_andn2_b32 s13, s13, exec_lo
	s_and_b32 s41, s41, exec_lo
	s_or_b32 s13, s13, s41
	s_or_b32 exec_lo, exec_lo, s40
	s_and_saveexec_b32 s40, s13
	s_cbranch_execnz .LBB2_1597
	s_branch .LBB2_1598
.LBB2_1847:                             ;   in Loop: Header=BB2_1549 Depth=2
	s_or_saveexec_b32 s40, s40
	v_mov_b32_e32 v117, 0x7f800001
	s_xor_b32 exec_lo, exec_lo, s40
	s_cbranch_execz .LBB2_1604
.LBB2_1848:                             ;   in Loop: Header=BB2_1549 Depth=2
	v_cmp_ne_u16_sdwa s41, v116, v36 src0_sel:BYTE_0 src1_sel:DWORD
	v_mov_b32_e32 v117, 0
	s_andn2_b32 s13, s13, exec_lo
	s_and_b32 s41, s41, exec_lo
	s_or_b32 s13, s13, s41
	s_or_b32 exec_lo, exec_lo, s40
	s_and_saveexec_b32 s40, s13
	s_cbranch_execnz .LBB2_1605
	s_branch .LBB2_1606
.LBB2_1849:                             ;   in Loop: Header=BB2_1549 Depth=2
	s_or_saveexec_b32 s40, s40
	v_mov_b32_e32 v116, 0x7f800001
	s_xor_b32 exec_lo, exec_lo, s40
	s_cbranch_execz .LBB2_1610
.LBB2_1850:                             ;   in Loop: Header=BB2_1549 Depth=2
	v_cmp_ne_u16_sdwa s41, v64, v36 src0_sel:BYTE_0 src1_sel:DWORD
	v_mov_b32_e32 v116, 0
	s_andn2_b32 s13, s13, exec_lo
	s_and_b32 s41, s41, exec_lo
	s_or_b32 s13, s13, s41
	s_or_b32 exec_lo, exec_lo, s40
	s_and_saveexec_b32 s40, s13
	s_cbranch_execnz .LBB2_1611
	s_branch .LBB2_1612
.LBB2_1851:                             ;   in Loop: Header=BB2_1549 Depth=2
	s_or_saveexec_b32 s40, s40
	v_mov_b32_e32 v116, 0x7f800001
	s_xor_b32 exec_lo, exec_lo, s40
	s_cbranch_execz .LBB2_1626
.LBB2_1852:                             ;   in Loop: Header=BB2_1549 Depth=2
	v_cmp_ne_u16_sdwa s41, v115, v36 src0_sel:BYTE_0 src1_sel:DWORD
	v_mov_b32_e32 v116, 0
	s_andn2_b32 s13, s13, exec_lo
	s_and_b32 s41, s41, exec_lo
	s_or_b32 s13, s13, s41
	s_or_b32 exec_lo, exec_lo, s40
	s_and_saveexec_b32 s40, s13
	s_cbranch_execnz .LBB2_1627
	s_branch .LBB2_1628
.LBB2_1853:                             ;   in Loop: Header=BB2_1549 Depth=2
	s_or_saveexec_b32 s40, s40
	v_mov_b32_e32 v117, 0x7f800001
	s_xor_b32 exec_lo, exec_lo, s40
	s_cbranch_execz .LBB2_1632
.LBB2_1854:                             ;   in Loop: Header=BB2_1549 Depth=2
	v_cmp_ne_u16_sdwa s41, v67, v36 src0_sel:BYTE_0 src1_sel:DWORD
	v_mov_b32_e32 v117, 0
	s_andn2_b32 s13, s13, exec_lo
	s_and_b32 s41, s41, exec_lo
	s_or_b32 s13, s13, s41
	s_or_b32 exec_lo, exec_lo, s40
	s_and_saveexec_b32 s40, s13
	s_cbranch_execnz .LBB2_1633
	s_branch .LBB2_1634
.LBB2_1855:                             ;   in Loop: Header=BB2_1549 Depth=2
	s_or_saveexec_b32 s40, s40
	v_mov_b32_e32 v116, 0x7f800001
	s_xor_b32 exec_lo, exec_lo, s40
	s_cbranch_execz .LBB2_1640
.LBB2_1856:                             ;   in Loop: Header=BB2_1549 Depth=2
	v_cmp_ne_u16_sdwa s41, v115, v36 src0_sel:BYTE_0 src1_sel:DWORD
	v_mov_b32_e32 v116, 0
	s_andn2_b32 s13, s13, exec_lo
	s_and_b32 s41, s41, exec_lo
	s_or_b32 s13, s13, s41
	s_or_b32 exec_lo, exec_lo, s40
	s_and_saveexec_b32 s40, s13
	s_cbranch_execnz .LBB2_1641
	s_branch .LBB2_1642
.LBB2_1857:                             ;   in Loop: Header=BB2_1549 Depth=2
	s_or_saveexec_b32 s40, s40
	v_mov_b32_e32 v115, 0x7f800001
	s_xor_b32 exec_lo, exec_lo, s40
	s_cbranch_execz .LBB2_1646
.LBB2_1858:                             ;   in Loop: Header=BB2_1549 Depth=2
	v_cmp_ne_u16_sdwa s41, v67, v36 src0_sel:BYTE_0 src1_sel:DWORD
	v_mov_b32_e32 v115, 0
	s_andn2_b32 s13, s13, exec_lo
	s_and_b32 s41, s41, exec_lo
	s_or_b32 s13, s13, s41
	s_or_b32 exec_lo, exec_lo, s40
	s_and_saveexec_b32 s40, s13
	s_cbranch_execnz .LBB2_1647
	s_branch .LBB2_1648
.LBB2_1859:                             ;   in Loop: Header=BB2_1549 Depth=2
	s_or_saveexec_b32 s40, s40
	v_mov_b32_e32 v115, 0x7f800001
	s_xor_b32 exec_lo, exec_lo, s40
	s_cbranch_execz .LBB2_1662
.LBB2_1860:                             ;   in Loop: Header=BB2_1549 Depth=2
	v_cmp_ne_u16_sdwa s41, v114, v36 src0_sel:BYTE_0 src1_sel:DWORD
	v_mov_b32_e32 v115, 0
	s_andn2_b32 s13, s13, exec_lo
	s_and_b32 s41, s41, exec_lo
	s_or_b32 s13, s13, s41
	s_or_b32 exec_lo, exec_lo, s40
	s_and_saveexec_b32 s40, s13
	s_cbranch_execnz .LBB2_1663
	s_branch .LBB2_1664
.LBB2_1861:                             ;   in Loop: Header=BB2_1549 Depth=2
	s_or_saveexec_b32 s40, s40
	v_mov_b32_e32 v116, 0x7f800001
	s_xor_b32 exec_lo, exec_lo, s40
	s_cbranch_execz .LBB2_1668
.LBB2_1862:                             ;   in Loop: Header=BB2_1549 Depth=2
	v_cmp_ne_u16_sdwa s41, v113, v36 src0_sel:BYTE_0 src1_sel:DWORD
	v_mov_b32_e32 v116, 0
	s_andn2_b32 s13, s13, exec_lo
	s_and_b32 s41, s41, exec_lo
	s_or_b32 s13, s13, s41
	s_or_b32 exec_lo, exec_lo, s40
	s_and_saveexec_b32 s40, s13
	s_cbranch_execnz .LBB2_1669
	s_branch .LBB2_1670
.LBB2_1863:                             ;   in Loop: Header=BB2_1549 Depth=2
	s_or_saveexec_b32 s40, s40
	v_mov_b32_e32 v115, 0x7f800001
	s_xor_b32 exec_lo, exec_lo, s40
	s_cbranch_execz .LBB2_1676
.LBB2_1864:                             ;   in Loop: Header=BB2_1549 Depth=2
	v_cmp_ne_u16_sdwa s41, v114, v36 src0_sel:BYTE_0 src1_sel:DWORD
	v_mov_b32_e32 v115, 0
	s_andn2_b32 s13, s13, exec_lo
	s_and_b32 s41, s41, exec_lo
	s_or_b32 s13, s13, s41
	s_or_b32 exec_lo, exec_lo, s40
	s_and_saveexec_b32 s40, s13
	s_cbranch_execnz .LBB2_1677
	s_branch .LBB2_1678
.LBB2_1865:                             ;   in Loop: Header=BB2_1549 Depth=2
	s_or_saveexec_b32 s40, s40
	v_mov_b32_e32 v114, 0x7f800001
	s_xor_b32 exec_lo, exec_lo, s40
	s_cbranch_execz .LBB2_1682
.LBB2_1866:                             ;   in Loop: Header=BB2_1549 Depth=2
	v_cmp_ne_u16_sdwa s41, v113, v36 src0_sel:BYTE_0 src1_sel:DWORD
	v_mov_b32_e32 v114, 0
	s_andn2_b32 s13, s13, exec_lo
	s_and_b32 s41, s41, exec_lo
	s_or_b32 s13, s13, s41
	s_or_b32 exec_lo, exec_lo, s40
	s_and_saveexec_b32 s40, s13
	s_cbranch_execnz .LBB2_1683
	s_branch .LBB2_1684
.LBB2_1867:                             ;   in Loop: Header=BB2_1549 Depth=2
	s_or_saveexec_b32 s40, s40
	v_mov_b32_e32 v114, 0x7f800001
	s_xor_b32 exec_lo, exec_lo, s40
	s_cbranch_execz .LBB2_1698
.LBB2_1868:                             ;   in Loop: Header=BB2_1549 Depth=2
	v_cmp_ne_u16_sdwa s41, v112, v36 src0_sel:BYTE_0 src1_sel:DWORD
	v_mov_b32_e32 v114, 0
	s_andn2_b32 s13, s13, exec_lo
	s_and_b32 s41, s41, exec_lo
	s_or_b32 s13, s13, s41
	s_or_b32 exec_lo, exec_lo, s40
	s_and_saveexec_b32 s40, s13
	s_cbranch_execnz .LBB2_1699
	s_branch .LBB2_1700
.LBB2_1869:                             ;   in Loop: Header=BB2_1549 Depth=2
	s_or_saveexec_b32 s40, s40
	v_mov_b32_e32 v115, 0x7f800001
	s_xor_b32 exec_lo, exec_lo, s40
	s_cbranch_execz .LBB2_1704
.LBB2_1870:                             ;   in Loop: Header=BB2_1549 Depth=2
	v_cmp_ne_u16_sdwa s41, v103, v36 src0_sel:BYTE_0 src1_sel:DWORD
	v_mov_b32_e32 v115, 0
	s_andn2_b32 s13, s13, exec_lo
	s_and_b32 s41, s41, exec_lo
	s_or_b32 s13, s13, s41
	s_or_b32 exec_lo, exec_lo, s40
	s_and_saveexec_b32 s40, s13
	s_cbranch_execnz .LBB2_1705
	s_branch .LBB2_1706
.LBB2_1871:                             ;   in Loop: Header=BB2_1549 Depth=2
	s_or_saveexec_b32 s40, s40
	v_mov_b32_e32 v114, 0x7f800001
	s_xor_b32 exec_lo, exec_lo, s40
	s_cbranch_execz .LBB2_1712
.LBB2_1872:                             ;   in Loop: Header=BB2_1549 Depth=2
	v_cmp_ne_u16_sdwa s41, v112, v36 src0_sel:BYTE_0 src1_sel:DWORD
	v_mov_b32_e32 v114, 0
	s_andn2_b32 s13, s13, exec_lo
	s_and_b32 s41, s41, exec_lo
	s_or_b32 s13, s13, s41
	s_or_b32 exec_lo, exec_lo, s40
	s_and_saveexec_b32 s40, s13
	s_cbranch_execnz .LBB2_1713
	s_branch .LBB2_1714
.LBB2_1873:                             ;   in Loop: Header=BB2_1549 Depth=2
	s_or_saveexec_b32 s40, s40
	v_mov_b32_e32 v112, 0x7f800001
	s_xor_b32 exec_lo, exec_lo, s40
	s_cbranch_execz .LBB2_1718
.LBB2_1874:                             ;   in Loop: Header=BB2_1549 Depth=2
	v_cmp_ne_u16_sdwa s41, v103, v36 src0_sel:BYTE_0 src1_sel:DWORD
	v_mov_b32_e32 v112, 0
	s_andn2_b32 s13, s13, exec_lo
	s_and_b32 s41, s41, exec_lo
	s_or_b32 s13, s13, s41
	s_or_b32 exec_lo, exec_lo, s40
	s_and_saveexec_b32 s40, s13
	s_cbranch_execnz .LBB2_1719
	s_branch .LBB2_1720
.LBB2_1875:                             ;   in Loop: Header=BB2_1549 Depth=2
	s_or_saveexec_b32 s40, s40
	v_mov_b32_e32 v112, 0x7f800001
	s_xor_b32 exec_lo, exec_lo, s40
	s_cbranch_execz .LBB2_1734
.LBB2_1876:                             ;   in Loop: Header=BB2_1549 Depth=2
	v_cmp_ne_u16_sdwa s41, v66, v36 src0_sel:BYTE_0 src1_sel:DWORD
	v_mov_b32_e32 v112, 0
	s_andn2_b32 s13, s13, exec_lo
	s_and_b32 s41, s41, exec_lo
	s_or_b32 s13, s13, s41
	s_or_b32 exec_lo, exec_lo, s40
	s_and_saveexec_b32 s40, s13
	s_cbranch_execnz .LBB2_1735
	s_branch .LBB2_1736
.LBB2_1877:                             ;   in Loop: Header=BB2_1549 Depth=2
	s_or_saveexec_b32 s40, s40
	v_mov_b32_e32 v114, 0x7f800001
	s_xor_b32 exec_lo, exec_lo, s40
	s_cbranch_execz .LBB2_1740
.LBB2_1878:                             ;   in Loop: Header=BB2_1549 Depth=2
	v_cmp_ne_u16_sdwa s41, v65, v36 src0_sel:BYTE_0 src1_sel:DWORD
	v_mov_b32_e32 v114, 0
	s_andn2_b32 s13, s13, exec_lo
	s_and_b32 s41, s41, exec_lo
	s_or_b32 s13, s13, s41
	s_or_b32 exec_lo, exec_lo, s40
	s_and_saveexec_b32 s40, s13
	s_cbranch_execnz .LBB2_1741
	s_branch .LBB2_1742
.LBB2_1879:                             ;   in Loop: Header=BB2_1549 Depth=2
	s_or_saveexec_b32 s40, s40
	v_mov_b32_e32 v112, 0x7f800001
	s_xor_b32 exec_lo, exec_lo, s40
	s_cbranch_execz .LBB2_1748
.LBB2_1880:                             ;   in Loop: Header=BB2_1549 Depth=2
	v_cmp_ne_u16_sdwa s41, v66, v36 src0_sel:BYTE_0 src1_sel:DWORD
	v_mov_b32_e32 v112, 0
	s_andn2_b32 s13, s13, exec_lo
	s_and_b32 s41, s41, exec_lo
	s_or_b32 s13, s13, s41
	s_or_b32 exec_lo, exec_lo, s40
	s_and_saveexec_b32 s40, s13
	s_cbranch_execnz .LBB2_1749
	s_branch .LBB2_1750
.LBB2_1881:                             ;   in Loop: Header=BB2_1549 Depth=2
	s_or_saveexec_b32 s40, s40
	v_mov_b32_e32 v66, 0x7f800001
	s_xor_b32 exec_lo, exec_lo, s40
	s_cbranch_execz .LBB2_1754
.LBB2_1882:                             ;   in Loop: Header=BB2_1549 Depth=2
	v_cmp_ne_u16_sdwa s41, v65, v36 src0_sel:BYTE_0 src1_sel:DWORD
	v_mov_b32_e32 v66, 0
	s_andn2_b32 s13, s13, exec_lo
	s_and_b32 s41, s41, exec_lo
	s_or_b32 s13, s13, s41
	s_or_b32 exec_lo, exec_lo, s40
	s_and_saveexec_b32 s40, s13
	s_cbranch_execnz .LBB2_1755
	s_branch .LBB2_1756
.LBB2_1883:                             ;   in Loop: Header=BB2_1549 Depth=2
	s_or_saveexec_b32 s40, s40
	v_mov_b32_e32 v66, 0x7f800001
	s_xor_b32 exec_lo, exec_lo, s40
	s_cbranch_execz .LBB2_1770
.LBB2_1884:                             ;   in Loop: Header=BB2_1549 Depth=2
	v_cmp_ne_u16_sdwa s41, v55, v36 src0_sel:BYTE_0 src1_sel:DWORD
	v_mov_b32_e32 v66, 0
	s_andn2_b32 s13, s13, exec_lo
	s_and_b32 s41, s41, exec_lo
	s_or_b32 s13, s13, s41
	s_or_b32 exec_lo, exec_lo, s40
	s_and_saveexec_b32 s40, s13
	s_cbranch_execnz .LBB2_1771
	s_branch .LBB2_1772
.LBB2_1885:                             ;   in Loop: Header=BB2_1549 Depth=2
	s_or_saveexec_b32 s40, s40
	v_mov_b32_e32 v112, 0x7f800001
	s_xor_b32 exec_lo, exec_lo, s40
	s_cbranch_execz .LBB2_1776
.LBB2_1886:                             ;   in Loop: Header=BB2_1549 Depth=2
	v_cmp_ne_u16_sdwa s41, v53, v36 src0_sel:BYTE_0 src1_sel:DWORD
	v_mov_b32_e32 v112, 0
	s_andn2_b32 s13, s13, exec_lo
	s_and_b32 s41, s41, exec_lo
	s_or_b32 s13, s13, s41
	s_or_b32 exec_lo, exec_lo, s40
	s_and_saveexec_b32 s40, s13
	s_cbranch_execnz .LBB2_1777
	s_branch .LBB2_1778
.LBB2_1887:                             ;   in Loop: Header=BB2_1549 Depth=2
	s_or_saveexec_b32 s40, s40
	v_mov_b32_e32 v66, 0x7f800001
	s_xor_b32 exec_lo, exec_lo, s40
	s_cbranch_execz .LBB2_1784
.LBB2_1888:                             ;   in Loop: Header=BB2_1549 Depth=2
	v_cmp_ne_u16_sdwa s41, v55, v36 src0_sel:BYTE_0 src1_sel:DWORD
	v_mov_b32_e32 v66, 0
	s_andn2_b32 s13, s13, exec_lo
	s_and_b32 s41, s41, exec_lo
	s_or_b32 s13, s13, s41
	s_or_b32 exec_lo, exec_lo, s40
	s_and_saveexec_b32 s40, s13
	s_cbranch_execnz .LBB2_1785
	s_branch .LBB2_1786
.LBB2_1889:                             ;   in Loop: Header=BB2_1549 Depth=2
	s_or_saveexec_b32 s40, s40
	v_mov_b32_e32 v55, 0x7f800001
	s_xor_b32 exec_lo, exec_lo, s40
	s_cbranch_execz .LBB2_1790
.LBB2_1890:                             ;   in Loop: Header=BB2_1549 Depth=2
	v_cmp_ne_u16_sdwa s41, v53, v36 src0_sel:BYTE_0 src1_sel:DWORD
	v_mov_b32_e32 v55, 0
	s_andn2_b32 s13, s13, exec_lo
	s_and_b32 s41, s41, exec_lo
	s_or_b32 s13, s13, s41
	s_or_b32 exec_lo, exec_lo, s40
	s_and_saveexec_b32 s40, s13
	s_cbranch_execnz .LBB2_1791
	s_branch .LBB2_1792
.LBB2_1891:                             ;   in Loop: Header=BB2_1549 Depth=2
	s_or_saveexec_b32 s40, s40
	v_mov_b32_e32 v55, 0x7f800001
	s_xor_b32 exec_lo, exec_lo, s40
	s_cbranch_execz .LBB2_1806
.LBB2_1892:                             ;   in Loop: Header=BB2_1549 Depth=2
	v_cmp_ne_u16_sdwa s41, v51, v36 src0_sel:BYTE_0 src1_sel:DWORD
	v_mov_b32_e32 v55, 0
	s_andn2_b32 s13, s13, exec_lo
	s_and_b32 s41, s41, exec_lo
	s_or_b32 s13, s13, s41
	s_or_b32 exec_lo, exec_lo, s40
	s_and_saveexec_b32 s40, s13
	s_cbranch_execnz .LBB2_1807
	s_branch .LBB2_1808
.LBB2_1893:                             ;   in Loop: Header=BB2_1549 Depth=2
	s_or_saveexec_b32 s40, s40
	v_mov_b32_e32 v66, 0x7f800001
	s_xor_b32 exec_lo, exec_lo, s40
	s_cbranch_execz .LBB2_1812
.LBB2_1894:                             ;   in Loop: Header=BB2_1549 Depth=2
	v_cmp_ne_u16_sdwa s41, v50, v36 src0_sel:BYTE_0 src1_sel:DWORD
	v_mov_b32_e32 v66, 0
	s_andn2_b32 s13, s13, exec_lo
	s_and_b32 s41, s41, exec_lo
	s_or_b32 s13, s13, s41
	s_or_b32 exec_lo, exec_lo, s40
	s_and_saveexec_b32 s40, s13
	s_cbranch_execnz .LBB2_1813
	s_branch .LBB2_1814
.LBB2_1895:                             ;   in Loop: Header=BB2_1549 Depth=2
	s_or_saveexec_b32 s40, s40
	v_mov_b32_e32 v55, 0x7f800001
	s_xor_b32 exec_lo, exec_lo, s40
	s_cbranch_execz .LBB2_1820
.LBB2_1896:                             ;   in Loop: Header=BB2_1549 Depth=2
	v_cmp_ne_u16_sdwa s41, v51, v36 src0_sel:BYTE_0 src1_sel:DWORD
	v_mov_b32_e32 v55, 0
	s_andn2_b32 s13, s13, exec_lo
	s_and_b32 s41, s41, exec_lo
	s_or_b32 s13, s13, s41
	s_or_b32 exec_lo, exec_lo, s40
	s_and_saveexec_b32 s40, s13
	s_cbranch_execnz .LBB2_1821
	s_branch .LBB2_1822
.LBB2_1897:                             ;   in Loop: Header=BB2_1549 Depth=2
	s_or_saveexec_b32 s40, s40
	v_mov_b32_e32 v51, 0x7f800001
	s_xor_b32 exec_lo, exec_lo, s40
	s_cbranch_execz .LBB2_1826
.LBB2_1898:                             ;   in Loop: Header=BB2_1549 Depth=2
	v_cmp_ne_u16_sdwa s41, v50, v36 src0_sel:BYTE_0 src1_sel:DWORD
	v_mov_b32_e32 v51, 0
	s_andn2_b32 s13, s13, exec_lo
	s_and_b32 s41, s41, exec_lo
	s_or_b32 s13, s13, s41
	s_or_b32 exec_lo, exec_lo, s40
	s_and_saveexec_b32 s40, s13
	s_cbranch_execnz .LBB2_1827
	s_branch .LBB2_1828
.LBB2_1899:                             ;   in Loop: Header=BB2_49 Depth=1
	s_or_b32 exec_lo, exec_lo, s29
.LBB2_1900:                             ;   in Loop: Header=BB2_49 Depth=1
	s_or_b32 exec_lo, exec_lo, s27
	v_and_b32_e32 v10, 0x7fffff00, v102
	v_cmp_ne_u32_e32 vcc_lo, v102, v10
	s_and_b32 exec_lo, exec_lo, vcc_lo
	s_cbranch_execz .LBB2_1948
; %bb.1901:                             ;   in Loop: Header=BB2_49 Depth=1
	v_lshlrev_b32_e32 v11, 5, v17
	v_lshlrev_b32_e32 v12, 5, v54
	v_sub_nc_u32_e32 v11, v16, v11
	v_sub_nc_u32_e32 v11, v11, v12
	v_sub_nc_u32_sdwa v16, v102, v11 dst_sel:DWORD dst_unused:UNUSED_PAD src0_sel:BYTE_0 src1_sel:DWORD
	v_cmp_lt_i32_e32 vcc_lo, 0, v16
	s_and_b32 exec_lo, exec_lo, vcc_lo
	s_cbranch_execz .LBB2_1948
; %bb.1902:                             ;   in Loop: Header=BB2_49 Depth=1
	s_trap 2
	ds_read_b128 v[12:15], v0
	ds_read_b64 v[50:51], v0
	v_add3_u32 v17, v10, v101, v11
	s_bitcmp1_b32 s26, 0
	s_mov_b32 s26, 0
	s_cselect_b32 s27, -1, 0
	v_ashrrev_i32_e32 v52, 31, v17
	s_waitcnt lgkmcnt(1)
	v_add_co_u32 v10, vcc_lo, v12, v17
	v_add_co_ci_u32_e64 v11, null, v13, v52, vcc_lo
	v_add_co_u32 v12, vcc_lo, v14, v17
	v_add_co_ci_u32_e64 v13, null, v15, v52, vcc_lo
	s_waitcnt lgkmcnt(0)
	v_add_co_u32 v14, vcc_lo, v50, v17
	v_add_co_ci_u32_e64 v15, null, v51, v52, vcc_lo
	s_branch .LBB2_1906
.LBB2_1903:                             ;   in Loop: Header=BB2_1906 Depth=2
	s_or_b32 exec_lo, exec_lo, s13
	v_lshrrev_b32_e32 v50, 21, v50
	v_cmp_gt_i32_e32 vcc_lo, 32, v17
	v_min_i32_e32 v51, 31, v17
	v_and_b32_sdwa v52, v52, v97 dst_sel:DWORD dst_unused:UNUSED_PAD src0_sel:BYTE_3 src1_sel:DWORD
	v_cndmask_b32_e32 v50, 3, v50, vcc_lo
	v_lshlrev_b32_e32 v51, 2, v51
	v_and_b32_e32 v53, 3, v50
	v_or_b32_e32 v17, v17, v50
	v_or3_b32 v50, v51, v52, v53
	v_cmp_ne_u32_e32 vcc_lo, 0, v17
	v_cndmask_b32_e32 v17, 0, v50, vcc_lo
.LBB2_1904:                             ;   in Loop: Header=BB2_1906 Depth=2
	s_or_b32 exec_lo, exec_lo, s29
.LBB2_1905:                             ;   in Loop: Header=BB2_1906 Depth=2
	s_or_b32 exec_lo, exec_lo, s28
	v_sub_nc_u32_e32 v16, v16, v85
	v_add_co_u32 v10, vcc_lo, v10, v85
	v_add_co_ci_u32_e64 v11, null, 0, v11, vcc_lo
	v_add_co_u32 v12, vcc_lo, v12, v85
	flat_store_byte v[14:15], v17 glc slc
	v_add_co_ci_u32_e64 v13, null, 0, v13, vcc_lo
	v_cmp_gt_i32_e32 vcc_lo, 1, v16
	v_add_co_u32 v14, s13, v14, v85
	v_add_co_ci_u32_e64 v15, null, 0, v15, s13
	s_or_b32 s26, vcc_lo, s26
	s_andn2_b32 exec_lo, exec_lo, s26
	s_cbranch_execz .LBB2_1948
.LBB2_1906:                             ;   Parent Loop BB2_49 Depth=1
                                        ; =>  This Inner Loop Header: Depth=2
	flat_load_ubyte v50, v[12:13] slc
	flat_load_ubyte v51, v[10:11] slc
	s_mov_b32 s13, -1
	s_waitcnt vmcnt(1) lgkmcnt(1)
	v_and_b32_e32 v17, 3, v50
	v_bfe_u32 v54, v50, 2, 5
	v_lshlrev_b32_e32 v55, 24, v50
	s_waitcnt vmcnt(0) lgkmcnt(0)
	v_cmp_gt_i16_sdwa s28, v51, v96 src0_sel:BYTE_0 src1_sel:DWORD
	v_ffbh_u32_e32 v52, v17
	v_cmp_eq_u32_e32 vcc_lo, 0, v54
	v_min_u32_e32 v52, 32, v52
	v_subrev_nc_u32_e32 v53, 29, v52
	v_sub_nc_u32_e32 v52, 30, v52
	v_lshlrev_b32_e32 v53, v53, v50
	v_cndmask_b32_e32 v52, v54, v52, vcc_lo
	v_and_b32_e32 v53, 3, v53
	v_lshl_add_u32 v52, v52, 23, 0x37800000
	v_cndmask_b32_e32 v17, v17, v53, vcc_lo
	v_and_b32_e32 v53, 0x80000000, v55
	s_and_b32 vcc_lo, exec_lo, s27
	v_lshlrev_b32_e32 v17, 21, v17
	v_or3_b32 v17, v53, v52, v17
                                        ; implicit-def: $vgpr52
	s_cbranch_vccz .LBB2_1920
; %bb.1907:                             ;   in Loop: Header=BB2_1906 Depth=2
	s_mov_b32 s13, 0
	s_and_saveexec_b32 s29, s28
	s_xor_b32 s28, exec_lo, s29
	s_cbranch_execz .LBB2_1940
; %bb.1908:                             ;   in Loop: Header=BB2_1906 Depth=2
	v_cmp_eq_u16_sdwa s40, v51, v97 src0_sel:BYTE_0 src1_sel:DWORD
	s_mov_b32 s13, -1
	s_and_saveexec_b32 s29, s40
; %bb.1909:                             ;   in Loop: Header=BB2_1906 Depth=2
	s_xor_b32 s13, exec_lo, -1
; %bb.1910:                             ;   in Loop: Header=BB2_1906 Depth=2
	s_or_b32 exec_lo, exec_lo, s29
	s_and_b32 s13, s13, exec_lo
	s_or_saveexec_b32 s28, s28
	v_mov_b32_e32 v52, 0x7f800001
	s_xor_b32 exec_lo, exec_lo, s28
	s_cbranch_execnz .LBB2_1941
.LBB2_1911:                             ;   in Loop: Header=BB2_1906 Depth=2
	s_or_b32 exec_lo, exec_lo, s28
	s_and_saveexec_b32 s28, s13
	s_cbranch_execz .LBB2_1913
.LBB2_1912:                             ;   in Loop: Header=BB2_1906 Depth=2
	v_and_b32_e32 v52, 3, v51
	v_lshrrev_b16 v54, 2, v51
	v_lshlrev_b32_e32 v64, 24, v51
	v_ffbh_u32_e32 v53, v52
	v_and_b32_e32 v54, 31, v54
	v_min_u32_e32 v53, 32, v53
	v_cmp_eq_u32_e32 vcc_lo, 0, v54
	v_subrev_nc_u32_e32 v55, 29, v53
	v_sub_nc_u32_e32 v53, 30, v53
	v_lshlrev_b32_e32 v55, v55, v51
	v_cndmask_b32_e32 v53, v54, v53, vcc_lo
	v_and_b32_e32 v54, 0x80000000, v64
	v_and_b32_e32 v55, 3, v55
	v_lshl_add_u32 v53, v53, 23, 0x37800000
	v_cndmask_b32_e32 v52, v52, v55, vcc_lo
	v_lshlrev_b32_e32 v52, 21, v52
	v_or3_b32 v52, v54, v53, v52
.LBB2_1913:                             ;   in Loop: Header=BB2_1906 Depth=2
	s_or_b32 exec_lo, exec_lo, s28
	v_cmp_gt_i16_sdwa s28, v50, v96 src0_sel:BYTE_0 src1_sel:DWORD
	s_mov_b32 s13, 0
	s_and_saveexec_b32 s29, s28
	s_xor_b32 s28, exec_lo, s29
	s_cbranch_execz .LBB2_1942
; %bb.1914:                             ;   in Loop: Header=BB2_1906 Depth=2
	v_cmp_eq_u16_sdwa s40, v50, v97 src0_sel:BYTE_0 src1_sel:DWORD
	s_mov_b32 s13, -1
	s_and_saveexec_b32 s29, s40
; %bb.1915:                             ;   in Loop: Header=BB2_1906 Depth=2
	s_xor_b32 s13, exec_lo, -1
; %bb.1916:                             ;   in Loop: Header=BB2_1906 Depth=2
	s_or_b32 exec_lo, exec_lo, s29
	s_and_b32 s13, s13, exec_lo
	s_or_saveexec_b32 s28, s28
	v_mov_b32_e32 v53, 0x7f800001
	s_xor_b32 exec_lo, exec_lo, s28
	s_cbranch_execnz .LBB2_1943
.LBB2_1917:                             ;   in Loop: Header=BB2_1906 Depth=2
	s_or_b32 exec_lo, exec_lo, s28
	s_and_saveexec_b32 s28, s13
.LBB2_1918:                             ;   in Loop: Header=BB2_1906 Depth=2
	v_mov_b32_e32 v53, v17
.LBB2_1919:                             ;   in Loop: Header=BB2_1906 Depth=2
	s_or_b32 exec_lo, exec_lo, s28
	v_max_f32_e32 v53, v53, v53
	v_max_f32_e32 v52, v52, v52
	s_mov_b32 s13, 0
	v_max_f32_e32 v52, v52, v53
.LBB2_1920:                             ;   in Loop: Header=BB2_1906 Depth=2
	s_and_b32 vcc_lo, exec_lo, s13
	s_cbranch_vccz .LBB2_1934
; %bb.1921:                             ;   in Loop: Header=BB2_1906 Depth=2
	v_cmp_gt_i16_sdwa s28, v51, v96 src0_sel:BYTE_0 src1_sel:DWORD
	s_mov_b32 s13, 0
	s_and_saveexec_b32 s29, s28
	s_xor_b32 s28, exec_lo, s29
	s_cbranch_execz .LBB2_1944
; %bb.1922:                             ;   in Loop: Header=BB2_1906 Depth=2
	v_cmp_eq_u16_sdwa s40, v51, v97 src0_sel:BYTE_0 src1_sel:DWORD
	s_mov_b32 s13, -1
	s_and_saveexec_b32 s29, s40
; %bb.1923:                             ;   in Loop: Header=BB2_1906 Depth=2
	s_xor_b32 s13, exec_lo, -1
; %bb.1924:                             ;   in Loop: Header=BB2_1906 Depth=2
	s_or_b32 exec_lo, exec_lo, s29
	s_and_b32 s13, s13, exec_lo
	s_or_saveexec_b32 s28, s28
	v_mov_b32_e32 v52, 0x7f800001
	s_xor_b32 exec_lo, exec_lo, s28
	s_cbranch_execnz .LBB2_1945
.LBB2_1925:                             ;   in Loop: Header=BB2_1906 Depth=2
	s_or_b32 exec_lo, exec_lo, s28
	s_and_saveexec_b32 s28, s13
	s_cbranch_execz .LBB2_1927
.LBB2_1926:                             ;   in Loop: Header=BB2_1906 Depth=2
	v_and_b32_e32 v52, 3, v51
	v_lshrrev_b16 v54, 2, v51
	v_ffbh_u32_e32 v53, v52
	v_and_b32_e32 v54, 31, v54
	v_min_u32_e32 v53, 32, v53
	v_cmp_eq_u32_e32 vcc_lo, 0, v54
	v_subrev_nc_u32_e32 v55, 29, v53
	v_sub_nc_u32_e32 v53, 30, v53
	v_lshlrev_b32_e32 v55, v55, v51
	v_lshlrev_b32_e32 v51, 24, v51
	v_cndmask_b32_e32 v53, v54, v53, vcc_lo
	v_and_b32_e32 v55, 3, v55
	v_and_b32_e32 v51, 0x80000000, v51
	v_lshl_add_u32 v53, v53, 23, 0x37800000
	v_cndmask_b32_e32 v52, v52, v55, vcc_lo
	v_lshlrev_b32_e32 v52, 21, v52
	v_or3_b32 v52, v51, v53, v52
.LBB2_1927:                             ;   in Loop: Header=BB2_1906 Depth=2
	s_or_b32 exec_lo, exec_lo, s28
	v_cmp_gt_i16_sdwa s28, v50, v96 src0_sel:BYTE_0 src1_sel:DWORD
	s_mov_b32 s13, 0
	s_and_saveexec_b32 s29, s28
	s_xor_b32 s28, exec_lo, s29
	s_cbranch_execz .LBB2_1946
; %bb.1928:                             ;   in Loop: Header=BB2_1906 Depth=2
	v_cmp_eq_u16_sdwa s40, v50, v97 src0_sel:BYTE_0 src1_sel:DWORD
	s_mov_b32 s13, -1
	s_and_saveexec_b32 s29, s40
; %bb.1929:                             ;   in Loop: Header=BB2_1906 Depth=2
	s_xor_b32 s13, exec_lo, -1
; %bb.1930:                             ;   in Loop: Header=BB2_1906 Depth=2
	s_or_b32 exec_lo, exec_lo, s29
	s_and_b32 s13, s13, exec_lo
                                        ; implicit-def: $vgpr50
	s_or_saveexec_b32 s28, s28
	v_mov_b32_e32 v51, 0x7f800001
	s_xor_b32 exec_lo, exec_lo, s28
	s_cbranch_execnz .LBB2_1947
.LBB2_1931:                             ;   in Loop: Header=BB2_1906 Depth=2
	s_or_b32 exec_lo, exec_lo, s28
	s_and_saveexec_b32 s28, s13
.LBB2_1932:                             ;   in Loop: Header=BB2_1906 Depth=2
	v_mov_b32_e32 v51, v17
.LBB2_1933:                             ;   in Loop: Header=BB2_1906 Depth=2
	s_or_b32 exec_lo, exec_lo, s28
	v_max_f32_e32 v17, v51, v51
	v_max_f32_e32 v50, v52, v52
	v_min_f32_e32 v52, v50, v17
.LBB2_1934:                             ;   in Loop: Header=BB2_1906 Depth=2
	v_and_b32_e32 v17, 0x7f800000, v52
	v_cmp_ne_u32_e32 vcc_lo, 0x7f800000, v17
	v_mov_b32_e32 v17, 0x80
	s_and_saveexec_b32 s28, vcc_lo
	s_cbranch_execz .LBB2_1905
; %bb.1935:                             ;   in Loop: Header=BB2_1906 Depth=2
	v_mov_b32_e32 v17, 0
	s_mov_b32 s29, exec_lo
	v_cmpx_ne_u32_e32 0, v52
	s_cbranch_execz .LBB2_1904
; %bb.1936:                             ;   in Loop: Header=BB2_1906 Depth=2
	v_bfe_u32 v17, v52, 23, 8
	v_and_b32_e32 v50, 0x7fffff, v52
	v_sub_nc_u32_e32 v51, 0x70, v17
	v_cmp_gt_u32_e32 vcc_lo, 0x71, v17
	v_or_b32_e32 v53, 0x800000, v50
	v_cndmask_b32_e32 v51, 0, v51, vcc_lo
	v_cmp_eq_u32_e32 vcc_lo, 0, v17
	v_add_nc_u32_e32 v17, 0xffffff91, v17
	v_cndmask_b32_e64 v51, v51, 0x6f, vcc_lo
	v_cndmask_b32_e32 v50, v53, v50, vcc_lo
	v_cndmask_b32_e64 v17, v17, 0xffffff92, vcc_lo
	v_lshl_add_u32 v53, 0x200000, v51, -1
	v_lshrrev_b32_e32 v54, v51, v50
	v_lshlrev_b32_e64 v64, v51, 0x100000
	v_add_nc_u32_e32 v51, v51, v17
	v_and_b32_e32 v50, v53, v50
	v_bfe_u32 v55, v54, 21, 1
	v_cmp_eq_u32_e64 s13, v50, v64
	v_add_nc_u32_e32 v53, -1, v55
	v_cndmask_b32_e64 v50, 0, v53, s13
	v_lshrrev_b32_e32 v53, 23, v54
	s_mov_b32 s13, exec_lo
	v_add_nc_u32_e32 v50, v50, v54
	v_xor_b32_e32 v53, 1, v53
	v_and_b32_e32 v17, 0x1fffff, v50
	v_add_nc_u32_e32 v50, v17, v54
                                        ; implicit-def: $vgpr17
	v_cmpx_ne_u32_e64 v51, v53
	s_xor_b32 s13, exec_lo, s13
; %bb.1937:                             ;   in Loop: Header=BB2_1906 Depth=2
	v_cmp_lt_u32_e32 vcc_lo, 0xffffff, v50
	v_sub_nc_u32_e32 v17, v51, v53
	v_cndmask_b32_e64 v51, 0, 1, vcc_lo
	v_add_co_ci_u32_e64 v17, null, 0, v17, vcc_lo
	v_lshrrev_b32_e32 v50, v51, v50
; %bb.1938:                             ;   in Loop: Header=BB2_1906 Depth=2
	s_andn2_saveexec_b32 s13, s13
	s_cbranch_execz .LBB2_1903
; %bb.1939:                             ;   in Loop: Header=BB2_1906 Depth=2
	v_bfe_u32 v17, v50, 23, 1
	s_branch .LBB2_1903
.LBB2_1940:                             ;   in Loop: Header=BB2_1906 Depth=2
	s_or_saveexec_b32 s28, s28
	v_mov_b32_e32 v52, 0x7f800001
	s_xor_b32 exec_lo, exec_lo, s28
	s_cbranch_execz .LBB2_1911
.LBB2_1941:                             ;   in Loop: Header=BB2_1906 Depth=2
	v_cmp_ne_u16_sdwa s29, v51, v36 src0_sel:BYTE_0 src1_sel:DWORD
	v_mov_b32_e32 v52, 0
	s_andn2_b32 s13, s13, exec_lo
	s_and_b32 s29, s29, exec_lo
	s_or_b32 s13, s13, s29
	s_or_b32 exec_lo, exec_lo, s28
	s_and_saveexec_b32 s28, s13
	s_cbranch_execnz .LBB2_1912
	s_branch .LBB2_1913
.LBB2_1942:                             ;   in Loop: Header=BB2_1906 Depth=2
	s_or_saveexec_b32 s28, s28
	v_mov_b32_e32 v53, 0x7f800001
	s_xor_b32 exec_lo, exec_lo, s28
	s_cbranch_execz .LBB2_1917
.LBB2_1943:                             ;   in Loop: Header=BB2_1906 Depth=2
	v_cmp_ne_u16_sdwa s29, v50, v36 src0_sel:BYTE_0 src1_sel:DWORD
	v_mov_b32_e32 v53, 0
	s_andn2_b32 s13, s13, exec_lo
	s_and_b32 s29, s29, exec_lo
	s_or_b32 s13, s13, s29
	s_or_b32 exec_lo, exec_lo, s28
	s_and_saveexec_b32 s28, s13
	s_cbranch_execnz .LBB2_1918
	s_branch .LBB2_1919
.LBB2_1944:                             ;   in Loop: Header=BB2_1906 Depth=2
	s_or_saveexec_b32 s28, s28
	v_mov_b32_e32 v52, 0x7f800001
	s_xor_b32 exec_lo, exec_lo, s28
	s_cbranch_execz .LBB2_1925
.LBB2_1945:                             ;   in Loop: Header=BB2_1906 Depth=2
	v_cmp_ne_u16_sdwa s29, v51, v36 src0_sel:BYTE_0 src1_sel:DWORD
	v_mov_b32_e32 v52, 0
	s_andn2_b32 s13, s13, exec_lo
	s_and_b32 s29, s29, exec_lo
	s_or_b32 s13, s13, s29
	s_or_b32 exec_lo, exec_lo, s28
	s_and_saveexec_b32 s28, s13
	s_cbranch_execnz .LBB2_1926
	s_branch .LBB2_1927
.LBB2_1946:                             ;   in Loop: Header=BB2_1906 Depth=2
	s_or_saveexec_b32 s28, s28
	v_mov_b32_e32 v51, 0x7f800001
	s_xor_b32 exec_lo, exec_lo, s28
	s_cbranch_execz .LBB2_1931
.LBB2_1947:                             ;   in Loop: Header=BB2_1906 Depth=2
	v_cmp_ne_u16_sdwa s29, v50, v36 src0_sel:BYTE_0 src1_sel:DWORD
	v_mov_b32_e32 v51, 0
	s_andn2_b32 s13, s13, exec_lo
	s_and_b32 s29, s29, exec_lo
	s_or_b32 s13, s13, s29
	s_or_b32 exec_lo, exec_lo, s28
	s_and_saveexec_b32 s28, s13
	s_cbranch_execnz .LBB2_1932
	s_branch .LBB2_1933
.LBB2_1948:                             ;   in Loop: Header=BB2_49 Depth=1
	s_or_b32 exec_lo, exec_lo, s14
	v_cmp_ne_u32_e64 s13, 0, v37
	s_and_saveexec_b32 s14, s6
	s_cbranch_execz .LBB2_1967
.LBB2_1949:                             ;   in Loop: Header=BB2_49 Depth=1
	s_and_saveexec_b32 s26, s20
	s_xor_b32 s26, exec_lo, s26
	s_cbranch_execz .LBB2_1964
; %bb.1950:                             ;   in Loop: Header=BB2_49 Depth=1
	s_and_saveexec_b32 s27, s7
	s_cbranch_execz .LBB2_1963
; %bb.1951:                             ;   in Loop: Header=BB2_49 Depth=1
	s_mov_b32 s29, exec_lo
	s_mov_b32 s28, exec_lo
	v_mbcnt_lo_u32_b32 v10, s29, 0
	s_waitcnt vmcnt(0) lgkmcnt(0)
	s_waitcnt_vscnt null, 0x0
	buffer_gl1_inv
	buffer_gl0_inv
	v_cmpx_eq_u32_e32 0, v10
	s_cbranch_execz .LBB2_1953
; %bb.1952:                             ;   in Loop: Header=BB2_49 Depth=1
	s_bcnt1_i32_b32 s29, s29
	v_mov_b32_e32 v11, v36
	v_mov_b32_e32 v10, s29
	ds_add_u64 v0, v[10:11]
	s_trap 2
.LBB2_1953:                             ;   in Loop: Header=BB2_49 Depth=1
	s_or_b32 exec_lo, exec_lo, s28
	s_trap 2
	ds_read_b64 v[10:11], v0
	s_waitcnt lgkmcnt(0)
	buffer_gl0_inv
	v_add_co_u32 v26, vcc_lo, v26, v80
	v_add_co_ci_u32_e64 v27, null, 0, v27, vcc_lo
	s_mov_b32 s28, exec_lo
	v_cmpx_lt_u64_e64 v[10:11], v[26:27]
	s_cbranch_execz .LBB2_1962
; %bb.1954:                             ;   in Loop: Header=BB2_49 Depth=1
	s_mov_b32 s29, 0
	s_mov_b32 s42, 0
                                        ; implicit-def: $sgpr40
                                        ; implicit-def: $sgpr41
	s_inst_prefetch 0x1
	s_branch .LBB2_1956
	.p2align	6
.LBB2_1955:                             ;   in Loop: Header=BB2_1956 Depth=2
	s_or_b32 exec_lo, exec_lo, s44
	s_and_b32 s43, exec_lo, s45
	s_or_b32 s29, s43, s29
	s_andn2_b32 s40, s40, exec_lo
	s_and_b32 s43, s41, exec_lo
	s_or_b32 s40, s40, s43
	s_andn2_b32 exec_lo, exec_lo, s29
	s_cbranch_execz .LBB2_1960
.LBB2_1956:                             ;   Parent Loop BB2_49 Depth=1
                                        ; =>  This Inner Loop Header: Depth=2
	s_add_i32 s42, s42, 1
	s_cmpk_lg_i32 s42, 0x2710
	s_cselect_b32 s43, -1, 0
	s_and_b32 vcc_lo, exec_lo, s43
	s_cbranch_vccz .LBB2_1958
; %bb.1957:                             ;   in Loop: Header=BB2_1956 Depth=2
	s_mov_b32 s45, -1
	s_or_b32 s41, s41, exec_lo
	s_and_saveexec_b32 s44, s43
	s_cbranch_execz .LBB2_1955
	s_branch .LBB2_1959
	.p2align	6
.LBB2_1958:                             ;   in Loop: Header=BB2_1956 Depth=2
	s_trap 2
	ds_read_b64 v[10:11], v0
	s_andn2_b32 s43, s43, exec_lo
	s_mov_b32 s42, 0
	s_waitcnt lgkmcnt(0)
	flat_load_dword v10, v[10:11] glc dlc
	s_waitcnt vmcnt(0) lgkmcnt(0)
	buffer_gl1_inv
	buffer_gl0_inv
	v_cmp_eq_u32_e32 vcc_lo, 0, v10
	s_and_b32 s44, vcc_lo, exec_lo
	s_or_b32 s43, s43, s44
	s_mov_b32 s45, -1
	s_or_b32 s41, s41, exec_lo
	s_and_saveexec_b32 s44, s43
	s_cbranch_execz .LBB2_1955
.LBB2_1959:                             ;   in Loop: Header=BB2_1956 Depth=2
	s_sleep 1
	s_trap 2
	ds_read_b64 v[10:11], v0
	s_waitcnt lgkmcnt(0)
	buffer_gl0_inv
	s_andn2_b32 s41, s41, exec_lo
	v_cmp_ge_u64_e32 vcc_lo, v[10:11], v[26:27]
	s_orn2_b32 s45, vcc_lo, exec_lo
	s_branch .LBB2_1955
.LBB2_1960:                             ;   in Loop: Header=BB2_49 Depth=1
	s_inst_prefetch 0x2
	s_or_b32 exec_lo, exec_lo, s29
	s_and_saveexec_b32 s29, s40
	s_xor_b32 s29, exec_lo, s29
	s_cbranch_execz .LBB2_1962
; %bb.1961:                             ;   in Loop: Header=BB2_49 Depth=1
	ds_write_b32 v0, v86
	s_trap 2
.LBB2_1962:                             ;   in Loop: Header=BB2_49 Depth=1
	s_or_b32 exec_lo, exec_lo, s28
	;;#ASMSTART
	s_wakeup
	;;#ASMEND
.LBB2_1963:                             ;   in Loop: Header=BB2_49 Depth=1
	s_or_b32 exec_lo, exec_lo, s27
.LBB2_1964:                             ;   in Loop: Header=BB2_49 Depth=1
	s_andn2_saveexec_b32 s26, s26
	s_cbranch_execz .LBB2_1966
; %bb.1965:                             ;   in Loop: Header=BB2_49 Depth=1
	s_waitcnt vmcnt(0) lgkmcnt(0)
	s_waitcnt_vscnt null, 0x0
	buffer_gl1_inv
	buffer_gl0_inv
	s_barrier
.LBB2_1966:                             ;   in Loop: Header=BB2_49 Depth=1
	s_or_b32 exec_lo, exec_lo, s26
.LBB2_1967:                             ;   in Loop: Header=BB2_49 Depth=1
	s_or_b32 exec_lo, exec_lo, s14
	v_and_b32_e32 v10, 16, v68
	v_cmp_ne_u32_e32 vcc_lo, 0, v10
	s_and_b32 s14, vcc_lo, s13
	s_and_saveexec_b32 s13, s14
	s_cbranch_execz .LBB2_1969
; %bb.1968:                             ;   in Loop: Header=BB2_49 Depth=1
	s_waitcnt vmcnt(0) lgkmcnt(0)
	s_waitcnt_vscnt null, 0x0
	buffer_gl1_inv
	buffer_gl0_inv
.LBB2_1969:                             ;   in Loop: Header=BB2_49 Depth=1
	s_or_b32 exec_lo, exec_lo, s13
	v_cmp_ne_u32_e32 vcc_lo, 0, v10
	s_xor_b32 s13, s12, -1
	s_and_b32 s14, vcc_lo, s13
	s_and_saveexec_b32 s13, s14
	s_cbranch_execz .LBB2_1971
; %bb.1970:                             ;   in Loop: Header=BB2_49 Depth=1
	s_waitcnt vmcnt(0) lgkmcnt(0)
	s_waitcnt_vscnt null, 0x0
	flat_store_dword v[34:35], v86
.LBB2_1971:                             ;   in Loop: Header=BB2_49 Depth=1
	s_or_b32 exec_lo, exec_lo, s13
	v_and_b32_e32 v10, 48, v68
	s_mov_b32 s13, exec_lo
	v_cmpx_ne_u32_e32 0, v10
	s_cbranch_execz .LBB2_1973
; %bb.1972:                             ;   in Loop: Header=BB2_49 Depth=1
	v_add_co_u32 v8, vcc_lo, v8, 1
	v_add_co_ci_u32_e64 v9, null, 0, v9, vcc_lo
	s_waitcnt vmcnt(0) lgkmcnt(0)
	s_waitcnt_vscnt null, 0x0
	flat_store_dwordx2 v[22:23], v[8:9]
.LBB2_1973:                             ;   in Loop: Header=BB2_49 Depth=1
	s_or_b32 exec_lo, exec_lo, s13
	v_mov_b32_e32 v10, v49
.LBB2_1974:                             ;   in Loop: Header=BB2_49 Depth=1
	s_or_b32 exec_lo, exec_lo, s25
	s_and_saveexec_b32 s14, s24
	s_cbranch_execz .LBB2_48
; %bb.1975:                             ;   in Loop: Header=BB2_49 Depth=1
	v_sub_nc_u32_e32 v10, v48, v10
	v_and_b32_e32 v11, 12, v68
	s_mov_b32 s24, exec_lo
	v_min_i32_e32 v10, v49, v10
	v_cmpx_ne_u32_e32 0, v11
	s_cbranch_execz .LBB2_2001
; %bb.1976:                             ;   in Loop: Header=BB2_49 Depth=1
	v_and_b32_e32 v16, 8, v68
	s_mov_b32 s25, exec_lo
	s_waitcnt vmcnt(0)
	v_add_co_u32 v14, vcc_lo, v28, v16
	v_add_co_ci_u32_e64 v15, null, 0, v29, vcc_lo
	s_waitcnt lgkmcnt(0)
	v_add_co_u32 v12, vcc_lo, v8, 1
	v_add_co_ci_u32_e64 v13, null, 0, v9, vcc_lo
	v_cmpx_lt_u64_e64 v[14:15], v[12:13]
	s_cbranch_execz .LBB2_1988
; %bb.1977:                             ;   in Loop: Header=BB2_49 Depth=1
	v_and_b32_e32 v9, 64, v68
	s_mov_b32 s26, 0
	s_mov_b32 s40, 0
                                        ; implicit-def: $sgpr27
                                        ; implicit-def: $sgpr28
                                        ; implicit-def: $sgpr29
	v_cmp_eq_u32_e32 vcc_lo, 0, v9
	s_branch .LBB2_1981
.LBB2_1978:                             ;   in Loop: Header=BB2_1981 Depth=2
	s_waitcnt vmcnt(0) lgkmcnt(0)
	v_add_co_u32 v14, s13, v28, v16
	v_add_co_ci_u32_e64 v15, null, 0, v29, s13
	s_or_b32 s43, s43, exec_lo
	v_cmp_ge_u64_e64 s13, v[14:15], v[12:13]
	s_orn2_b32 s42, s13, exec_lo
.LBB2_1979:                             ;   in Loop: Header=BB2_1981 Depth=2
	s_or_b32 exec_lo, exec_lo, s45
	s_andn2_b32 s13, s29, exec_lo
	s_and_b32 s29, s43, exec_lo
	s_andn2_b32 s28, s28, exec_lo
	s_and_b32 s42, s42, exec_lo
	s_or_b32 s29, s13, s29
	s_or_b32 s28, s28, s42
.LBB2_1980:                             ;   in Loop: Header=BB2_1981 Depth=2
	s_or_b32 exec_lo, exec_lo, s41
	s_and_b32 s13, exec_lo, s28
	s_or_b32 s26, s13, s26
	s_andn2_b32 s13, s27, exec_lo
	s_and_b32 s27, s29, exec_lo
	s_or_b32 s27, s13, s27
	s_andn2_b32 exec_lo, exec_lo, s26
	s_cbranch_execz .LBB2_1985
.LBB2_1981:                             ;   Parent Loop BB2_49 Depth=1
                                        ; =>  This Inner Loop Header: Depth=2
	s_sleep 1
	s_waitcnt vmcnt(0) lgkmcnt(0)
	flat_load_dwordx2 v[28:29], v[22:23] glc dlc
	s_or_b32 s29, s29, exec_lo
	s_or_b32 s28, s28, exec_lo
                                        ; implicit-def: $vgpr9
	s_and_saveexec_b32 s41, vcc_lo
	s_cbranch_execz .LBB2_1980
; %bb.1982:                             ;   in Loop: Header=BB2_1981 Depth=2
	s_cmpk_lt_i32 s40, 0x270f
	s_mov_b32 s42, -1
	s_cselect_b32 s44, -1, 0
	s_cmpk_gt_i32 s40, 0x270e
	s_cbranch_scc0 .LBB2_1984
; %bb.1983:                             ;   in Loop: Header=BB2_1981 Depth=2
	s_trap 2
	ds_read_b64 v[14:15], v0
	s_andn2_b32 s40, s44, exec_lo
	s_mov_b32 s43, 0
	s_waitcnt vmcnt(0) lgkmcnt(0)
	s_waitcnt_vscnt null, 0x0
	flat_load_dword v9, v[14:15] glc dlc
	s_waitcnt vmcnt(0) lgkmcnt(0)
	buffer_gl1_inv
	buffer_gl0_inv
	v_cmp_eq_u32_e64 s13, 0, v9
	s_and_b32 s13, s13, exec_lo
	s_or_b32 s44, s40, s13
	s_mov_b32 s40, 0
	s_and_saveexec_b32 s45, s44
	s_cbranch_execz .LBB2_1979
	s_branch .LBB2_1978
.LBB2_1984:                             ;   in Loop: Header=BB2_1981 Depth=2
	s_add_i32 s40, s40, 1
	s_mov_b32 s43, -1
                                        ; implicit-def: $vgpr9
	s_and_saveexec_b32 s45, s44
	s_cbranch_execz .LBB2_1979
	s_branch .LBB2_1978
.LBB2_1985:                             ;   in Loop: Header=BB2_49 Depth=1
	s_or_b32 exec_lo, exec_lo, s26
	s_xor_b32 s13, s27, -1
	s_and_saveexec_b32 s26, s13
	s_xor_b32 s13, exec_lo, s26
	s_cbranch_execz .LBB2_1987
; %bb.1986:                             ;   in Loop: Header=BB2_49 Depth=1
	v_or_b32_e32 v68, 64, v68
	s_waitcnt vmcnt(0) lgkmcnt(0)
	s_waitcnt_vscnt null, 0x0
	ds_write_b32 v0, v9
	s_trap 2
.LBB2_1987:                             ;   in Loop: Header=BB2_49 Depth=1
	s_or_b32 exec_lo, exec_lo, s13
.LBB2_1988:                             ;   in Loop: Header=BB2_49 Depth=1
	s_or_b32 exec_lo, exec_lo, s25
	v_and_b32_e32 v9, 0x108, v68
	v_and_b32_e32 v17, 7, v8
	s_mov_b32 s13, exec_lo
	;;#ASMSTART
	s_wakeup
	;;#ASMEND
	v_cmpx_ne_u32_e32 0x108, v9
	s_xor_b32 s13, exec_lo, s13
                                        ; implicit-def: $vgpr37
; %bb.1989:                             ;   in Loop: Header=BB2_49 Depth=1
	v_mov_b32_e32 v37, v36
; %bb.1990:                             ;   in Loop: Header=BB2_49 Depth=1
	s_andn2_saveexec_b32 s13, s13
	s_cbranch_execz .LBB2_1992
; %bb.1991:                             ;   in Loop: Header=BB2_49 Depth=1
	v_mad_u64_u32 v[8:9], null, v17, 24, v[6:7]
	v_ashrrev_i32_e32 v11, 31, v10
	v_mov_b32_e32 v37, v36
	flat_store_dwordx2 v[8:9], v[10:11] offset:8
.LBB2_1992:                             ;   in Loop: Header=BB2_49 Depth=1
	s_or_b32 exec_lo, exec_lo, s13
	v_and_b32_e32 v8, 0x100, v68
	s_mov_b32 s13, -1
	v_cmp_ne_u32_e32 vcc_lo, 0, v8
                                        ; implicit-def: $vgpr8_vgpr9
	s_and_saveexec_b32 s25, vcc_lo
	s_cbranch_execz .LBB2_1996
; %bb.1993:                             ;   in Loop: Header=BB2_49 Depth=1
	v_mad_u64_u32 v[14:15], null, v17, 24, v[6:7]
	v_mov_b32_e32 v8, v15
	v_mad_u64_u32 v[8:9], null, v37, 24, v[8:9]
	v_mov_b32_e32 v15, v8
	flat_load_dword v8, v[14:15]
	s_waitcnt vmcnt(0) lgkmcnt(0)
	v_cmp_eq_u32_e64 s13, 1, v8
	v_cmp_ne_u32_e32 vcc_lo, 1, v8
                                        ; implicit-def: $vgpr8_vgpr9
	s_and_saveexec_b32 s26, s13
	s_cbranch_execz .LBB2_1995
; %bb.1994:                             ;   in Loop: Header=BB2_49 Depth=1
	flat_load_dword v8, v[14:15] offset:4 glc dlc
	s_waitcnt vmcnt(0) lgkmcnt(0)
	v_ashrrev_i32_e32 v9, 31, v8
.LBB2_1995:                             ;   in Loop: Header=BB2_49 Depth=1
	s_or_b32 exec_lo, exec_lo, s26
	s_orn2_b32 s13, vcc_lo, exec_lo
.LBB2_1996:                             ;   in Loop: Header=BB2_49 Depth=1
	s_or_b32 exec_lo, exec_lo, s25
	s_and_saveexec_b32 s25, s13
; %bb.1997:                             ;   in Loop: Header=BB2_49 Depth=1
	v_mul_lo_u32 v11, v37, v69
	v_mul_lo_u32 v14, v17, v70
	v_mad_u64_u32 v[8:9], null, v17, v69, 0
	v_add3_u32 v9, v9, v14, v11
; %bb.1998:                             ;   in Loop: Header=BB2_49 Depth=1
	s_or_b32 exec_lo, exec_lo, s25
	v_cmp_eq_u32_e32 vcc_lo, 0, v16
	v_and_b32_e32 v14, 0x2000, v68
	s_mov_b32 s13, exec_lo
	v_cndmask_b32_e32 v11, 0xc8, v87, vcc_lo
	v_add_co_u32 v8, vcc_lo, v24, v8
	v_add_co_ci_u32_e64 v9, null, v25, v9, vcc_lo
	v_add_nc_u32_e32 v11, v0, v11
	ds_write_b64 v11, v[8:9] offset:584
	v_cmpx_ne_u32_e32 0, v14
	s_cbranch_execz .LBB2_2000
; %bb.1999:                             ;   in Loop: Header=BB2_49 Depth=1
	ds_read_b64 v[8:9], v0 offset:872
	s_waitcnt lgkmcnt(0)
	v_add_co_u32 v8, vcc_lo, v8, 1
	v_add_co_ci_u32_e64 v9, null, 0, v9, vcc_lo
	ds_write_b64 v0, v[8:9] offset:872
.LBB2_2000:                             ;   in Loop: Header=BB2_49 Depth=1
	s_or_b32 exec_lo, exec_lo, s13
	v_mov_b32_e32 v8, v12
	v_mov_b32_e32 v9, v13
.LBB2_2001:                             ;   in Loop: Header=BB2_49 Depth=1
	s_or_b32 exec_lo, exec_lo, s24
	s_and_saveexec_b32 s13, s6
	s_cbranch_execz .LBB2_2020
; %bb.2002:                             ;   in Loop: Header=BB2_49 Depth=1
	s_and_saveexec_b32 s24, s20
	s_xor_b32 s24, exec_lo, s24
	s_cbranch_execz .LBB2_2017
; %bb.2003:                             ;   in Loop: Header=BB2_49 Depth=1
	s_and_saveexec_b32 s25, s7
	s_cbranch_execz .LBB2_2016
; %bb.2004:                             ;   in Loop: Header=BB2_49 Depth=1
	s_mov_b32 s27, exec_lo
	s_mov_b32 s26, exec_lo
	v_mbcnt_lo_u32_b32 v11, s27, 0
	s_waitcnt vmcnt(0) lgkmcnt(0)
	s_waitcnt_vscnt null, 0x0
	buffer_gl1_inv
	buffer_gl0_inv
	v_cmpx_eq_u32_e32 0, v11
	s_cbranch_execz .LBB2_2006
; %bb.2005:                             ;   in Loop: Header=BB2_49 Depth=1
	s_bcnt1_i32_b32 s27, s27
	v_mov_b32_e32 v12, v36
	v_mov_b32_e32 v11, s27
	ds_add_u64 v0, v[11:12]
	s_trap 2
.LBB2_2006:                             ;   in Loop: Header=BB2_49 Depth=1
	s_or_b32 exec_lo, exec_lo, s26
	s_trap 2
	ds_read_b64 v[11:12], v0
	s_waitcnt lgkmcnt(0)
	buffer_gl0_inv
	v_add_co_u32 v26, vcc_lo, v26, v80
	v_add_co_ci_u32_e64 v27, null, 0, v27, vcc_lo
	s_mov_b32 s26, exec_lo
	v_cmpx_lt_u64_e64 v[11:12], v[26:27]
	s_cbranch_execz .LBB2_2015
; %bb.2007:                             ;   in Loop: Header=BB2_49 Depth=1
	s_mov_b32 s27, 0
	s_mov_b32 s40, 0
                                        ; implicit-def: $sgpr28
                                        ; implicit-def: $sgpr29
	s_inst_prefetch 0x1
	s_branch .LBB2_2009
	.p2align	6
.LBB2_2008:                             ;   in Loop: Header=BB2_2009 Depth=2
	s_or_b32 exec_lo, exec_lo, s42
	s_and_b32 s41, exec_lo, s43
	s_or_b32 s27, s41, s27
	s_andn2_b32 s28, s28, exec_lo
	s_and_b32 s41, s29, exec_lo
	s_or_b32 s28, s28, s41
	s_andn2_b32 exec_lo, exec_lo, s27
	s_cbranch_execz .LBB2_2013
.LBB2_2009:                             ;   Parent Loop BB2_49 Depth=1
                                        ; =>  This Inner Loop Header: Depth=2
	s_add_i32 s40, s40, 1
	s_cmpk_lg_i32 s40, 0x2710
	s_cselect_b32 s41, -1, 0
	s_and_b32 vcc_lo, exec_lo, s41
	s_cbranch_vccz .LBB2_2011
; %bb.2010:                             ;   in Loop: Header=BB2_2009 Depth=2
	s_mov_b32 s43, -1
	s_or_b32 s29, s29, exec_lo
	s_and_saveexec_b32 s42, s41
	s_cbranch_execz .LBB2_2008
	s_branch .LBB2_2012
	.p2align	6
.LBB2_2011:                             ;   in Loop: Header=BB2_2009 Depth=2
	s_trap 2
	ds_read_b64 v[11:12], v0
	s_andn2_b32 s41, s41, exec_lo
	s_mov_b32 s40, 0
	s_waitcnt lgkmcnt(0)
	flat_load_dword v11, v[11:12] glc dlc
	s_waitcnt vmcnt(0) lgkmcnt(0)
	buffer_gl1_inv
	buffer_gl0_inv
	v_cmp_eq_u32_e32 vcc_lo, 0, v11
	s_and_b32 s42, vcc_lo, exec_lo
	s_or_b32 s41, s41, s42
	s_mov_b32 s43, -1
	s_or_b32 s29, s29, exec_lo
	s_and_saveexec_b32 s42, s41
	s_cbranch_execz .LBB2_2008
.LBB2_2012:                             ;   in Loop: Header=BB2_2009 Depth=2
	s_sleep 1
	s_trap 2
	ds_read_b64 v[11:12], v0
	s_waitcnt lgkmcnt(0)
	buffer_gl0_inv
	s_andn2_b32 s29, s29, exec_lo
	v_cmp_ge_u64_e32 vcc_lo, v[11:12], v[26:27]
	s_orn2_b32 s43, vcc_lo, exec_lo
	s_branch .LBB2_2008
.LBB2_2013:                             ;   in Loop: Header=BB2_49 Depth=1
	s_inst_prefetch 0x2
	s_or_b32 exec_lo, exec_lo, s27
	s_and_saveexec_b32 s27, s28
	s_xor_b32 s27, exec_lo, s27
	s_cbranch_execz .LBB2_2015
; %bb.2014:                             ;   in Loop: Header=BB2_49 Depth=1
	ds_write_b32 v0, v86
	s_trap 2
.LBB2_2015:                             ;   in Loop: Header=BB2_49 Depth=1
	s_or_b32 exec_lo, exec_lo, s26
	;;#ASMSTART
	s_wakeup
	;;#ASMEND
.LBB2_2016:                             ;   in Loop: Header=BB2_49 Depth=1
	s_or_b32 exec_lo, exec_lo, s25
.LBB2_2017:                             ;   in Loop: Header=BB2_49 Depth=1
	s_andn2_saveexec_b32 s24, s24
	s_cbranch_execz .LBB2_2019
; %bb.2018:                             ;   in Loop: Header=BB2_49 Depth=1
	s_waitcnt vmcnt(0) lgkmcnt(0)
	s_waitcnt_vscnt null, 0x0
	buffer_gl1_inv
	buffer_gl0_inv
	s_barrier
.LBB2_2019:                             ;   in Loop: Header=BB2_49 Depth=1
	s_or_b32 exec_lo, exec_lo, s24
.LBB2_2020:                             ;   in Loop: Header=BB2_49 Depth=1
	s_or_b32 exec_lo, exec_lo, s13
	s_trap 2
	ds_read_b32 v11, v0
	v_cmp_lt_i32_e32 vcc_lo, 0, v10
	s_waitcnt lgkmcnt(0)
	v_readfirstlane_b32 s13, v11
	v_and_b32_e32 v11, 16, v68
	s_cmp_eq_u32 s13, 0
	v_cmp_ne_u32_e64 s13, 0, v11
	s_cselect_b32 s24, -1, 0
	s_and_b32 s24, vcc_lo, s24
	s_and_b32 s24, s13, s24
	s_and_saveexec_b32 s13, s24
	s_cbranch_execz .LBB2_2022
; %bb.2021:                             ;   in Loop: Header=BB2_49 Depth=1
	s_waitcnt vmcnt(0)
	s_waitcnt_vscnt null, 0x0
	buffer_gl1_inv
	buffer_gl0_inv
.LBB2_2022:                             ;   in Loop: Header=BB2_49 Depth=1
	s_or_b32 exec_lo, exec_lo, s13
	v_cmp_ne_u32_e32 vcc_lo, 0, v11
	s_xor_b32 s13, s12, -1
	s_and_b32 s24, vcc_lo, s13
	s_and_saveexec_b32 s13, s24
	s_cbranch_execz .LBB2_2024
; %bb.2023:                             ;   in Loop: Header=BB2_49 Depth=1
	s_waitcnt vmcnt(0)
	s_waitcnt_vscnt null, 0x0
	flat_store_dword v[34:35], v86
.LBB2_2024:                             ;   in Loop: Header=BB2_49 Depth=1
	s_or_b32 exec_lo, exec_lo, s13
	v_and_b32_e32 v10, 48, v68
	s_mov_b32 s13, exec_lo
	v_cmpx_ne_u32_e32 0, v10
	s_cbranch_execz .LBB2_47
; %bb.2025:                             ;   in Loop: Header=BB2_49 Depth=1
	v_add_co_u32 v8, vcc_lo, v8, 1
	v_add_co_ci_u32_e64 v9, null, 0, v9, vcc_lo
	s_waitcnt vmcnt(0) lgkmcnt(0)
	s_waitcnt_vscnt null, 0x0
	flat_store_dwordx2 v[22:23], v[8:9]
	s_branch .LBB2_47
.LBB2_2026:
	s_or_b32 exec_lo, exec_lo, s21
.LBB2_2027:
	s_or_b32 exec_lo, exec_lo, s19
                                        ; implicit-def: $vgpr18_vgpr19
                                        ; implicit-def: $vgpr4_vgpr5
                                        ; implicit-def: $vgpr69
                                        ; implicit-def: $vgpr28_vgpr29
                                        ; implicit-def: $vgpr24_vgpr25
                                        ; implicit-def: $vgpr22_vgpr23
                                        ; implicit-def: $vgpr0
                                        ; implicit-def: $vgpr38
                                        ; implicit-def: $vgpr32
.LBB2_2028:
	s_andn2_saveexec_b32 s14, s18
	s_cbranch_execz .LBB2_4000
; %bb.2029:
	v_mov_b32_e32 v26, 0
	v_mov_b32_e32 v27, 0
	s_mov_b32 s18, exec_lo
	v_cmpx_ne_u64_e32 0, v[4:5]
	s_cbranch_execz .LBB2_3999
; %bb.2030:
	v_and_b32_e32 v10, 31, v31
	v_and_b32_e32 v66, 31, v0
	v_lshrrev_b32_e32 v67, 5, v1
	s_ashr_i32 s6, s16, 31
	v_cmp_eq_u32_e32 vcc_lo, 32, v1
	s_lshr_b32 s6, s6, 24
	v_mov_b32_e32 v36, 0
	v_mov_b32_e32 v26, 0
	v_cmp_ge_u32_e64 s5, v0, v1
	s_add_i32 s12, s16, s6
	v_cmp_ne_u32_e64 s6, 32, v1
	s_waitcnt vmcnt(0)
	v_cmp_ne_u32_sdwa s19, v1, v30 src0_sel:DWORD src1_sel:WORD_0
	v_cmp_eq_u32_e64 s7, 0, v10
	s_waitcnt lgkmcnt(1)
	v_mov_b32_e32 v35, 0
	v_cmp_le_u32_e64 s10, v66, v38
	v_cmp_eq_u32_e64 s11, 0, v66
	v_lshrrev_b32_e32 v70, 5, v0
	v_lshlrev_b32_e32 v71, 4, v0
	v_lshlrev_b32_e32 v80, 9, v67
	;; [unrolled: 1-line block ×3, first 2 shown]
	v_and_b32_e32 v82, 0x1fe0, v1
	v_mov_b32_e32 v37, 0
	v_mov_b32_e32 v83, 1
	;; [unrolled: 1-line block ×8, first 2 shown]
	s_ashr_i32 s21, s12, 8
	s_mov_b32 s20, 0
	s_xor_b32 s22, vcc_lo, -1
	s_trap 2
	s_branch .LBB2_2033
.LBB2_2031:                             ;   in Loop: Header=BB2_2033 Depth=1
	s_or_b32 exec_lo, exec_lo, s12
.LBB2_2032:                             ;   in Loop: Header=BB2_2033 Depth=1
	s_or_b32 exec_lo, exec_lo, s13
	v_add_co_u32 v36, vcc_lo, v36, v32
	v_add_co_ci_u32_e64 v37, null, 0, v37, vcc_lo
	v_cmp_ge_u64_e32 vcc_lo, v[36:37], v[4:5]
	s_or_b32 s20, vcc_lo, s20
	s_andn2_b32 exec_lo, exec_lo, s20
	s_cbranch_execz .LBB2_3998
.LBB2_2033:                             ; =>This Loop Header: Depth=1
                                        ;     Child Loop BB2_2042 Depth 2
                                        ;     Child Loop BB2_2066 Depth 2
                                        ;     Child Loop BB2_2085 Depth 2
                                        ;     Child Loop BB2_2110 Depth 2
                                        ;     Child Loop BB2_2819 Depth 2
                                        ;     Child Loop BB2_3529 Depth 2
                                        ;     Child Loop BB2_3886 Depth 2
                                        ;     Child Loop BB2_3936 Depth 2
                                        ;     Child Loop BB2_3959 Depth 2
                                        ;     Child Loop BB2_3983 Depth 2
	v_sub_co_u32 v10, vcc_lo, v4, v36
	v_sub_co_ci_u32_e64 v11, null, v5, v37, vcc_lo
	v_mov_b32_e32 v14, 0
	v_cmp_lt_u64_e32 vcc_lo, v[32:33], v[10:11]
	v_cndmask_b32_e32 v38, v10, v32, vcc_lo
	v_cndmask_b32_e64 v39, v11, 0, vcc_lo
	v_add_nc_u32_e32 v10, 15, v38
	v_cmp_eq_u64_e32 vcc_lo, 0, v[38:39]
	v_and_b32_e32 v10, 0x7ffffff0, v10
	s_or_b32 s23, s5, vcc_lo
	s_xor_b32 s12, s23, -1
	v_max_i32_e32 v39, s21, v10
	s_and_saveexec_b32 s24, s12
	s_cbranch_execz .LBB2_3952
; %bb.2034:                             ;   in Loop: Header=BB2_2033 Depth=1
	s_and_saveexec_b32 s13, s4
	s_cbranch_execz .LBB2_2036
; %bb.2035:                             ;   in Loop: Header=BB2_2033 Depth=1
	s_trap 2
	ds_read2_b64 v[10:13], v0 offset1:1
	ds_read_b64 v[14:15], v0
	v_add_co_u32 v16, vcc_lo, v36, v18
	v_add_co_ci_u32_e64 v17, null, v37, v19, vcc_lo
	s_waitcnt lgkmcnt(1)
	v_add_co_u32 v10, vcc_lo, v10, v16
	v_add_co_ci_u32_e64 v11, null, v11, v17, vcc_lo
	s_waitcnt lgkmcnt(0)
	v_add_co_u32 v34, vcc_lo, v14, v16
	v_add_co_ci_u32_e64 v48, null, v15, v17, vcc_lo
	v_cmp_ne_u64_e32 vcc_lo, 0, v[14:15]
	v_add_co_u32 v12, s12, v12, v16
	v_add_co_ci_u32_e64 v13, null, v13, v17, s12
	v_cndmask_b32_e32 v15, 0, v48, vcc_lo
	v_cndmask_b32_e32 v14, 0, v34, vcc_lo
	ds_write_b64 v0, v[10:11]
	ds_write_b64 v0, v[12:13]
	ds_write_b64 v0, v[14:15]
.LBB2_2036:                             ;   in Loop: Header=BB2_2033 Depth=1
	s_or_b32 exec_lo, exec_lo, s13
	v_and_b32_e32 v10, 4, v68
	s_mov_b32 s13, exec_lo
	v_cmpx_ne_u32_e32 0, v10
	s_cbranch_execz .LBB2_2058
; %bb.2037:                             ;   in Loop: Header=BB2_2033 Depth=1
	s_waitcnt lgkmcnt(0)
	v_add_co_u32 v10, vcc_lo, v8, 1
	v_add_co_ci_u32_e64 v11, null, 0, v9, vcc_lo
	s_mov_b32 s25, exec_lo
	s_waitcnt vmcnt(0)
	v_cmpx_lt_u64_e64 v[28:29], v[10:11]
	s_cbranch_execz .LBB2_2049
; %bb.2038:                             ;   in Loop: Header=BB2_2033 Depth=1
	v_and_b32_e32 v9, 64, v68
	s_mov_b32 s26, 0
	s_mov_b32 s40, 0
                                        ; implicit-def: $sgpr27
                                        ; implicit-def: $sgpr28
                                        ; implicit-def: $sgpr29
	v_cmp_eq_u32_e32 vcc_lo, 0, v9
	s_branch .LBB2_2042
.LBB2_2039:                             ;   in Loop: Header=BB2_2042 Depth=2
	s_waitcnt vmcnt(0) lgkmcnt(0)
	v_cmp_ge_u64_e64 s12, v[28:29], v[10:11]
	s_or_b32 s43, s43, exec_lo
	s_orn2_b32 s42, s12, exec_lo
.LBB2_2040:                             ;   in Loop: Header=BB2_2042 Depth=2
	s_or_b32 exec_lo, exec_lo, s45
	s_andn2_b32 s12, s29, exec_lo
	s_and_b32 s29, s43, exec_lo
	s_andn2_b32 s28, s28, exec_lo
	s_and_b32 s42, s42, exec_lo
	s_or_b32 s29, s12, s29
	s_or_b32 s28, s28, s42
.LBB2_2041:                             ;   in Loop: Header=BB2_2042 Depth=2
	s_or_b32 exec_lo, exec_lo, s41
	s_and_b32 s12, exec_lo, s28
	s_or_b32 s26, s12, s26
	s_andn2_b32 s12, s27, exec_lo
	s_and_b32 s27, s29, exec_lo
	s_or_b32 s27, s12, s27
	s_andn2_b32 exec_lo, exec_lo, s26
	s_cbranch_execz .LBB2_2046
.LBB2_2042:                             ;   Parent Loop BB2_2033 Depth=1
                                        ; =>  This Inner Loop Header: Depth=2
	s_sleep 1
	s_waitcnt vmcnt(0) lgkmcnt(0)
	flat_load_dwordx2 v[28:29], v[22:23] glc dlc
	s_or_b32 s29, s29, exec_lo
	s_or_b32 s28, s28, exec_lo
                                        ; implicit-def: $vgpr9
	s_and_saveexec_b32 s41, vcc_lo
	s_cbranch_execz .LBB2_2041
; %bb.2043:                             ;   in Loop: Header=BB2_2042 Depth=2
	s_cmpk_lt_i32 s40, 0x270f
	s_mov_b32 s42, -1
	s_cselect_b32 s44, -1, 0
	s_cmpk_gt_i32 s40, 0x270e
	s_cbranch_scc0 .LBB2_2045
; %bb.2044:                             ;   in Loop: Header=BB2_2042 Depth=2
	s_trap 2
	ds_read_b64 v[12:13], v0
	s_andn2_b32 s40, s44, exec_lo
	s_mov_b32 s43, 0
	s_waitcnt vmcnt(0) lgkmcnt(0)
	s_waitcnt_vscnt null, 0x0
	flat_load_dword v9, v[12:13] glc dlc
	s_waitcnt vmcnt(0) lgkmcnt(0)
	buffer_gl1_inv
	buffer_gl0_inv
	v_cmp_eq_u32_e64 s12, 0, v9
	s_and_b32 s12, s12, exec_lo
	s_or_b32 s44, s40, s12
	s_mov_b32 s40, 0
	s_and_saveexec_b32 s45, s44
	s_cbranch_execz .LBB2_2040
	s_branch .LBB2_2039
.LBB2_2045:                             ;   in Loop: Header=BB2_2042 Depth=2
	s_add_i32 s40, s40, 1
	s_mov_b32 s43, -1
                                        ; implicit-def: $vgpr9
	s_and_saveexec_b32 s45, s44
	s_cbranch_execz .LBB2_2040
	s_branch .LBB2_2039
.LBB2_2046:                             ;   in Loop: Header=BB2_2033 Depth=1
	s_or_b32 exec_lo, exec_lo, s26
	s_xor_b32 s12, s27, -1
	s_and_saveexec_b32 s26, s12
	s_xor_b32 s12, exec_lo, s26
	s_cbranch_execz .LBB2_2048
; %bb.2047:                             ;   in Loop: Header=BB2_2033 Depth=1
	v_or_b32_e32 v68, 64, v68
	s_waitcnt vmcnt(0) lgkmcnt(0)
	s_waitcnt_vscnt null, 0x0
	ds_write_b32 v0, v9
	s_trap 2
.LBB2_2048:                             ;   in Loop: Header=BB2_2033 Depth=1
	s_or_b32 exec_lo, exec_lo, s12
.LBB2_2049:                             ;   in Loop: Header=BB2_2033 Depth=1
	s_or_b32 exec_lo, exec_lo, s25
	v_and_b32_e32 v9, 0x100, v68
	v_and_b32_e32 v14, 7, v8
	s_mov_b32 s12, -1
	;;#ASMSTART
	s_wakeup
	;;#ASMEND
	v_cmp_ne_u32_e32 vcc_lo, 0, v9
                                        ; implicit-def: $vgpr8_vgpr9
	s_and_saveexec_b32 s25, vcc_lo
	s_cbranch_execz .LBB2_2053
; %bb.2050:                             ;   in Loop: Header=BB2_2033 Depth=1
	v_mad_u64_u32 v[12:13], null, v14, 24, v[6:7]
	flat_load_dword v8, v[12:13]
	s_waitcnt vmcnt(0) lgkmcnt(0)
	v_cmp_eq_u32_e64 s12, 1, v8
	v_cmp_ne_u32_e32 vcc_lo, 1, v8
                                        ; implicit-def: $vgpr8_vgpr9
	s_and_saveexec_b32 s26, s12
	s_cbranch_execz .LBB2_2052
; %bb.2051:                             ;   in Loop: Header=BB2_2033 Depth=1
	flat_load_dword v8, v[12:13] offset:4 glc dlc
	s_waitcnt vmcnt(0) lgkmcnt(0)
	v_ashrrev_i32_e32 v9, 31, v8
.LBB2_2052:                             ;   in Loop: Header=BB2_2033 Depth=1
	s_or_b32 exec_lo, exec_lo, s26
	s_orn2_b32 s12, vcc_lo, exec_lo
.LBB2_2053:                             ;   in Loop: Header=BB2_2033 Depth=1
	s_or_b32 exec_lo, exec_lo, s25
	s_and_saveexec_b32 s25, s12
; %bb.2054:                             ;   in Loop: Header=BB2_2033 Depth=1
	v_mad_i64_i32 v[8:9], null, v14, v69, 0
; %bb.2055:                             ;   in Loop: Header=BB2_2033 Depth=1
	s_or_b32 exec_lo, exec_lo, s25
	v_add_co_u32 v8, vcc_lo, v24, v8
	v_and_b32_e32 v12, 0x2000, v68
	v_add_co_ci_u32_e64 v9, null, v25, v9, vcc_lo
	s_mov_b32 s12, exec_lo
	ds_write_b64 v0, v[8:9] offset:728
	v_cmpx_ne_u32_e32 0, v12
	s_cbranch_execz .LBB2_2057
; %bb.2056:                             ;   in Loop: Header=BB2_2033 Depth=1
	ds_read_b64 v[8:9], v0 offset:872
	s_waitcnt lgkmcnt(0)
	v_add_co_u32 v8, vcc_lo, v8, 1
	v_add_co_ci_u32_e64 v9, null, 0, v9, vcc_lo
	ds_write_b64 v0, v[8:9] offset:872
.LBB2_2057:                             ;   in Loop: Header=BB2_2033 Depth=1
	s_or_b32 exec_lo, exec_lo, s12
	v_mov_b32_e32 v8, v10
	v_mov_b32_e32 v9, v11
.LBB2_2058:                             ;   in Loop: Header=BB2_2033 Depth=1
	s_or_b32 exec_lo, exec_lo, s13
	s_and_saveexec_b32 s12, s6
	s_cbranch_execz .LBB2_2077
; %bb.2059:                             ;   in Loop: Header=BB2_2033 Depth=1
	s_and_saveexec_b32 s13, s19
	s_xor_b32 s13, exec_lo, s13
	s_cbranch_execz .LBB2_2074
; %bb.2060:                             ;   in Loop: Header=BB2_2033 Depth=1
	s_and_saveexec_b32 s25, s7
	s_cbranch_execz .LBB2_2073
; %bb.2061:                             ;   in Loop: Header=BB2_2033 Depth=1
	s_mov_b32 s27, exec_lo
	s_mov_b32 s26, exec_lo
	v_mbcnt_lo_u32_b32 v10, s27, 0
	s_waitcnt vmcnt(0) lgkmcnt(0)
	s_waitcnt_vscnt null, 0x0
	buffer_gl1_inv
	buffer_gl0_inv
	v_cmpx_eq_u32_e32 0, v10
	s_cbranch_execz .LBB2_2063
; %bb.2062:                             ;   in Loop: Header=BB2_2033 Depth=1
	s_bcnt1_i32_b32 s27, s27
	v_mov_b32_e32 v34, s27
	ds_add_u64 v0, v[34:35]
	s_trap 2
.LBB2_2063:                             ;   in Loop: Header=BB2_2033 Depth=1
	s_or_b32 exec_lo, exec_lo, s26
	s_trap 2
	ds_read_b64 v[10:11], v0
	s_waitcnt lgkmcnt(0)
	buffer_gl0_inv
	v_add_co_u32 v26, vcc_lo, v26, v67
	v_add_co_ci_u32_e64 v27, null, 0, v27, vcc_lo
	s_mov_b32 s26, exec_lo
	v_cmpx_lt_u64_e64 v[10:11], v[26:27]
	s_cbranch_execz .LBB2_2072
; %bb.2064:                             ;   in Loop: Header=BB2_2033 Depth=1
	s_mov_b32 s27, 0
	s_mov_b32 s40, 0
                                        ; implicit-def: $sgpr28
                                        ; implicit-def: $sgpr29
	s_inst_prefetch 0x1
	s_branch .LBB2_2066
	.p2align	6
.LBB2_2065:                             ;   in Loop: Header=BB2_2066 Depth=2
	s_or_b32 exec_lo, exec_lo, s42
	s_and_b32 s41, exec_lo, s43
	s_or_b32 s27, s41, s27
	s_andn2_b32 s28, s28, exec_lo
	s_and_b32 s41, s29, exec_lo
	s_or_b32 s28, s28, s41
	s_andn2_b32 exec_lo, exec_lo, s27
	s_cbranch_execz .LBB2_2070
.LBB2_2066:                             ;   Parent Loop BB2_2033 Depth=1
                                        ; =>  This Inner Loop Header: Depth=2
	s_add_i32 s40, s40, 1
	s_cmpk_lg_i32 s40, 0x2710
	s_cselect_b32 s41, -1, 0
	s_and_b32 vcc_lo, exec_lo, s41
	s_cbranch_vccz .LBB2_2068
; %bb.2067:                             ;   in Loop: Header=BB2_2066 Depth=2
	s_mov_b32 s43, -1
	s_or_b32 s29, s29, exec_lo
	s_and_saveexec_b32 s42, s41
	s_cbranch_execz .LBB2_2065
	s_branch .LBB2_2069
	.p2align	6
.LBB2_2068:                             ;   in Loop: Header=BB2_2066 Depth=2
	s_trap 2
	ds_read_b64 v[10:11], v0
	s_andn2_b32 s41, s41, exec_lo
	s_mov_b32 s40, 0
	s_waitcnt lgkmcnt(0)
	flat_load_dword v10, v[10:11] glc dlc
	s_waitcnt vmcnt(0) lgkmcnt(0)
	buffer_gl1_inv
	buffer_gl0_inv
	v_cmp_eq_u32_e32 vcc_lo, 0, v10
	s_and_b32 s42, vcc_lo, exec_lo
	s_or_b32 s41, s41, s42
	s_mov_b32 s43, -1
	s_or_b32 s29, s29, exec_lo
	s_and_saveexec_b32 s42, s41
	s_cbranch_execz .LBB2_2065
.LBB2_2069:                             ;   in Loop: Header=BB2_2066 Depth=2
	s_sleep 1
	s_trap 2
	ds_read_b64 v[10:11], v0
	s_waitcnt lgkmcnt(0)
	buffer_gl0_inv
	s_andn2_b32 s29, s29, exec_lo
	v_cmp_ge_u64_e32 vcc_lo, v[10:11], v[26:27]
	s_orn2_b32 s43, vcc_lo, exec_lo
	s_branch .LBB2_2065
.LBB2_2070:                             ;   in Loop: Header=BB2_2033 Depth=1
	s_inst_prefetch 0x2
	s_or_b32 exec_lo, exec_lo, s27
	s_and_saveexec_b32 s27, s28
	s_xor_b32 s27, exec_lo, s27
	s_cbranch_execz .LBB2_2072
; %bb.2071:                             ;   in Loop: Header=BB2_2033 Depth=1
	ds_write_b32 v0, v83
	s_trap 2
.LBB2_2072:                             ;   in Loop: Header=BB2_2033 Depth=1
	s_or_b32 exec_lo, exec_lo, s26
	;;#ASMSTART
	s_wakeup
	;;#ASMEND
.LBB2_2073:                             ;   in Loop: Header=BB2_2033 Depth=1
	s_or_b32 exec_lo, exec_lo, s25
.LBB2_2074:                             ;   in Loop: Header=BB2_2033 Depth=1
	s_andn2_saveexec_b32 s13, s13
	s_cbranch_execz .LBB2_2076
; %bb.2075:                             ;   in Loop: Header=BB2_2033 Depth=1
	s_waitcnt vmcnt(0) lgkmcnt(0)
	s_waitcnt_vscnt null, 0x0
	buffer_gl1_inv
	buffer_gl0_inv
	s_barrier
.LBB2_2076:                             ;   in Loop: Header=BB2_2033 Depth=1
	s_or_b32 exec_lo, exec_lo, s13
.LBB2_2077:                             ;   in Loop: Header=BB2_2033 Depth=1
	s_or_b32 exec_lo, exec_lo, s12
	s_trap 2
	ds_read_b32 v10, v0
	v_and_b32_e32 v11, 0x4000, v68
	v_cmp_ne_u32_e32 vcc_lo, 0, v11
	s_and_b32 s13, s22, vcc_lo
	s_and_saveexec_b32 s12, s13
	s_cbranch_execz .LBB2_2096
; %bb.2078:                             ;   in Loop: Header=BB2_2033 Depth=1
	s_and_saveexec_b32 s13, s19
	s_xor_b32 s13, exec_lo, s13
	s_cbranch_execz .LBB2_2093
; %bb.2079:                             ;   in Loop: Header=BB2_2033 Depth=1
	s_and_saveexec_b32 s25, s7
	s_cbranch_execz .LBB2_2092
; %bb.2080:                             ;   in Loop: Header=BB2_2033 Depth=1
	s_mov_b32 s27, exec_lo
	s_mov_b32 s26, exec_lo
	v_mbcnt_lo_u32_b32 v11, s27, 0
	s_waitcnt vmcnt(0) lgkmcnt(0)
	s_waitcnt_vscnt null, 0x0
	buffer_gl1_inv
	buffer_gl0_inv
	v_cmpx_eq_u32_e32 0, v11
	s_cbranch_execz .LBB2_2082
; %bb.2081:                             ;   in Loop: Header=BB2_2033 Depth=1
	s_bcnt1_i32_b32 s27, s27
	v_mov_b32_e32 v34, s27
	ds_add_u64 v0, v[34:35]
	s_trap 2
.LBB2_2082:                             ;   in Loop: Header=BB2_2033 Depth=1
	s_or_b32 exec_lo, exec_lo, s26
	s_trap 2
	ds_read_b64 v[11:12], v0
	s_waitcnt lgkmcnt(0)
	buffer_gl0_inv
	v_add_co_u32 v26, vcc_lo, v26, v67
	v_add_co_ci_u32_e64 v27, null, 0, v27, vcc_lo
	s_mov_b32 s26, exec_lo
	v_cmpx_lt_u64_e64 v[11:12], v[26:27]
	s_cbranch_execz .LBB2_2091
; %bb.2083:                             ;   in Loop: Header=BB2_2033 Depth=1
	s_mov_b32 s27, 0
	s_mov_b32 s40, 0
                                        ; implicit-def: $sgpr28
                                        ; implicit-def: $sgpr29
	s_inst_prefetch 0x1
	s_branch .LBB2_2085
	.p2align	6
.LBB2_2084:                             ;   in Loop: Header=BB2_2085 Depth=2
	s_or_b32 exec_lo, exec_lo, s42
	s_and_b32 s41, exec_lo, s43
	s_or_b32 s27, s41, s27
	s_andn2_b32 s28, s28, exec_lo
	s_and_b32 s41, s29, exec_lo
	s_or_b32 s28, s28, s41
	s_andn2_b32 exec_lo, exec_lo, s27
	s_cbranch_execz .LBB2_2089
.LBB2_2085:                             ;   Parent Loop BB2_2033 Depth=1
                                        ; =>  This Inner Loop Header: Depth=2
	s_add_i32 s40, s40, 1
	s_cmpk_lg_i32 s40, 0x2710
	s_cselect_b32 s41, -1, 0
	s_and_b32 vcc_lo, exec_lo, s41
	s_cbranch_vccz .LBB2_2087
; %bb.2086:                             ;   in Loop: Header=BB2_2085 Depth=2
	s_mov_b32 s43, -1
	s_or_b32 s29, s29, exec_lo
	s_and_saveexec_b32 s42, s41
	s_cbranch_execz .LBB2_2084
	s_branch .LBB2_2088
	.p2align	6
.LBB2_2087:                             ;   in Loop: Header=BB2_2085 Depth=2
	s_trap 2
	ds_read_b64 v[11:12], v0
	s_andn2_b32 s41, s41, exec_lo
	s_mov_b32 s40, 0
	s_waitcnt lgkmcnt(0)
	flat_load_dword v11, v[11:12] glc dlc
	s_waitcnt vmcnt(0) lgkmcnt(0)
	buffer_gl1_inv
	buffer_gl0_inv
	v_cmp_eq_u32_e32 vcc_lo, 0, v11
	s_and_b32 s42, vcc_lo, exec_lo
	s_or_b32 s41, s41, s42
	s_mov_b32 s43, -1
	s_or_b32 s29, s29, exec_lo
	s_and_saveexec_b32 s42, s41
	s_cbranch_execz .LBB2_2084
.LBB2_2088:                             ;   in Loop: Header=BB2_2085 Depth=2
	s_sleep 1
	s_trap 2
	ds_read_b64 v[11:12], v0
	s_waitcnt lgkmcnt(0)
	buffer_gl0_inv
	s_andn2_b32 s29, s29, exec_lo
	v_cmp_ge_u64_e32 vcc_lo, v[11:12], v[26:27]
	s_orn2_b32 s43, vcc_lo, exec_lo
	s_branch .LBB2_2084
.LBB2_2089:                             ;   in Loop: Header=BB2_2033 Depth=1
	s_inst_prefetch 0x2
	s_or_b32 exec_lo, exec_lo, s27
	s_and_saveexec_b32 s27, s28
	s_xor_b32 s27, exec_lo, s27
	s_cbranch_execz .LBB2_2091
; %bb.2090:                             ;   in Loop: Header=BB2_2033 Depth=1
	ds_write_b32 v0, v83
	s_trap 2
.LBB2_2091:                             ;   in Loop: Header=BB2_2033 Depth=1
	s_or_b32 exec_lo, exec_lo, s26
	;;#ASMSTART
	s_wakeup
	;;#ASMEND
.LBB2_2092:                             ;   in Loop: Header=BB2_2033 Depth=1
	s_or_b32 exec_lo, exec_lo, s25
.LBB2_2093:                             ;   in Loop: Header=BB2_2033 Depth=1
	s_andn2_saveexec_b32 s13, s13
	s_cbranch_execz .LBB2_2095
; %bb.2094:                             ;   in Loop: Header=BB2_2033 Depth=1
	s_waitcnt vmcnt(0) lgkmcnt(0)
	s_waitcnt_vscnt null, 0x0
	buffer_gl1_inv
	buffer_gl0_inv
	s_barrier
.LBB2_2095:                             ;   in Loop: Header=BB2_2033 Depth=1
	s_or_b32 exec_lo, exec_lo, s13
.LBB2_2096:                             ;   in Loop: Header=BB2_2033 Depth=1
	s_or_b32 exec_lo, exec_lo, s12
	s_trap 2
	ds_read_b64 v[48:49], v0
	v_min_u32_e32 v39, v39, v38
	s_waitcnt lgkmcnt(0)
	v_cmp_eq_u64_e32 vcc_lo, 0, v[48:49]
	s_cbranch_vccnz .LBB2_2104
; %bb.2097:                             ;   in Loop: Header=BB2_2033 Depth=1
	s_trap 2
	ds_read_b64 v[50:51], v0
	s_waitcnt lgkmcnt(0)
	v_cmp_eq_u64_e32 vcc_lo, 0, v[50:51]
	s_cbranch_vccnz .LBB2_2104
; %bb.2098:                             ;   in Loop: Header=BB2_2033 Depth=1
	s_trap 2
	ds_read_b64 v[11:12], v0
	s_mov_b32 s12, -1
	s_waitcnt lgkmcnt(0)
	v_readfirstlane_b32 s25, v11
	s_and_saveexec_b32 s13, s10
	s_cbranch_execz .LBB2_2100
; %bb.2099:                             ;   in Loop: Header=BB2_2033 Depth=1
	ds_read_b32 v11, v0 offset:720
	s_waitcnt lgkmcnt(0)
	v_and_b32_e32 v11, 15, v11
	v_cmp_eq_u32_e32 vcc_lo, 0, v11
	s_orn2_b32 s12, vcc_lo, exec_lo
.LBB2_2100:                             ;   in Loop: Header=BB2_2033 Depth=1
	s_or_b32 exec_lo, exec_lo, s13
	s_and_saveexec_b32 s13, s11
	s_cbranch_execz .LBB2_2102
; %bb.2101:                             ;   in Loop: Header=BB2_2033 Depth=1
	ds_read_b32 v11, v0 offset:784
	s_waitcnt lgkmcnt(0)
	v_and_b32_e32 v11, 15, v11
	v_cmp_eq_u32_e32 vcc_lo, 0, v11
	s_and_b32 s26, s12, vcc_lo
	s_andn2_b32 s12, s12, exec_lo
	s_and_b32 s26, s26, exec_lo
	s_or_b32 s12, s12, s26
.LBB2_2102:                             ;   in Loop: Header=BB2_2033 Depth=1
	s_or_b32 exec_lo, exec_lo, s13
	v_cmp_eq_u32_e32 vcc_lo, 0, v10
	s_xor_b32 s12, s12, -1
	v_mov_b32_e32 v97, 0
	v_cndmask_b32_e64 v11, 0, 1, s12
	v_mov_b32_e32 v16, v0
	v_cndmask_b32_e32 v34, 0, v39, vcc_lo
	s_mov_b32 s26, -1
	v_cmp_ne_u32_e32 vcc_lo, 0, v11
	v_mov_b32_e32 v98, v34
	s_cbranch_vccz .LBB2_2105
; %bb.2103:                             ;   in Loop: Header=BB2_2033 Depth=1
	s_and_saveexec_b32 s13, s26
	s_cbranch_execnz .LBB2_3524
	s_branch .LBB2_3928
.LBB2_2104:                             ;   in Loop: Header=BB2_2033 Depth=1
	s_mov_b32 s12, 0
	s_and_saveexec_b32 s13, s6
	s_cbranch_execnz .LBB2_3929
	s_branch .LBB2_3947
.LBB2_2105:                             ;   in Loop: Header=BB2_2033 Depth=1
	v_lshrrev_b32_e32 v10, 9, v34
	v_and_b32_e32 v97, 0x1ff, v34
	v_sub_nc_u32_e32 v98, v34, v71
	s_mov_b32 s26, exec_lo
	v_sub_nc_u32_e32 v10, v10, v70
	v_cmp_lt_u32_e64 s12, 15, v97
	v_add_co_ci_u32_e64 v99, null, 0, v10, s12
	v_cmpx_lt_i32_e32 15, v98
	s_cbranch_execz .LBB2_2813
; %bb.2106:                             ;   in Loop: Header=BB2_2033 Depth=1
	s_trap 2
	ds_read_b64 v[10:11], v0
	v_add_co_u32 v52, vcc_lo, v48, v71
	v_add_co_ci_u32_e64 v53, null, 0, v49, vcc_lo
	s_bitcmp1_b32 s25, 0
	s_mov_b32 s27, 0
	s_cselect_b32 s28, -1, 0
	s_waitcnt lgkmcnt(0)
	v_add_co_u32 v54, vcc_lo, v10, v71
	v_add_co_ci_u32_e64 v55, null, 0, v11, vcc_lo
	v_add_co_u32 v64, vcc_lo, v50, v71
	v_add_co_ci_u32_e64 v65, null, 0, v51, vcc_lo
	s_branch .LBB2_2110
.LBB2_2107:                             ;   in Loop: Header=BB2_2110 Depth=2
	s_or_b32 exec_lo, exec_lo, s13
	v_lshrrev_b32_e32 v12, 21, v12
	v_min_i32_e32 v13, 31, v11
	v_cmp_gt_i32_e32 vcc_lo, 32, v11
	v_and_b32_sdwa v10, v10, v85 dst_sel:DWORD dst_unused:UNUSED_PAD src0_sel:BYTE_3 src1_sel:DWORD
	v_lshlrev_b32_e32 v13, 2, v13
	v_cndmask_b32_e32 v12, 3, v12, vcc_lo
	v_and_b32_e32 v13, 0xfc, v13
	v_and_b32_e32 v17, 3, v12
	v_or_b32_e32 v11, v11, v12
	v_or3_b32 v10, v10, v13, v17
	v_cmp_ne_u32_e32 vcc_lo, 0, v11
	v_lshlrev_b32_e32 v10, 8, v10
	v_cndmask_b32_e32 v11, 0, v10, vcc_lo
.LBB2_2108:                             ;   in Loop: Header=BB2_2110 Depth=2
	s_or_b32 exec_lo, exec_lo, s40
.LBB2_2109:                             ;   in Loop: Header=BB2_2110 Depth=2
	s_or_b32 exec_lo, exec_lo, s29
	v_or_b32_sdwa v10, v15, v113 dst_sel:WORD_1 dst_unused:UNUSED_PAD src0_sel:DWORD src1_sel:DWORD
	v_or_b32_sdwa v12, v14, v102 dst_sel:WORD_1 dst_unused:UNUSED_PAD src0_sel:DWORD src1_sel:DWORD
	;; [unrolled: 1-line block ×4, first 2 shown]
	v_sub_nc_u32_e32 v98, v98, v80
	v_or3_b32 v11, v112, v103, v10
	v_or3_b32 v10, v101, v100, v12
	;; [unrolled: 1-line block ×4, first 2 shown]
	v_add_co_u32 v52, vcc_lo, v52, v80
	v_add_co_ci_u32_e64 v53, null, 0, v53, vcc_lo
	v_add_co_u32 v54, vcc_lo, v54, v80
	global_store_dwordx4 v[64:65], v[10:13], off glc slc
	v_add_co_ci_u32_e64 v55, null, 0, v55, vcc_lo
	v_cmp_gt_i32_e32 vcc_lo, 16, v98
	v_add_co_u32 v64, s13, v64, v80
	v_add_co_ci_u32_e64 v65, null, 0, v65, s13
	v_sub_nc_u32_e32 v99, v99, v67
	s_or_b32 s27, vcc_lo, s27
	s_andn2_b32 exec_lo, exec_lo, s27
	s_cbranch_execz .LBB2_2812
.LBB2_2110:                             ;   Parent Loop BB2_2033 Depth=1
                                        ; =>  This Inner Loop Header: Depth=2
	global_load_dwordx4 v[10:13], v[54:55], off slc
	global_load_dwordx4 v[14:17], v[52:53], off slc
	s_mov_b32 s13, -1
	s_waitcnt vmcnt(1)
	v_and_b32_e32 v100, 3, v10
	v_bfe_u32 v103, v10, 2, 5
	v_lshlrev_b32_e32 v112, 24, v10
	s_waitcnt vmcnt(0)
	v_cmp_gt_i16_sdwa s29, v14, v84 src0_sel:BYTE_0 src1_sel:DWORD
	v_ffbh_u32_e32 v101, v100
	v_cmp_eq_u32_e32 vcc_lo, 0, v103
	v_min_u32_e32 v101, 32, v101
	v_subrev_nc_u32_e32 v102, 29, v101
	v_sub_nc_u32_e32 v101, 30, v101
	v_lshlrev_b32_e32 v102, v102, v10
	v_cndmask_b32_e32 v101, v103, v101, vcc_lo
	v_and_b32_e32 v102, 3, v102
	v_lshl_add_u32 v101, v101, 23, 0x37800000
	v_cndmask_b32_e32 v100, v100, v102, vcc_lo
	v_and_b32_e32 v102, 0x80000000, v112
	s_and_b32 vcc_lo, exec_lo, s28
	v_lshlrev_b32_e32 v100, 21, v100
	v_or3_b32 v100, v102, v101, v100
                                        ; implicit-def: $vgpr101
	s_cbranch_vccz .LBB2_2124
; %bb.2111:                             ;   in Loop: Header=BB2_2110 Depth=2
	s_mov_b32 s13, 0
	s_and_saveexec_b32 s40, s29
	s_xor_b32 s29, exec_lo, s40
	s_cbranch_execz .LBB2_2684
; %bb.2112:                             ;   in Loop: Header=BB2_2110 Depth=2
	v_cmp_eq_u16_sdwa s41, v14, v85 src0_sel:BYTE_0 src1_sel:DWORD
	s_mov_b32 s13, -1
	s_and_saveexec_b32 s40, s41
; %bb.2113:                             ;   in Loop: Header=BB2_2110 Depth=2
	s_xor_b32 s13, exec_lo, -1
; %bb.2114:                             ;   in Loop: Header=BB2_2110 Depth=2
	s_or_b32 exec_lo, exec_lo, s40
	s_and_b32 s13, s13, exec_lo
	s_or_saveexec_b32 s29, s29
	v_mov_b32_e32 v101, 0x7f800001
	s_xor_b32 exec_lo, exec_lo, s29
	s_cbranch_execnz .LBB2_2685
.LBB2_2115:                             ;   in Loop: Header=BB2_2110 Depth=2
	s_or_b32 exec_lo, exec_lo, s29
	s_and_saveexec_b32 s29, s13
	s_cbranch_execz .LBB2_2117
.LBB2_2116:                             ;   in Loop: Header=BB2_2110 Depth=2
	v_and_b32_e32 v101, 3, v14
	v_bfe_u32 v112, v14, 2, 5
	v_lshlrev_b32_e32 v113, 24, v14
	v_ffbh_u32_e32 v102, v101
	v_cmp_eq_u32_e32 vcc_lo, 0, v112
	v_min_u32_e32 v102, 32, v102
	v_subrev_nc_u32_e32 v103, 29, v102
	v_sub_nc_u32_e32 v102, 30, v102
	v_lshlrev_b32_e32 v103, v103, v14
	v_cndmask_b32_e32 v102, v112, v102, vcc_lo
	v_and_b32_e32 v103, 3, v103
	v_lshl_add_u32 v102, v102, 23, 0x37800000
	v_cndmask_b32_e32 v101, v101, v103, vcc_lo
	v_and_b32_e32 v103, 0x80000000, v113
	v_lshlrev_b32_e32 v101, 21, v101
	v_or3_b32 v101, v103, v102, v101
.LBB2_2117:                             ;   in Loop: Header=BB2_2110 Depth=2
	s_or_b32 exec_lo, exec_lo, s29
	v_cmp_gt_i16_sdwa s29, v10, v84 src0_sel:BYTE_0 src1_sel:DWORD
	s_mov_b32 s13, 0
	s_and_saveexec_b32 s40, s29
	s_xor_b32 s29, exec_lo, s40
	s_cbranch_execz .LBB2_2686
; %bb.2118:                             ;   in Loop: Header=BB2_2110 Depth=2
	v_cmp_eq_u16_sdwa s41, v10, v85 src0_sel:BYTE_0 src1_sel:DWORD
	s_mov_b32 s13, -1
	s_and_saveexec_b32 s40, s41
; %bb.2119:                             ;   in Loop: Header=BB2_2110 Depth=2
	s_xor_b32 s13, exec_lo, -1
; %bb.2120:                             ;   in Loop: Header=BB2_2110 Depth=2
	s_or_b32 exec_lo, exec_lo, s40
	s_and_b32 s13, s13, exec_lo
	s_or_saveexec_b32 s29, s29
	v_mov_b32_e32 v102, 0x7f800001
	s_xor_b32 exec_lo, exec_lo, s29
	s_cbranch_execnz .LBB2_2687
.LBB2_2121:                             ;   in Loop: Header=BB2_2110 Depth=2
	s_or_b32 exec_lo, exec_lo, s29
	s_and_saveexec_b32 s29, s13
.LBB2_2122:                             ;   in Loop: Header=BB2_2110 Depth=2
	v_mov_b32_e32 v102, v100
.LBB2_2123:                             ;   in Loop: Header=BB2_2110 Depth=2
	s_or_b32 exec_lo, exec_lo, s29
	v_max_f32_e32 v102, v102, v102
	v_max_f32_e32 v101, v101, v101
	s_mov_b32 s13, 0
	v_max_f32_e32 v101, v101, v102
.LBB2_2124:                             ;   in Loop: Header=BB2_2110 Depth=2
	s_and_b32 vcc_lo, exec_lo, s13
	s_cbranch_vccz .LBB2_2138
; %bb.2125:                             ;   in Loop: Header=BB2_2110 Depth=2
	v_cmp_gt_i16_sdwa s29, v14, v84 src0_sel:BYTE_0 src1_sel:DWORD
	s_mov_b32 s13, 0
	s_and_saveexec_b32 s40, s29
	s_xor_b32 s29, exec_lo, s40
	s_cbranch_execz .LBB2_2688
; %bb.2126:                             ;   in Loop: Header=BB2_2110 Depth=2
	v_cmp_eq_u16_sdwa s41, v14, v85 src0_sel:BYTE_0 src1_sel:DWORD
	s_mov_b32 s13, -1
	s_and_saveexec_b32 s40, s41
; %bb.2127:                             ;   in Loop: Header=BB2_2110 Depth=2
	s_xor_b32 s13, exec_lo, -1
; %bb.2128:                             ;   in Loop: Header=BB2_2110 Depth=2
	s_or_b32 exec_lo, exec_lo, s40
	s_and_b32 s13, s13, exec_lo
	s_or_saveexec_b32 s29, s29
	v_mov_b32_e32 v101, 0x7f800001
	s_xor_b32 exec_lo, exec_lo, s29
	s_cbranch_execnz .LBB2_2689
.LBB2_2129:                             ;   in Loop: Header=BB2_2110 Depth=2
	s_or_b32 exec_lo, exec_lo, s29
	s_and_saveexec_b32 s29, s13
	s_cbranch_execz .LBB2_2131
.LBB2_2130:                             ;   in Loop: Header=BB2_2110 Depth=2
	v_and_b32_e32 v101, 3, v14
	v_bfe_u32 v112, v14, 2, 5
	v_lshlrev_b32_e32 v113, 24, v14
	v_ffbh_u32_e32 v102, v101
	v_cmp_eq_u32_e32 vcc_lo, 0, v112
	v_min_u32_e32 v102, 32, v102
	v_subrev_nc_u32_e32 v103, 29, v102
	v_sub_nc_u32_e32 v102, 30, v102
	v_lshlrev_b32_e32 v103, v103, v14
	v_cndmask_b32_e32 v102, v112, v102, vcc_lo
	v_and_b32_e32 v103, 3, v103
	v_lshl_add_u32 v102, v102, 23, 0x37800000
	v_cndmask_b32_e32 v101, v101, v103, vcc_lo
	v_and_b32_e32 v103, 0x80000000, v113
	v_lshlrev_b32_e32 v101, 21, v101
	v_or3_b32 v101, v103, v102, v101
.LBB2_2131:                             ;   in Loop: Header=BB2_2110 Depth=2
	s_or_b32 exec_lo, exec_lo, s29
	v_cmp_gt_i16_sdwa s29, v10, v84 src0_sel:BYTE_0 src1_sel:DWORD
	s_mov_b32 s13, 0
	s_and_saveexec_b32 s40, s29
	s_xor_b32 s29, exec_lo, s40
	s_cbranch_execz .LBB2_2690
; %bb.2132:                             ;   in Loop: Header=BB2_2110 Depth=2
	v_cmp_eq_u16_sdwa s41, v10, v85 src0_sel:BYTE_0 src1_sel:DWORD
	s_mov_b32 s13, -1
	s_and_saveexec_b32 s40, s41
; %bb.2133:                             ;   in Loop: Header=BB2_2110 Depth=2
	s_xor_b32 s13, exec_lo, -1
; %bb.2134:                             ;   in Loop: Header=BB2_2110 Depth=2
	s_or_b32 exec_lo, exec_lo, s40
	s_and_b32 s13, s13, exec_lo
	s_or_saveexec_b32 s29, s29
	v_mov_b32_e32 v102, 0x7f800001
	s_xor_b32 exec_lo, exec_lo, s29
	s_cbranch_execnz .LBB2_2691
.LBB2_2135:                             ;   in Loop: Header=BB2_2110 Depth=2
	s_or_b32 exec_lo, exec_lo, s29
	s_and_saveexec_b32 s29, s13
.LBB2_2136:                             ;   in Loop: Header=BB2_2110 Depth=2
	v_mov_b32_e32 v102, v100
.LBB2_2137:                             ;   in Loop: Header=BB2_2110 Depth=2
	s_or_b32 exec_lo, exec_lo, s29
	v_max_f32_e32 v100, v102, v102
	v_max_f32_e32 v101, v101, v101
	v_min_f32_e32 v101, v101, v100
.LBB2_2138:                             ;   in Loop: Header=BB2_2110 Depth=2
	v_and_b32_e32 v100, 0x7f800000, v101
	v_cmp_ne_u32_e32 vcc_lo, 0x7f800000, v100
	v_mov_b32_e32 v100, 0x80
	s_and_saveexec_b32 s29, vcc_lo
	s_cbranch_execz .LBB2_2146
; %bb.2139:                             ;   in Loop: Header=BB2_2110 Depth=2
	v_mov_b32_e32 v100, 0
	s_mov_b32 s40, exec_lo
	v_cmpx_ne_u32_e32 0, v101
	s_cbranch_execz .LBB2_2145
; %bb.2140:                             ;   in Loop: Header=BB2_2110 Depth=2
	v_bfe_u32 v100, v101, 23, 8
	v_and_b32_e32 v102, 0x7fffff, v101
	v_sub_nc_u32_e32 v103, 0x70, v100
	v_cmp_gt_u32_e32 vcc_lo, 0x71, v100
	v_or_b32_e32 v112, 0x800000, v102
	v_cndmask_b32_e32 v103, 0, v103, vcc_lo
	v_cmp_eq_u32_e32 vcc_lo, 0, v100
	v_add_nc_u32_e32 v100, 0xffffff91, v100
	v_cndmask_b32_e64 v103, v103, 0x6f, vcc_lo
	v_cndmask_b32_e32 v102, v112, v102, vcc_lo
	v_cndmask_b32_e64 v100, v100, 0xffffff92, vcc_lo
	v_lshl_add_u32 v112, 0x200000, v103, -1
	v_lshrrev_b32_e32 v113, v103, v102
	v_lshlrev_b32_e64 v115, v103, 0x100000
	v_add_nc_u32_e32 v103, v103, v100
	v_and_b32_e32 v102, v112, v102
	v_bfe_u32 v114, v113, 21, 1
	v_cmp_eq_u32_e64 s13, v102, v115
	v_add_nc_u32_e32 v112, -1, v114
	v_cndmask_b32_e64 v102, 0, v112, s13
	v_lshrrev_b32_e32 v112, 23, v113
	s_mov_b32 s13, exec_lo
	v_add_nc_u32_e32 v102, v102, v113
	v_xor_b32_e32 v112, 1, v112
	v_and_b32_e32 v100, 0x1fffff, v102
	v_add_nc_u32_e32 v102, v100, v113
                                        ; implicit-def: $vgpr100
	v_cmpx_ne_u32_e64 v103, v112
	s_xor_b32 s13, exec_lo, s13
; %bb.2141:                             ;   in Loop: Header=BB2_2110 Depth=2
	v_cmp_lt_u32_e32 vcc_lo, 0xffffff, v102
	v_sub_nc_u32_e32 v100, v103, v112
	v_cndmask_b32_e64 v103, 0, 1, vcc_lo
	v_add_co_ci_u32_e64 v100, null, 0, v100, vcc_lo
	v_lshrrev_b32_e32 v102, v103, v102
; %bb.2142:                             ;   in Loop: Header=BB2_2110 Depth=2
	s_andn2_saveexec_b32 s13, s13
; %bb.2143:                             ;   in Loop: Header=BB2_2110 Depth=2
	v_bfe_u32 v100, v102, 23, 1
; %bb.2144:                             ;   in Loop: Header=BB2_2110 Depth=2
	s_or_b32 exec_lo, exec_lo, s13
	v_lshrrev_b32_e32 v102, 21, v102
	v_min_i32_e32 v103, 31, v100
	v_cmp_gt_i32_e32 vcc_lo, 32, v100
	v_and_b32_sdwa v101, v101, v85 dst_sel:DWORD dst_unused:UNUSED_PAD src0_sel:BYTE_3 src1_sel:DWORD
	v_lshlrev_b32_e32 v103, 2, v103
	v_cndmask_b32_e32 v102, 3, v102, vcc_lo
	v_and_b32_e32 v103, 0xfc, v103
	v_and_b32_e32 v112, 3, v102
	v_or_b32_e32 v100, v100, v102
	v_or3_b32 v101, v103, v101, v112
	v_cmp_ne_u32_e32 vcc_lo, 0, v100
	v_cndmask_b32_e32 v100, 0, v101, vcc_lo
.LBB2_2145:                             ;   in Loop: Header=BB2_2110 Depth=2
	s_or_b32 exec_lo, exec_lo, s40
.LBB2_2146:                             ;   in Loop: Header=BB2_2110 Depth=2
	s_or_b32 exec_lo, exec_lo, s29
	v_and_b32_sdwa v101, v86, v10 dst_sel:DWORD dst_unused:UNUSED_PAD src0_sel:DWORD src1_sel:BYTE_1
	v_cmp_gt_i16_sdwa s29, v14, v84 src0_sel:BYTE_1 src1_sel:DWORD
	s_mov_b32 s13, -1
	v_and_b32_e32 v102, 3, v101
	v_bfe_u32 v113, v101, 2, 5
	v_ffbh_u32_e32 v103, v102
	v_cmp_eq_u32_e32 vcc_lo, 0, v113
	v_min_u32_e32 v103, 32, v103
	v_subrev_nc_u32_e32 v112, 29, v103
	v_sub_nc_u32_e32 v103, 30, v103
	v_lshlrev_b32_e32 v101, v112, v101
	v_lshlrev_b32_sdwa v112, v87, v10 dst_sel:DWORD dst_unused:UNUSED_PAD src0_sel:DWORD src1_sel:BYTE_1
	v_cndmask_b32_e32 v103, v113, v103, vcc_lo
	v_and_b32_e32 v101, 3, v101
	v_lshl_add_u32 v103, v103, 23, 0x37800000
	v_cndmask_b32_e32 v101, v102, v101, vcc_lo
	v_and_b32_e32 v102, 0x80000000, v112
	s_and_b32 vcc_lo, exec_lo, s28
	v_lshlrev_b32_e32 v101, 21, v101
	v_or3_b32 v101, v102, v103, v101
                                        ; implicit-def: $vgpr102
	s_cbranch_vccz .LBB2_2160
; %bb.2147:                             ;   in Loop: Header=BB2_2110 Depth=2
	s_mov_b32 s13, 0
	s_and_saveexec_b32 s40, s29
	s_xor_b32 s29, exec_lo, s40
	s_cbranch_execz .LBB2_2692
; %bb.2148:                             ;   in Loop: Header=BB2_2110 Depth=2
	v_cmp_eq_u16_sdwa s41, v14, v85 src0_sel:BYTE_1 src1_sel:DWORD
	s_mov_b32 s13, -1
	s_and_saveexec_b32 s40, s41
; %bb.2149:                             ;   in Loop: Header=BB2_2110 Depth=2
	s_xor_b32 s13, exec_lo, -1
; %bb.2150:                             ;   in Loop: Header=BB2_2110 Depth=2
	s_or_b32 exec_lo, exec_lo, s40
	s_and_b32 s13, s13, exec_lo
	s_or_saveexec_b32 s29, s29
	v_mov_b32_e32 v102, 0x7f800001
	s_xor_b32 exec_lo, exec_lo, s29
	s_cbranch_execnz .LBB2_2693
.LBB2_2151:                             ;   in Loop: Header=BB2_2110 Depth=2
	s_or_b32 exec_lo, exec_lo, s29
	s_and_saveexec_b32 s29, s13
	s_cbranch_execz .LBB2_2153
.LBB2_2152:                             ;   in Loop: Header=BB2_2110 Depth=2
	v_and_b32_sdwa v102, v86, v14 dst_sel:DWORD dst_unused:UNUSED_PAD src0_sel:DWORD src1_sel:BYTE_1
	v_and_b32_e32 v103, 3, v102
	v_bfe_u32 v114, v102, 2, 5
	v_ffbh_u32_e32 v112, v103
	v_cmp_eq_u32_e32 vcc_lo, 0, v114
	v_min_u32_e32 v112, 32, v112
	v_subrev_nc_u32_e32 v113, 29, v112
	v_sub_nc_u32_e32 v112, 30, v112
	v_lshlrev_b32_e32 v102, v113, v102
	v_lshlrev_b32_e32 v113, 16, v14
	v_cndmask_b32_e32 v112, v114, v112, vcc_lo
	v_and_b32_e32 v102, 3, v102
	v_lshl_add_u32 v112, v112, 23, 0x37800000
	v_cndmask_b32_e32 v102, v103, v102, vcc_lo
	v_and_b32_e32 v103, 0x80000000, v113
	v_lshlrev_b32_e32 v102, 21, v102
	v_or3_b32 v102, v103, v112, v102
.LBB2_2153:                             ;   in Loop: Header=BB2_2110 Depth=2
	s_or_b32 exec_lo, exec_lo, s29
	v_cmp_gt_i16_sdwa s29, v10, v84 src0_sel:BYTE_1 src1_sel:DWORD
	s_mov_b32 s13, 0
	s_and_saveexec_b32 s40, s29
	s_xor_b32 s29, exec_lo, s40
	s_cbranch_execz .LBB2_2694
; %bb.2154:                             ;   in Loop: Header=BB2_2110 Depth=2
	v_cmp_eq_u16_sdwa s41, v10, v85 src0_sel:BYTE_1 src1_sel:DWORD
	s_mov_b32 s13, -1
	s_and_saveexec_b32 s40, s41
; %bb.2155:                             ;   in Loop: Header=BB2_2110 Depth=2
	s_xor_b32 s13, exec_lo, -1
; %bb.2156:                             ;   in Loop: Header=BB2_2110 Depth=2
	s_or_b32 exec_lo, exec_lo, s40
	s_and_b32 s13, s13, exec_lo
	s_or_saveexec_b32 s29, s29
	v_mov_b32_e32 v103, 0x7f800001
	s_xor_b32 exec_lo, exec_lo, s29
	s_cbranch_execnz .LBB2_2695
.LBB2_2157:                             ;   in Loop: Header=BB2_2110 Depth=2
	s_or_b32 exec_lo, exec_lo, s29
	s_and_saveexec_b32 s29, s13
.LBB2_2158:                             ;   in Loop: Header=BB2_2110 Depth=2
	v_mov_b32_e32 v103, v101
.LBB2_2159:                             ;   in Loop: Header=BB2_2110 Depth=2
	s_or_b32 exec_lo, exec_lo, s29
	v_max_f32_e32 v103, v103, v103
	v_max_f32_e32 v102, v102, v102
	s_mov_b32 s13, 0
	v_max_f32_e32 v102, v102, v103
.LBB2_2160:                             ;   in Loop: Header=BB2_2110 Depth=2
	s_and_b32 vcc_lo, exec_lo, s13
	s_cbranch_vccz .LBB2_2174
; %bb.2161:                             ;   in Loop: Header=BB2_2110 Depth=2
	v_cmp_gt_i16_sdwa s29, v14, v84 src0_sel:BYTE_1 src1_sel:DWORD
	s_mov_b32 s13, 0
	s_and_saveexec_b32 s40, s29
	s_xor_b32 s29, exec_lo, s40
	s_cbranch_execz .LBB2_2696
; %bb.2162:                             ;   in Loop: Header=BB2_2110 Depth=2
	v_cmp_eq_u16_sdwa s41, v14, v85 src0_sel:BYTE_1 src1_sel:DWORD
	s_mov_b32 s13, -1
	s_and_saveexec_b32 s40, s41
; %bb.2163:                             ;   in Loop: Header=BB2_2110 Depth=2
	s_xor_b32 s13, exec_lo, -1
; %bb.2164:                             ;   in Loop: Header=BB2_2110 Depth=2
	s_or_b32 exec_lo, exec_lo, s40
	s_and_b32 s13, s13, exec_lo
	s_or_saveexec_b32 s29, s29
	v_mov_b32_e32 v102, 0x7f800001
	s_xor_b32 exec_lo, exec_lo, s29
	s_cbranch_execnz .LBB2_2697
.LBB2_2165:                             ;   in Loop: Header=BB2_2110 Depth=2
	s_or_b32 exec_lo, exec_lo, s29
	s_and_saveexec_b32 s29, s13
	s_cbranch_execz .LBB2_2167
.LBB2_2166:                             ;   in Loop: Header=BB2_2110 Depth=2
	v_and_b32_sdwa v102, v86, v14 dst_sel:DWORD dst_unused:UNUSED_PAD src0_sel:DWORD src1_sel:BYTE_1
	v_and_b32_e32 v103, 3, v102
	v_bfe_u32 v114, v102, 2, 5
	v_ffbh_u32_e32 v112, v103
	v_cmp_eq_u32_e32 vcc_lo, 0, v114
	v_min_u32_e32 v112, 32, v112
	v_subrev_nc_u32_e32 v113, 29, v112
	v_sub_nc_u32_e32 v112, 30, v112
	v_lshlrev_b32_e32 v102, v113, v102
	v_lshlrev_b32_e32 v113, 16, v14
	v_cndmask_b32_e32 v112, v114, v112, vcc_lo
	v_and_b32_e32 v102, 3, v102
	v_lshl_add_u32 v112, v112, 23, 0x37800000
	v_cndmask_b32_e32 v102, v103, v102, vcc_lo
	v_and_b32_e32 v103, 0x80000000, v113
	v_lshlrev_b32_e32 v102, 21, v102
	v_or3_b32 v102, v103, v112, v102
.LBB2_2167:                             ;   in Loop: Header=BB2_2110 Depth=2
	s_or_b32 exec_lo, exec_lo, s29
	v_cmp_gt_i16_sdwa s29, v10, v84 src0_sel:BYTE_1 src1_sel:DWORD
	s_mov_b32 s13, 0
	s_and_saveexec_b32 s40, s29
	s_xor_b32 s29, exec_lo, s40
	s_cbranch_execz .LBB2_2698
; %bb.2168:                             ;   in Loop: Header=BB2_2110 Depth=2
	v_cmp_eq_u16_sdwa s41, v10, v85 src0_sel:BYTE_1 src1_sel:DWORD
	s_mov_b32 s13, -1
	s_and_saveexec_b32 s40, s41
; %bb.2169:                             ;   in Loop: Header=BB2_2110 Depth=2
	s_xor_b32 s13, exec_lo, -1
; %bb.2170:                             ;   in Loop: Header=BB2_2110 Depth=2
	s_or_b32 exec_lo, exec_lo, s40
	s_and_b32 s13, s13, exec_lo
	s_or_saveexec_b32 s29, s29
	v_mov_b32_e32 v103, 0x7f800001
	s_xor_b32 exec_lo, exec_lo, s29
	s_cbranch_execnz .LBB2_2699
.LBB2_2171:                             ;   in Loop: Header=BB2_2110 Depth=2
	s_or_b32 exec_lo, exec_lo, s29
	s_and_saveexec_b32 s29, s13
.LBB2_2172:                             ;   in Loop: Header=BB2_2110 Depth=2
	v_mov_b32_e32 v103, v101
.LBB2_2173:                             ;   in Loop: Header=BB2_2110 Depth=2
	s_or_b32 exec_lo, exec_lo, s29
	v_max_f32_e32 v101, v103, v103
	v_max_f32_e32 v102, v102, v102
	v_min_f32_e32 v102, v102, v101
.LBB2_2174:                             ;   in Loop: Header=BB2_2110 Depth=2
	v_and_b32_e32 v101, 0x7f800000, v102
	v_cmp_ne_u32_e32 vcc_lo, 0x7f800000, v101
	v_mov_b32_e32 v101, 0x8000
	s_and_saveexec_b32 s29, vcc_lo
	s_cbranch_execz .LBB2_2182
; %bb.2175:                             ;   in Loop: Header=BB2_2110 Depth=2
	v_mov_b32_e32 v101, 0
	s_mov_b32 s40, exec_lo
	v_cmpx_ne_u32_e32 0, v102
	s_cbranch_execz .LBB2_2181
; %bb.2176:                             ;   in Loop: Header=BB2_2110 Depth=2
	v_bfe_u32 v101, v102, 23, 8
	v_and_b32_e32 v103, 0x7fffff, v102
	v_sub_nc_u32_e32 v112, 0x70, v101
	v_cmp_gt_u32_e32 vcc_lo, 0x71, v101
	v_or_b32_e32 v113, 0x800000, v103
	v_cndmask_b32_e32 v112, 0, v112, vcc_lo
	v_cmp_eq_u32_e32 vcc_lo, 0, v101
	v_add_nc_u32_e32 v101, 0xffffff91, v101
	v_cndmask_b32_e64 v112, v112, 0x6f, vcc_lo
	v_cndmask_b32_e32 v103, v113, v103, vcc_lo
	v_cndmask_b32_e64 v101, v101, 0xffffff92, vcc_lo
	v_lshl_add_u32 v113, 0x200000, v112, -1
	v_lshrrev_b32_e32 v114, v112, v103
	v_lshlrev_b32_e64 v116, v112, 0x100000
	v_add_nc_u32_e32 v112, v112, v101
	v_and_b32_e32 v103, v113, v103
	v_bfe_u32 v115, v114, 21, 1
	v_cmp_eq_u32_e64 s13, v103, v116
	v_add_nc_u32_e32 v113, -1, v115
	v_cndmask_b32_e64 v103, 0, v113, s13
	v_lshrrev_b32_e32 v113, 23, v114
	s_mov_b32 s13, exec_lo
	v_add_nc_u32_e32 v103, v103, v114
	v_xor_b32_e32 v113, 1, v113
	v_and_b32_e32 v101, 0x1fffff, v103
	v_add_nc_u32_e32 v103, v101, v114
                                        ; implicit-def: $vgpr101
	v_cmpx_ne_u32_e64 v112, v113
	s_xor_b32 s13, exec_lo, s13
; %bb.2177:                             ;   in Loop: Header=BB2_2110 Depth=2
	v_cmp_lt_u32_e32 vcc_lo, 0xffffff, v103
	v_sub_nc_u32_e32 v101, v112, v113
	v_cndmask_b32_e64 v112, 0, 1, vcc_lo
	v_add_co_ci_u32_e64 v101, null, 0, v101, vcc_lo
	v_lshrrev_b32_e32 v103, v112, v103
; %bb.2178:                             ;   in Loop: Header=BB2_2110 Depth=2
	s_andn2_saveexec_b32 s13, s13
; %bb.2179:                             ;   in Loop: Header=BB2_2110 Depth=2
	v_bfe_u32 v101, v103, 23, 1
; %bb.2180:                             ;   in Loop: Header=BB2_2110 Depth=2
	s_or_b32 exec_lo, exec_lo, s13
	v_lshrrev_b32_e32 v103, 21, v103
	v_min_i32_e32 v112, 31, v101
	v_cmp_gt_i32_e32 vcc_lo, 32, v101
	v_and_b32_sdwa v102, v102, v85 dst_sel:DWORD dst_unused:UNUSED_PAD src0_sel:BYTE_3 src1_sel:DWORD
	v_lshlrev_b32_e32 v112, 2, v112
	v_cndmask_b32_e32 v103, 3, v103, vcc_lo
	v_and_b32_e32 v112, 0xfc, v112
	v_and_b32_e32 v113, 3, v103
	v_or_b32_e32 v101, v101, v103
	v_or3_b32 v102, v102, v112, v113
	v_cmp_ne_u32_e32 vcc_lo, 0, v101
	v_lshlrev_b32_e32 v102, 8, v102
	v_cndmask_b32_e32 v101, 0, v102, vcc_lo
.LBB2_2181:                             ;   in Loop: Header=BB2_2110 Depth=2
	s_or_b32 exec_lo, exec_lo, s40
.LBB2_2182:                             ;   in Loop: Header=BB2_2110 Depth=2
	s_or_b32 exec_lo, exec_lo, s29
	v_bfe_u32 v102, v10, 16, 2
	v_bfe_u32 v113, v10, 18, 5
	v_lshlrev_b32_e32 v114, 8, v10
	s_mov_b32 s29, -1
	v_ffbh_u32_e32 v103, v102
	v_cmp_eq_u32_e32 vcc_lo, 0, v113
	v_min_u32_e32 v103, 32, v103
	v_subrev_nc_u32_e32 v112, 29, v103
	v_sub_nc_u32_e32 v103, 30, v103
	v_lshlrev_b32_sdwa v112, v112, v10 dst_sel:DWORD dst_unused:UNUSED_PAD src0_sel:DWORD src1_sel:WORD_1
	v_cndmask_b32_e32 v103, v113, v103, vcc_lo
	v_and_b32_e32 v112, 3, v112
	v_lshl_add_u32 v113, v103, 23, 0x37800000
	v_and_b32_sdwa v103, v14, v96 dst_sel:DWORD dst_unused:UNUSED_PAD src0_sel:WORD_1 src1_sel:DWORD
	v_cndmask_b32_e32 v102, v102, v112, vcc_lo
	v_and_b32_e32 v112, 0x80000000, v114
	v_cmp_lt_i16_e64 s13, 0x7f, v103
	s_and_b32 vcc_lo, exec_lo, s28
	v_lshlrev_b32_e32 v102, 21, v102
	v_or3_b32 v102, v112, v113, v102
                                        ; implicit-def: $vgpr112
	s_cbranch_vccz .LBB2_2196
; %bb.2183:                             ;   in Loop: Header=BB2_2110 Depth=2
	s_mov_b32 s29, 0
	s_and_saveexec_b32 s40, s13
	s_xor_b32 s13, exec_lo, s40
	s_cbranch_execz .LBB2_2700
; %bb.2184:                             ;   in Loop: Header=BB2_2110 Depth=2
	s_mov_b32 s29, -1
	s_mov_b32 s40, exec_lo
	v_cmpx_eq_u16_e32 0x80, v103
; %bb.2185:                             ;   in Loop: Header=BB2_2110 Depth=2
	s_xor_b32 s29, exec_lo, -1
; %bb.2186:                             ;   in Loop: Header=BB2_2110 Depth=2
	s_or_b32 exec_lo, exec_lo, s40
	s_and_b32 s29, s29, exec_lo
	s_or_saveexec_b32 s13, s13
	v_mov_b32_e32 v112, 0x7f800001
	s_xor_b32 exec_lo, exec_lo, s13
	s_cbranch_execnz .LBB2_2701
.LBB2_2187:                             ;   in Loop: Header=BB2_2110 Depth=2
	s_or_b32 exec_lo, exec_lo, s13
	s_and_saveexec_b32 s13, s29
	s_cbranch_execz .LBB2_2189
.LBB2_2188:                             ;   in Loop: Header=BB2_2110 Depth=2
	v_bfe_u32 v112, v14, 16, 2
	v_bfe_u32 v115, v14, 18, 5
	v_lshlrev_b32_sdwa v116, v87, v14 dst_sel:DWORD dst_unused:UNUSED_PAD src0_sel:DWORD src1_sel:WORD_1
	v_ffbh_u32_e32 v113, v112
	v_cmp_eq_u32_e32 vcc_lo, 0, v115
	v_min_u32_e32 v113, 32, v113
	v_subrev_nc_u32_e32 v114, 29, v113
	v_sub_nc_u32_e32 v113, 30, v113
	v_lshlrev_b32_sdwa v114, v114, v14 dst_sel:DWORD dst_unused:UNUSED_PAD src0_sel:DWORD src1_sel:WORD_1
	v_cndmask_b32_e32 v113, v115, v113, vcc_lo
	v_and_b32_e32 v114, 3, v114
	v_lshl_add_u32 v113, v113, 23, 0x37800000
	v_cndmask_b32_e32 v112, v112, v114, vcc_lo
	v_and_b32_e32 v114, 0x80000000, v116
	v_lshlrev_b32_e32 v112, 21, v112
	v_or3_b32 v112, v114, v113, v112
.LBB2_2189:                             ;   in Loop: Header=BB2_2110 Depth=2
	s_or_b32 exec_lo, exec_lo, s13
	v_and_b32_sdwa v114, v10, v96 dst_sel:DWORD dst_unused:UNUSED_PAD src0_sel:WORD_1 src1_sel:DWORD
	s_mov_b32 s13, 0
	s_mov_b32 s29, exec_lo
	v_cmpx_lt_i16_e32 0x7f, v114
	s_xor_b32 s29, exec_lo, s29
	s_cbranch_execz .LBB2_2702
; %bb.2190:                             ;   in Loop: Header=BB2_2110 Depth=2
	s_mov_b32 s13, -1
	s_mov_b32 s40, exec_lo
	v_cmpx_eq_u16_e32 0x80, v114
; %bb.2191:                             ;   in Loop: Header=BB2_2110 Depth=2
	s_xor_b32 s13, exec_lo, -1
; %bb.2192:                             ;   in Loop: Header=BB2_2110 Depth=2
	s_or_b32 exec_lo, exec_lo, s40
	s_and_b32 s13, s13, exec_lo
                                        ; implicit-def: $vgpr114
	s_or_saveexec_b32 s29, s29
	v_mov_b32_e32 v113, 0x7f800001
	s_xor_b32 exec_lo, exec_lo, s29
	s_cbranch_execnz .LBB2_2703
.LBB2_2193:                             ;   in Loop: Header=BB2_2110 Depth=2
	s_or_b32 exec_lo, exec_lo, s29
	s_and_saveexec_b32 s29, s13
.LBB2_2194:                             ;   in Loop: Header=BB2_2110 Depth=2
	v_mov_b32_e32 v113, v102
.LBB2_2195:                             ;   in Loop: Header=BB2_2110 Depth=2
	s_or_b32 exec_lo, exec_lo, s29
	v_max_f32_e32 v113, v113, v113
	v_max_f32_e32 v112, v112, v112
	s_mov_b32 s29, 0
	v_max_f32_e32 v112, v112, v113
.LBB2_2196:                             ;   in Loop: Header=BB2_2110 Depth=2
	s_and_b32 vcc_lo, exec_lo, s29
	s_cbranch_vccz .LBB2_2210
; %bb.2197:                             ;   in Loop: Header=BB2_2110 Depth=2
	s_mov_b32 s13, 0
	s_mov_b32 s29, exec_lo
	v_cmpx_lt_i16_e32 0x7f, v103
	s_xor_b32 s29, exec_lo, s29
	s_cbranch_execz .LBB2_2704
; %bb.2198:                             ;   in Loop: Header=BB2_2110 Depth=2
	s_mov_b32 s13, -1
	s_mov_b32 s40, exec_lo
	v_cmpx_eq_u16_e32 0x80, v103
; %bb.2199:                             ;   in Loop: Header=BB2_2110 Depth=2
	s_xor_b32 s13, exec_lo, -1
; %bb.2200:                             ;   in Loop: Header=BB2_2110 Depth=2
	s_or_b32 exec_lo, exec_lo, s40
	s_and_b32 s13, s13, exec_lo
                                        ; implicit-def: $vgpr103
	s_or_saveexec_b32 s29, s29
	v_mov_b32_e32 v112, 0x7f800001
	s_xor_b32 exec_lo, exec_lo, s29
	s_cbranch_execnz .LBB2_2705
.LBB2_2201:                             ;   in Loop: Header=BB2_2110 Depth=2
	s_or_b32 exec_lo, exec_lo, s29
	s_and_saveexec_b32 s29, s13
	s_cbranch_execz .LBB2_2203
.LBB2_2202:                             ;   in Loop: Header=BB2_2110 Depth=2
	v_bfe_u32 v103, v14, 16, 2
	v_bfe_u32 v114, v14, 18, 5
	v_lshlrev_b32_sdwa v115, v87, v14 dst_sel:DWORD dst_unused:UNUSED_PAD src0_sel:DWORD src1_sel:WORD_1
	v_ffbh_u32_e32 v112, v103
	v_cmp_eq_u32_e32 vcc_lo, 0, v114
	v_min_u32_e32 v112, 32, v112
	v_subrev_nc_u32_e32 v113, 29, v112
	v_sub_nc_u32_e32 v112, 30, v112
	v_lshlrev_b32_sdwa v113, v113, v14 dst_sel:DWORD dst_unused:UNUSED_PAD src0_sel:DWORD src1_sel:WORD_1
	v_cndmask_b32_e32 v112, v114, v112, vcc_lo
	v_and_b32_e32 v113, 3, v113
	v_lshl_add_u32 v112, v112, 23, 0x37800000
	v_cndmask_b32_e32 v103, v103, v113, vcc_lo
	v_and_b32_e32 v113, 0x80000000, v115
	v_lshlrev_b32_e32 v103, 21, v103
	v_or3_b32 v112, v113, v112, v103
.LBB2_2203:                             ;   in Loop: Header=BB2_2110 Depth=2
	s_or_b32 exec_lo, exec_lo, s29
	v_and_b32_sdwa v113, v10, v96 dst_sel:DWORD dst_unused:UNUSED_PAD src0_sel:WORD_1 src1_sel:DWORD
	s_mov_b32 s13, 0
	s_mov_b32 s29, exec_lo
	v_cmpx_lt_i16_e32 0x7f, v113
	s_xor_b32 s29, exec_lo, s29
	s_cbranch_execz .LBB2_2706
; %bb.2204:                             ;   in Loop: Header=BB2_2110 Depth=2
	s_mov_b32 s13, -1
	s_mov_b32 s40, exec_lo
	v_cmpx_eq_u16_e32 0x80, v113
; %bb.2205:                             ;   in Loop: Header=BB2_2110 Depth=2
	s_xor_b32 s13, exec_lo, -1
; %bb.2206:                             ;   in Loop: Header=BB2_2110 Depth=2
	s_or_b32 exec_lo, exec_lo, s40
	s_and_b32 s13, s13, exec_lo
                                        ; implicit-def: $vgpr113
	s_or_saveexec_b32 s29, s29
	v_mov_b32_e32 v103, 0x7f800001
	s_xor_b32 exec_lo, exec_lo, s29
	s_cbranch_execnz .LBB2_2707
.LBB2_2207:                             ;   in Loop: Header=BB2_2110 Depth=2
	s_or_b32 exec_lo, exec_lo, s29
	s_and_saveexec_b32 s29, s13
.LBB2_2208:                             ;   in Loop: Header=BB2_2110 Depth=2
	v_mov_b32_e32 v103, v102
.LBB2_2209:                             ;   in Loop: Header=BB2_2110 Depth=2
	s_or_b32 exec_lo, exec_lo, s29
	v_max_f32_e32 v102, v103, v103
	v_max_f32_e32 v103, v112, v112
	v_min_f32_e32 v112, v103, v102
.LBB2_2210:                             ;   in Loop: Header=BB2_2110 Depth=2
	v_and_b32_e32 v102, 0x7f800000, v112
	v_cmp_ne_u32_e32 vcc_lo, 0x7f800000, v102
	v_mov_b32_e32 v102, 0x80
	s_and_saveexec_b32 s29, vcc_lo
	s_cbranch_execz .LBB2_2218
; %bb.2211:                             ;   in Loop: Header=BB2_2110 Depth=2
	v_mov_b32_e32 v102, 0
	s_mov_b32 s40, exec_lo
	v_cmpx_ne_u32_e32 0, v112
	s_cbranch_execz .LBB2_2217
; %bb.2212:                             ;   in Loop: Header=BB2_2110 Depth=2
	v_bfe_u32 v102, v112, 23, 8
	v_and_b32_e32 v103, 0x7fffff, v112
	v_sub_nc_u32_e32 v113, 0x70, v102
	v_cmp_gt_u32_e32 vcc_lo, 0x71, v102
	v_or_b32_e32 v114, 0x800000, v103
	v_cndmask_b32_e32 v113, 0, v113, vcc_lo
	v_cmp_eq_u32_e32 vcc_lo, 0, v102
	v_add_nc_u32_e32 v102, 0xffffff91, v102
	v_cndmask_b32_e64 v113, v113, 0x6f, vcc_lo
	v_cndmask_b32_e32 v103, v114, v103, vcc_lo
	v_cndmask_b32_e64 v102, v102, 0xffffff92, vcc_lo
	v_lshl_add_u32 v114, 0x200000, v113, -1
	v_lshrrev_b32_e32 v115, v113, v103
	v_lshlrev_b32_e64 v117, v113, 0x100000
	v_add_nc_u32_e32 v113, v113, v102
	v_and_b32_e32 v103, v114, v103
	v_bfe_u32 v116, v115, 21, 1
	v_cmp_eq_u32_e64 s13, v103, v117
	v_add_nc_u32_e32 v114, -1, v116
	v_cndmask_b32_e64 v103, 0, v114, s13
	v_lshrrev_b32_e32 v114, 23, v115
	s_mov_b32 s13, exec_lo
	v_add_nc_u32_e32 v103, v103, v115
	v_xor_b32_e32 v114, 1, v114
	v_and_b32_e32 v102, 0x1fffff, v103
	v_add_nc_u32_e32 v103, v102, v115
                                        ; implicit-def: $vgpr102
	v_cmpx_ne_u32_e64 v113, v114
	s_xor_b32 s13, exec_lo, s13
; %bb.2213:                             ;   in Loop: Header=BB2_2110 Depth=2
	v_cmp_lt_u32_e32 vcc_lo, 0xffffff, v103
	v_sub_nc_u32_e32 v102, v113, v114
	v_cndmask_b32_e64 v113, 0, 1, vcc_lo
	v_add_co_ci_u32_e64 v102, null, 0, v102, vcc_lo
	v_lshrrev_b32_e32 v103, v113, v103
; %bb.2214:                             ;   in Loop: Header=BB2_2110 Depth=2
	s_andn2_saveexec_b32 s13, s13
; %bb.2215:                             ;   in Loop: Header=BB2_2110 Depth=2
	v_bfe_u32 v102, v103, 23, 1
; %bb.2216:                             ;   in Loop: Header=BB2_2110 Depth=2
	s_or_b32 exec_lo, exec_lo, s13
	v_lshrrev_b32_e32 v103, 21, v103
	v_min_i32_e32 v113, 31, v102
	v_cmp_gt_i32_e32 vcc_lo, 32, v102
	v_and_b32_sdwa v112, v112, v85 dst_sel:DWORD dst_unused:UNUSED_PAD src0_sel:BYTE_3 src1_sel:DWORD
	v_lshlrev_b32_e32 v113, 2, v113
	v_cndmask_b32_e32 v103, 3, v103, vcc_lo
	v_and_b32_e32 v113, 0xfc, v113
	v_and_b32_e32 v114, 3, v103
	v_or_b32_e32 v102, v102, v103
	v_or3_b32 v103, v113, v112, v114
	v_cmp_ne_u32_e32 vcc_lo, 0, v102
	v_cndmask_b32_e32 v102, 0, v103, vcc_lo
.LBB2_2217:                             ;   in Loop: Header=BB2_2110 Depth=2
	s_or_b32 exec_lo, exec_lo, s40
.LBB2_2218:                             ;   in Loop: Header=BB2_2110 Depth=2
	s_or_b32 exec_lo, exec_lo, s29
	v_bfe_u32 v103, v10, 24, 2
	v_bfe_u32 v114, v10, 26, 5
	v_cmp_gt_i16_sdwa s29, v14, v84 src0_sel:BYTE_3 src1_sel:DWORD
	s_mov_b32 s13, -1
	v_ffbh_u32_e32 v112, v103
	v_cmp_eq_u32_e32 vcc_lo, 0, v114
	v_min_u32_e32 v112, 32, v112
	v_subrev_nc_u32_e32 v113, 29, v112
	v_sub_nc_u32_e32 v112, 30, v112
	v_lshlrev_b32_sdwa v113, v113, v10 dst_sel:DWORD dst_unused:UNUSED_PAD src0_sel:DWORD src1_sel:BYTE_3
	v_cndmask_b32_e32 v112, v114, v112, vcc_lo
	v_and_b32_e32 v113, 3, v113
	v_lshl_add_u32 v112, v112, 23, 0x37800000
	v_cndmask_b32_e32 v103, v103, v113, vcc_lo
	v_and_b32_e32 v113, 0x80000000, v10
	s_and_b32 vcc_lo, exec_lo, s28
	v_lshlrev_b32_e32 v103, 21, v103
	v_or3_b32 v103, v113, v112, v103
                                        ; implicit-def: $vgpr112
	s_cbranch_vccz .LBB2_2232
; %bb.2219:                             ;   in Loop: Header=BB2_2110 Depth=2
	s_mov_b32 s13, 0
	s_and_saveexec_b32 s40, s29
	s_xor_b32 s29, exec_lo, s40
	s_cbranch_execz .LBB2_2708
; %bb.2220:                             ;   in Loop: Header=BB2_2110 Depth=2
	v_cmp_eq_u16_sdwa s41, v14, v85 src0_sel:BYTE_3 src1_sel:DWORD
	s_mov_b32 s13, -1
	s_and_saveexec_b32 s40, s41
; %bb.2221:                             ;   in Loop: Header=BB2_2110 Depth=2
	s_xor_b32 s13, exec_lo, -1
; %bb.2222:                             ;   in Loop: Header=BB2_2110 Depth=2
	s_or_b32 exec_lo, exec_lo, s40
	s_and_b32 s13, s13, exec_lo
	s_or_saveexec_b32 s29, s29
	v_mov_b32_e32 v112, 0x7f800001
	s_xor_b32 exec_lo, exec_lo, s29
	s_cbranch_execnz .LBB2_2709
.LBB2_2223:                             ;   in Loop: Header=BB2_2110 Depth=2
	s_or_b32 exec_lo, exec_lo, s29
	s_and_saveexec_b32 s29, s13
	s_cbranch_execz .LBB2_2225
.LBB2_2224:                             ;   in Loop: Header=BB2_2110 Depth=2
	v_bfe_u32 v112, v14, 24, 2
	v_bfe_u32 v115, v14, 26, 5
	v_ffbh_u32_e32 v113, v112
	v_cmp_eq_u32_e32 vcc_lo, 0, v115
	v_min_u32_e32 v113, 32, v113
	v_subrev_nc_u32_e32 v114, 29, v113
	v_sub_nc_u32_e32 v113, 30, v113
	v_lshlrev_b32_sdwa v114, v114, v14 dst_sel:DWORD dst_unused:UNUSED_PAD src0_sel:DWORD src1_sel:BYTE_3
	v_cndmask_b32_e32 v113, v115, v113, vcc_lo
	v_and_b32_e32 v114, 3, v114
	v_lshl_add_u32 v113, v113, 23, 0x37800000
	v_cndmask_b32_e32 v112, v112, v114, vcc_lo
	v_and_b32_e32 v114, 0x80000000, v14
	v_lshlrev_b32_e32 v112, 21, v112
	v_or3_b32 v112, v114, v113, v112
.LBB2_2225:                             ;   in Loop: Header=BB2_2110 Depth=2
	s_or_b32 exec_lo, exec_lo, s29
	v_cmp_gt_i16_sdwa s29, v10, v84 src0_sel:BYTE_3 src1_sel:DWORD
	s_mov_b32 s13, 0
	s_and_saveexec_b32 s40, s29
	s_xor_b32 s29, exec_lo, s40
	s_cbranch_execz .LBB2_2710
; %bb.2226:                             ;   in Loop: Header=BB2_2110 Depth=2
	v_cmp_eq_u16_sdwa s41, v10, v85 src0_sel:BYTE_3 src1_sel:DWORD
	s_mov_b32 s13, -1
	s_and_saveexec_b32 s40, s41
; %bb.2227:                             ;   in Loop: Header=BB2_2110 Depth=2
	s_xor_b32 s13, exec_lo, -1
; %bb.2228:                             ;   in Loop: Header=BB2_2110 Depth=2
	s_or_b32 exec_lo, exec_lo, s40
	s_and_b32 s13, s13, exec_lo
	s_or_saveexec_b32 s29, s29
	v_mov_b32_e32 v113, 0x7f800001
	s_xor_b32 exec_lo, exec_lo, s29
	s_cbranch_execnz .LBB2_2711
.LBB2_2229:                             ;   in Loop: Header=BB2_2110 Depth=2
	s_or_b32 exec_lo, exec_lo, s29
	s_and_saveexec_b32 s29, s13
.LBB2_2230:                             ;   in Loop: Header=BB2_2110 Depth=2
	v_mov_b32_e32 v113, v103
.LBB2_2231:                             ;   in Loop: Header=BB2_2110 Depth=2
	s_or_b32 exec_lo, exec_lo, s29
	v_max_f32_e32 v113, v113, v113
	v_max_f32_e32 v112, v112, v112
	s_mov_b32 s13, 0
	v_max_f32_e32 v112, v112, v113
.LBB2_2232:                             ;   in Loop: Header=BB2_2110 Depth=2
	s_and_b32 vcc_lo, exec_lo, s13
	s_cbranch_vccz .LBB2_2246
; %bb.2233:                             ;   in Loop: Header=BB2_2110 Depth=2
	v_cmp_gt_i16_sdwa s29, v14, v84 src0_sel:BYTE_3 src1_sel:DWORD
	s_mov_b32 s13, 0
	s_and_saveexec_b32 s40, s29
	s_xor_b32 s29, exec_lo, s40
	s_cbranch_execz .LBB2_2712
; %bb.2234:                             ;   in Loop: Header=BB2_2110 Depth=2
	v_cmp_eq_u16_sdwa s41, v14, v85 src0_sel:BYTE_3 src1_sel:DWORD
	s_mov_b32 s13, -1
	s_and_saveexec_b32 s40, s41
; %bb.2235:                             ;   in Loop: Header=BB2_2110 Depth=2
	s_xor_b32 s13, exec_lo, -1
; %bb.2236:                             ;   in Loop: Header=BB2_2110 Depth=2
	s_or_b32 exec_lo, exec_lo, s40
	s_and_b32 s13, s13, exec_lo
	s_or_saveexec_b32 s29, s29
	v_mov_b32_e32 v112, 0x7f800001
	s_xor_b32 exec_lo, exec_lo, s29
	s_cbranch_execnz .LBB2_2713
.LBB2_2237:                             ;   in Loop: Header=BB2_2110 Depth=2
	s_or_b32 exec_lo, exec_lo, s29
	s_and_saveexec_b32 s29, s13
	s_cbranch_execz .LBB2_2239
.LBB2_2238:                             ;   in Loop: Header=BB2_2110 Depth=2
	v_bfe_u32 v112, v14, 24, 2
	v_bfe_u32 v115, v14, 26, 5
	v_ffbh_u32_e32 v113, v112
	v_cmp_eq_u32_e32 vcc_lo, 0, v115
	v_min_u32_e32 v113, 32, v113
	v_subrev_nc_u32_e32 v114, 29, v113
	v_sub_nc_u32_e32 v113, 30, v113
	v_lshlrev_b32_sdwa v114, v114, v14 dst_sel:DWORD dst_unused:UNUSED_PAD src0_sel:DWORD src1_sel:BYTE_3
	v_cndmask_b32_e32 v113, v115, v113, vcc_lo
	v_and_b32_e32 v14, 0x80000000, v14
	v_and_b32_e32 v114, 3, v114
	v_lshl_add_u32 v113, v113, 23, 0x37800000
	v_cndmask_b32_e32 v112, v112, v114, vcc_lo
	v_lshlrev_b32_e32 v112, 21, v112
	v_or3_b32 v112, v14, v113, v112
.LBB2_2239:                             ;   in Loop: Header=BB2_2110 Depth=2
	s_or_b32 exec_lo, exec_lo, s29
	v_cmp_gt_i16_sdwa s29, v10, v84 src0_sel:BYTE_3 src1_sel:DWORD
	s_mov_b32 s13, 0
	s_and_saveexec_b32 s40, s29
	s_xor_b32 s29, exec_lo, s40
	s_cbranch_execz .LBB2_2714
; %bb.2240:                             ;   in Loop: Header=BB2_2110 Depth=2
	v_cmp_eq_u16_sdwa s41, v10, v85 src0_sel:BYTE_3 src1_sel:DWORD
	s_mov_b32 s13, -1
	s_and_saveexec_b32 s40, s41
; %bb.2241:                             ;   in Loop: Header=BB2_2110 Depth=2
	s_xor_b32 s13, exec_lo, -1
; %bb.2242:                             ;   in Loop: Header=BB2_2110 Depth=2
	s_or_b32 exec_lo, exec_lo, s40
	s_and_b32 s13, s13, exec_lo
	s_or_saveexec_b32 s29, s29
	v_mov_b32_e32 v14, 0x7f800001
	s_xor_b32 exec_lo, exec_lo, s29
	s_cbranch_execnz .LBB2_2715
.LBB2_2243:                             ;   in Loop: Header=BB2_2110 Depth=2
	s_or_b32 exec_lo, exec_lo, s29
	s_and_saveexec_b32 s29, s13
.LBB2_2244:                             ;   in Loop: Header=BB2_2110 Depth=2
	v_mov_b32_e32 v14, v103
.LBB2_2245:                             ;   in Loop: Header=BB2_2110 Depth=2
	s_or_b32 exec_lo, exec_lo, s29
	v_max_f32_e32 v10, v14, v14
	v_max_f32_e32 v14, v112, v112
	v_min_f32_e32 v112, v14, v10
.LBB2_2246:                             ;   in Loop: Header=BB2_2110 Depth=2
	v_and_b32_e32 v10, 0x7f800000, v112
	v_mov_b32_e32 v14, 0x8000
	s_mov_b32 s29, exec_lo
	v_cmpx_ne_u32_e32 0x7f800000, v10
	s_cbranch_execz .LBB2_2254
; %bb.2247:                             ;   in Loop: Header=BB2_2110 Depth=2
	v_mov_b32_e32 v14, 0
	s_mov_b32 s40, exec_lo
	v_cmpx_ne_u32_e32 0, v112
	s_cbranch_execz .LBB2_2253
; %bb.2248:                             ;   in Loop: Header=BB2_2110 Depth=2
	v_bfe_u32 v10, v112, 23, 8
	v_and_b32_e32 v14, 0x7fffff, v112
	v_sub_nc_u32_e32 v103, 0x70, v10
	v_cmp_gt_u32_e32 vcc_lo, 0x71, v10
	v_or_b32_e32 v113, 0x800000, v14
	v_cndmask_b32_e32 v103, 0, v103, vcc_lo
	v_cmp_eq_u32_e32 vcc_lo, 0, v10
	v_add_nc_u32_e32 v10, 0xffffff91, v10
	v_cndmask_b32_e64 v103, v103, 0x6f, vcc_lo
	v_cndmask_b32_e32 v14, v113, v14, vcc_lo
	v_cndmask_b32_e64 v10, v10, 0xffffff92, vcc_lo
	v_lshl_add_u32 v113, 0x200000, v103, -1
	v_lshrrev_b32_e32 v114, v103, v14
	v_lshlrev_b32_e64 v116, v103, 0x100000
	v_add_nc_u32_e32 v103, v103, v10
	v_and_b32_e32 v14, v113, v14
	v_bfe_u32 v115, v114, 21, 1
	v_cmp_eq_u32_e64 s13, v14, v116
	v_add_nc_u32_e32 v113, -1, v115
	v_cndmask_b32_e64 v14, 0, v113, s13
	v_lshrrev_b32_e32 v113, 23, v114
	s_mov_b32 s13, exec_lo
	v_add_nc_u32_e32 v14, v14, v114
	v_xor_b32_e32 v113, 1, v113
	v_and_b32_e32 v10, 0x1fffff, v14
	v_add_nc_u32_e32 v14, v10, v114
                                        ; implicit-def: $vgpr10
	v_cmpx_ne_u32_e64 v103, v113
	s_xor_b32 s13, exec_lo, s13
; %bb.2249:                             ;   in Loop: Header=BB2_2110 Depth=2
	v_cmp_lt_u32_e32 vcc_lo, 0xffffff, v14
	v_sub_nc_u32_e32 v10, v103, v113
	v_cndmask_b32_e64 v103, 0, 1, vcc_lo
	v_add_co_ci_u32_e64 v10, null, 0, v10, vcc_lo
	v_lshrrev_b32_e32 v14, v103, v14
; %bb.2250:                             ;   in Loop: Header=BB2_2110 Depth=2
	s_andn2_saveexec_b32 s13, s13
; %bb.2251:                             ;   in Loop: Header=BB2_2110 Depth=2
	v_bfe_u32 v10, v14, 23, 1
; %bb.2252:                             ;   in Loop: Header=BB2_2110 Depth=2
	s_or_b32 exec_lo, exec_lo, s13
	v_lshrrev_b32_e32 v14, 21, v14
	v_min_i32_e32 v103, 31, v10
	v_cmp_gt_i32_e32 vcc_lo, 32, v10
	v_and_b32_sdwa v112, v112, v85 dst_sel:DWORD dst_unused:UNUSED_PAD src0_sel:BYTE_3 src1_sel:DWORD
	v_lshlrev_b32_e32 v103, 2, v103
	v_cndmask_b32_e32 v14, 3, v14, vcc_lo
	v_and_b32_e32 v103, 0xfc, v103
	v_and_b32_e32 v113, 3, v14
	v_or_b32_e32 v10, v10, v14
	v_or3_b32 v103, v112, v103, v113
	v_cmp_ne_u32_e32 vcc_lo, 0, v10
	v_lshlrev_b32_e32 v14, 8, v103
	v_cndmask_b32_e32 v14, 0, v14, vcc_lo
.LBB2_2253:                             ;   in Loop: Header=BB2_2110 Depth=2
	s_or_b32 exec_lo, exec_lo, s40
.LBB2_2254:                             ;   in Loop: Header=BB2_2110 Depth=2
	s_or_b32 exec_lo, exec_lo, s29
	v_and_b32_e32 v10, 3, v11
	v_bfe_u32 v113, v11, 2, 5
	v_lshlrev_b32_e32 v114, 24, v11
	v_cmp_gt_i16_sdwa s29, v15, v84 src0_sel:BYTE_0 src1_sel:DWORD
	s_mov_b32 s13, -1
	v_ffbh_u32_e32 v103, v10
	v_cmp_eq_u32_e32 vcc_lo, 0, v113
	v_min_u32_e32 v103, 32, v103
	v_subrev_nc_u32_e32 v112, 29, v103
	v_sub_nc_u32_e32 v103, 30, v103
	v_lshlrev_b32_e32 v112, v112, v11
	v_cndmask_b32_e32 v103, v113, v103, vcc_lo
	v_and_b32_e32 v112, 3, v112
	v_lshl_add_u32 v103, v103, 23, 0x37800000
	v_cndmask_b32_e32 v10, v10, v112, vcc_lo
	v_and_b32_e32 v112, 0x80000000, v114
	s_and_b32 vcc_lo, exec_lo, s28
	v_lshlrev_b32_e32 v10, 21, v10
	v_or3_b32 v10, v112, v103, v10
                                        ; implicit-def: $vgpr112
	s_cbranch_vccz .LBB2_2268
; %bb.2255:                             ;   in Loop: Header=BB2_2110 Depth=2
	s_mov_b32 s13, 0
	s_and_saveexec_b32 s40, s29
	s_xor_b32 s29, exec_lo, s40
	s_cbranch_execz .LBB2_2716
; %bb.2256:                             ;   in Loop: Header=BB2_2110 Depth=2
	v_cmp_eq_u16_sdwa s41, v15, v85 src0_sel:BYTE_0 src1_sel:DWORD
	s_mov_b32 s13, -1
	s_and_saveexec_b32 s40, s41
; %bb.2257:                             ;   in Loop: Header=BB2_2110 Depth=2
	s_xor_b32 s13, exec_lo, -1
; %bb.2258:                             ;   in Loop: Header=BB2_2110 Depth=2
	s_or_b32 exec_lo, exec_lo, s40
	s_and_b32 s13, s13, exec_lo
	s_or_saveexec_b32 s29, s29
	v_mov_b32_e32 v103, 0x7f800001
	s_xor_b32 exec_lo, exec_lo, s29
	s_cbranch_execnz .LBB2_2717
.LBB2_2259:                             ;   in Loop: Header=BB2_2110 Depth=2
	s_or_b32 exec_lo, exec_lo, s29
	s_and_saveexec_b32 s29, s13
	s_cbranch_execz .LBB2_2261
.LBB2_2260:                             ;   in Loop: Header=BB2_2110 Depth=2
	v_and_b32_e32 v103, 3, v15
	v_bfe_u32 v114, v15, 2, 5
	v_lshlrev_b32_e32 v115, 24, v15
	v_ffbh_u32_e32 v112, v103
	v_cmp_eq_u32_e32 vcc_lo, 0, v114
	v_min_u32_e32 v112, 32, v112
	v_subrev_nc_u32_e32 v113, 29, v112
	v_sub_nc_u32_e32 v112, 30, v112
	v_lshlrev_b32_e32 v113, v113, v15
	v_cndmask_b32_e32 v112, v114, v112, vcc_lo
	v_and_b32_e32 v113, 3, v113
	v_lshl_add_u32 v112, v112, 23, 0x37800000
	v_cndmask_b32_e32 v103, v103, v113, vcc_lo
	v_and_b32_e32 v113, 0x80000000, v115
	v_lshlrev_b32_e32 v103, 21, v103
	v_or3_b32 v103, v113, v112, v103
.LBB2_2261:                             ;   in Loop: Header=BB2_2110 Depth=2
	s_or_b32 exec_lo, exec_lo, s29
	v_cmp_gt_i16_sdwa s29, v11, v84 src0_sel:BYTE_0 src1_sel:DWORD
	s_mov_b32 s13, 0
	s_and_saveexec_b32 s40, s29
	s_xor_b32 s29, exec_lo, s40
	s_cbranch_execz .LBB2_2718
; %bb.2262:                             ;   in Loop: Header=BB2_2110 Depth=2
	v_cmp_eq_u16_sdwa s41, v11, v85 src0_sel:BYTE_0 src1_sel:DWORD
	s_mov_b32 s13, -1
	s_and_saveexec_b32 s40, s41
; %bb.2263:                             ;   in Loop: Header=BB2_2110 Depth=2
	s_xor_b32 s13, exec_lo, -1
; %bb.2264:                             ;   in Loop: Header=BB2_2110 Depth=2
	s_or_b32 exec_lo, exec_lo, s40
	s_and_b32 s13, s13, exec_lo
	s_or_saveexec_b32 s29, s29
	v_mov_b32_e32 v112, 0x7f800001
	s_xor_b32 exec_lo, exec_lo, s29
	s_cbranch_execnz .LBB2_2719
.LBB2_2265:                             ;   in Loop: Header=BB2_2110 Depth=2
	s_or_b32 exec_lo, exec_lo, s29
	s_and_saveexec_b32 s29, s13
.LBB2_2266:                             ;   in Loop: Header=BB2_2110 Depth=2
	v_mov_b32_e32 v112, v10
.LBB2_2267:                             ;   in Loop: Header=BB2_2110 Depth=2
	s_or_b32 exec_lo, exec_lo, s29
	v_max_f32_e32 v112, v112, v112
	v_max_f32_e32 v103, v103, v103
	s_mov_b32 s13, 0
	v_max_f32_e32 v112, v103, v112
.LBB2_2268:                             ;   in Loop: Header=BB2_2110 Depth=2
	s_and_b32 vcc_lo, exec_lo, s13
	s_cbranch_vccz .LBB2_2282
; %bb.2269:                             ;   in Loop: Header=BB2_2110 Depth=2
	v_cmp_gt_i16_sdwa s29, v15, v84 src0_sel:BYTE_0 src1_sel:DWORD
	s_mov_b32 s13, 0
	s_and_saveexec_b32 s40, s29
	s_xor_b32 s29, exec_lo, s40
	s_cbranch_execz .LBB2_2720
; %bb.2270:                             ;   in Loop: Header=BB2_2110 Depth=2
	v_cmp_eq_u16_sdwa s41, v15, v85 src0_sel:BYTE_0 src1_sel:DWORD
	s_mov_b32 s13, -1
	s_and_saveexec_b32 s40, s41
; %bb.2271:                             ;   in Loop: Header=BB2_2110 Depth=2
	s_xor_b32 s13, exec_lo, -1
; %bb.2272:                             ;   in Loop: Header=BB2_2110 Depth=2
	s_or_b32 exec_lo, exec_lo, s40
	s_and_b32 s13, s13, exec_lo
	s_or_saveexec_b32 s29, s29
	v_mov_b32_e32 v103, 0x7f800001
	s_xor_b32 exec_lo, exec_lo, s29
	s_cbranch_execnz .LBB2_2721
.LBB2_2273:                             ;   in Loop: Header=BB2_2110 Depth=2
	s_or_b32 exec_lo, exec_lo, s29
	s_and_saveexec_b32 s29, s13
	s_cbranch_execz .LBB2_2275
.LBB2_2274:                             ;   in Loop: Header=BB2_2110 Depth=2
	v_and_b32_e32 v103, 3, v15
	v_bfe_u32 v114, v15, 2, 5
	v_lshlrev_b32_e32 v115, 24, v15
	v_ffbh_u32_e32 v112, v103
	v_cmp_eq_u32_e32 vcc_lo, 0, v114
	v_min_u32_e32 v112, 32, v112
	v_subrev_nc_u32_e32 v113, 29, v112
	v_sub_nc_u32_e32 v112, 30, v112
	v_lshlrev_b32_e32 v113, v113, v15
	v_cndmask_b32_e32 v112, v114, v112, vcc_lo
	v_and_b32_e32 v113, 3, v113
	v_lshl_add_u32 v112, v112, 23, 0x37800000
	v_cndmask_b32_e32 v103, v103, v113, vcc_lo
	v_and_b32_e32 v113, 0x80000000, v115
	v_lshlrev_b32_e32 v103, 21, v103
	v_or3_b32 v103, v113, v112, v103
.LBB2_2275:                             ;   in Loop: Header=BB2_2110 Depth=2
	s_or_b32 exec_lo, exec_lo, s29
	v_cmp_gt_i16_sdwa s29, v11, v84 src0_sel:BYTE_0 src1_sel:DWORD
	s_mov_b32 s13, 0
	s_and_saveexec_b32 s40, s29
	s_xor_b32 s29, exec_lo, s40
	s_cbranch_execz .LBB2_2722
; %bb.2276:                             ;   in Loop: Header=BB2_2110 Depth=2
	v_cmp_eq_u16_sdwa s41, v11, v85 src0_sel:BYTE_0 src1_sel:DWORD
	s_mov_b32 s13, -1
	s_and_saveexec_b32 s40, s41
; %bb.2277:                             ;   in Loop: Header=BB2_2110 Depth=2
	s_xor_b32 s13, exec_lo, -1
; %bb.2278:                             ;   in Loop: Header=BB2_2110 Depth=2
	s_or_b32 exec_lo, exec_lo, s40
	s_and_b32 s13, s13, exec_lo
	s_or_saveexec_b32 s29, s29
	v_mov_b32_e32 v112, 0x7f800001
	s_xor_b32 exec_lo, exec_lo, s29
	s_cbranch_execnz .LBB2_2723
.LBB2_2279:                             ;   in Loop: Header=BB2_2110 Depth=2
	s_or_b32 exec_lo, exec_lo, s29
	s_and_saveexec_b32 s29, s13
.LBB2_2280:                             ;   in Loop: Header=BB2_2110 Depth=2
	v_mov_b32_e32 v112, v10
.LBB2_2281:                             ;   in Loop: Header=BB2_2110 Depth=2
	s_or_b32 exec_lo, exec_lo, s29
	v_max_f32_e32 v10, v112, v112
	v_max_f32_e32 v103, v103, v103
	v_min_f32_e32 v112, v103, v10
.LBB2_2282:                             ;   in Loop: Header=BB2_2110 Depth=2
	v_and_b32_e32 v10, 0x7f800000, v112
	v_mov_b32_e32 v103, 0x80
	s_mov_b32 s29, exec_lo
	v_cmpx_ne_u32_e32 0x7f800000, v10
	s_cbranch_execz .LBB2_2290
; %bb.2283:                             ;   in Loop: Header=BB2_2110 Depth=2
	v_mov_b32_e32 v103, 0
	s_mov_b32 s40, exec_lo
	v_cmpx_ne_u32_e32 0, v112
	s_cbranch_execz .LBB2_2289
; %bb.2284:                             ;   in Loop: Header=BB2_2110 Depth=2
	v_bfe_u32 v10, v112, 23, 8
	v_and_b32_e32 v103, 0x7fffff, v112
	v_sub_nc_u32_e32 v113, 0x70, v10
	v_cmp_gt_u32_e32 vcc_lo, 0x71, v10
	v_or_b32_e32 v114, 0x800000, v103
	v_cndmask_b32_e32 v113, 0, v113, vcc_lo
	v_cmp_eq_u32_e32 vcc_lo, 0, v10
	v_add_nc_u32_e32 v10, 0xffffff91, v10
	v_cndmask_b32_e64 v113, v113, 0x6f, vcc_lo
	v_cndmask_b32_e32 v103, v114, v103, vcc_lo
	v_cndmask_b32_e64 v10, v10, 0xffffff92, vcc_lo
	v_lshl_add_u32 v114, 0x200000, v113, -1
	v_lshrrev_b32_e32 v115, v113, v103
	v_lshlrev_b32_e64 v117, v113, 0x100000
	v_add_nc_u32_e32 v113, v113, v10
	v_and_b32_e32 v103, v114, v103
	v_bfe_u32 v116, v115, 21, 1
	v_cmp_eq_u32_e64 s13, v103, v117
	v_add_nc_u32_e32 v114, -1, v116
	v_cndmask_b32_e64 v103, 0, v114, s13
	v_lshrrev_b32_e32 v114, 23, v115
	s_mov_b32 s13, exec_lo
	v_add_nc_u32_e32 v103, v103, v115
	v_xor_b32_e32 v114, 1, v114
	v_and_b32_e32 v10, 0x1fffff, v103
	v_add_nc_u32_e32 v103, v10, v115
                                        ; implicit-def: $vgpr10
	v_cmpx_ne_u32_e64 v113, v114
	s_xor_b32 s13, exec_lo, s13
; %bb.2285:                             ;   in Loop: Header=BB2_2110 Depth=2
	v_cmp_lt_u32_e32 vcc_lo, 0xffffff, v103
	v_sub_nc_u32_e32 v10, v113, v114
	v_cndmask_b32_e64 v113, 0, 1, vcc_lo
	v_add_co_ci_u32_e64 v10, null, 0, v10, vcc_lo
	v_lshrrev_b32_e32 v103, v113, v103
; %bb.2286:                             ;   in Loop: Header=BB2_2110 Depth=2
	s_andn2_saveexec_b32 s13, s13
; %bb.2287:                             ;   in Loop: Header=BB2_2110 Depth=2
	v_bfe_u32 v10, v103, 23, 1
; %bb.2288:                             ;   in Loop: Header=BB2_2110 Depth=2
	s_or_b32 exec_lo, exec_lo, s13
	v_lshrrev_b32_e32 v103, 21, v103
	v_min_i32_e32 v113, 31, v10
	v_cmp_gt_i32_e32 vcc_lo, 32, v10
	v_and_b32_sdwa v112, v112, v85 dst_sel:DWORD dst_unused:UNUSED_PAD src0_sel:BYTE_3 src1_sel:DWORD
	v_lshlrev_b32_e32 v113, 2, v113
	v_cndmask_b32_e32 v103, 3, v103, vcc_lo
	v_and_b32_e32 v113, 0xfc, v113
	v_and_b32_e32 v114, 3, v103
	v_or_b32_e32 v10, v10, v103
	v_or3_b32 v103, v113, v112, v114
	v_cmp_ne_u32_e32 vcc_lo, 0, v10
	v_cndmask_b32_e32 v103, 0, v103, vcc_lo
.LBB2_2289:                             ;   in Loop: Header=BB2_2110 Depth=2
	s_or_b32 exec_lo, exec_lo, s40
.LBB2_2290:                             ;   in Loop: Header=BB2_2110 Depth=2
	s_or_b32 exec_lo, exec_lo, s29
	v_and_b32_sdwa v10, v86, v11 dst_sel:DWORD dst_unused:UNUSED_PAD src0_sel:DWORD src1_sel:BYTE_1
	v_cmp_gt_i16_sdwa s29, v15, v84 src0_sel:BYTE_1 src1_sel:DWORD
	s_mov_b32 s13, -1
	v_and_b32_e32 v112, 3, v10
	v_bfe_u32 v115, v10, 2, 5
	v_ffbh_u32_e32 v113, v112
	v_cmp_eq_u32_e32 vcc_lo, 0, v115
	v_min_u32_e32 v113, 32, v113
	v_subrev_nc_u32_e32 v114, 29, v113
	v_sub_nc_u32_e32 v113, 30, v113
	v_lshlrev_b32_e32 v10, v114, v10
	v_lshlrev_b32_sdwa v114, v87, v11 dst_sel:DWORD dst_unused:UNUSED_PAD src0_sel:DWORD src1_sel:BYTE_1
	v_cndmask_b32_e32 v113, v115, v113, vcc_lo
	v_and_b32_e32 v10, 3, v10
	v_lshl_add_u32 v113, v113, 23, 0x37800000
	v_cndmask_b32_e32 v10, v112, v10, vcc_lo
	v_and_b32_e32 v112, 0x80000000, v114
	s_and_b32 vcc_lo, exec_lo, s28
	v_lshlrev_b32_e32 v10, 21, v10
	v_or3_b32 v10, v112, v113, v10
                                        ; implicit-def: $vgpr113
	s_cbranch_vccz .LBB2_2304
; %bb.2291:                             ;   in Loop: Header=BB2_2110 Depth=2
	s_mov_b32 s13, 0
	s_and_saveexec_b32 s40, s29
	s_xor_b32 s29, exec_lo, s40
	s_cbranch_execz .LBB2_2724
; %bb.2292:                             ;   in Loop: Header=BB2_2110 Depth=2
	v_cmp_eq_u16_sdwa s41, v15, v85 src0_sel:BYTE_1 src1_sel:DWORD
	s_mov_b32 s13, -1
	s_and_saveexec_b32 s40, s41
; %bb.2293:                             ;   in Loop: Header=BB2_2110 Depth=2
	s_xor_b32 s13, exec_lo, -1
; %bb.2294:                             ;   in Loop: Header=BB2_2110 Depth=2
	s_or_b32 exec_lo, exec_lo, s40
	s_and_b32 s13, s13, exec_lo
	s_or_saveexec_b32 s29, s29
	v_mov_b32_e32 v112, 0x7f800001
	s_xor_b32 exec_lo, exec_lo, s29
	s_cbranch_execnz .LBB2_2725
.LBB2_2295:                             ;   in Loop: Header=BB2_2110 Depth=2
	s_or_b32 exec_lo, exec_lo, s29
	s_and_saveexec_b32 s29, s13
	s_cbranch_execz .LBB2_2297
.LBB2_2296:                             ;   in Loop: Header=BB2_2110 Depth=2
	v_and_b32_sdwa v112, v86, v15 dst_sel:DWORD dst_unused:UNUSED_PAD src0_sel:DWORD src1_sel:BYTE_1
	v_and_b32_e32 v113, 3, v112
	v_bfe_u32 v116, v112, 2, 5
	v_ffbh_u32_e32 v114, v113
	v_cmp_eq_u32_e32 vcc_lo, 0, v116
	v_min_u32_e32 v114, 32, v114
	v_subrev_nc_u32_e32 v115, 29, v114
	v_sub_nc_u32_e32 v114, 30, v114
	v_lshlrev_b32_e32 v112, v115, v112
	v_lshlrev_b32_e32 v115, 16, v15
	v_cndmask_b32_e32 v114, v116, v114, vcc_lo
	v_and_b32_e32 v112, 3, v112
	v_lshl_add_u32 v114, v114, 23, 0x37800000
	v_cndmask_b32_e32 v112, v113, v112, vcc_lo
	v_and_b32_e32 v113, 0x80000000, v115
	v_lshlrev_b32_e32 v112, 21, v112
	v_or3_b32 v112, v113, v114, v112
.LBB2_2297:                             ;   in Loop: Header=BB2_2110 Depth=2
	s_or_b32 exec_lo, exec_lo, s29
	v_cmp_gt_i16_sdwa s29, v11, v84 src0_sel:BYTE_1 src1_sel:DWORD
	s_mov_b32 s13, 0
	s_and_saveexec_b32 s40, s29
	s_xor_b32 s29, exec_lo, s40
	s_cbranch_execz .LBB2_2726
; %bb.2298:                             ;   in Loop: Header=BB2_2110 Depth=2
	v_cmp_eq_u16_sdwa s41, v11, v85 src0_sel:BYTE_1 src1_sel:DWORD
	s_mov_b32 s13, -1
	s_and_saveexec_b32 s40, s41
; %bb.2299:                             ;   in Loop: Header=BB2_2110 Depth=2
	s_xor_b32 s13, exec_lo, -1
; %bb.2300:                             ;   in Loop: Header=BB2_2110 Depth=2
	s_or_b32 exec_lo, exec_lo, s40
	s_and_b32 s13, s13, exec_lo
	s_or_saveexec_b32 s29, s29
	v_mov_b32_e32 v113, 0x7f800001
	s_xor_b32 exec_lo, exec_lo, s29
	s_cbranch_execnz .LBB2_2727
.LBB2_2301:                             ;   in Loop: Header=BB2_2110 Depth=2
	s_or_b32 exec_lo, exec_lo, s29
	s_and_saveexec_b32 s29, s13
.LBB2_2302:                             ;   in Loop: Header=BB2_2110 Depth=2
	v_mov_b32_e32 v113, v10
.LBB2_2303:                             ;   in Loop: Header=BB2_2110 Depth=2
	s_or_b32 exec_lo, exec_lo, s29
	v_max_f32_e32 v113, v113, v113
	v_max_f32_e32 v112, v112, v112
	s_mov_b32 s13, 0
	v_max_f32_e32 v113, v112, v113
.LBB2_2304:                             ;   in Loop: Header=BB2_2110 Depth=2
	s_and_b32 vcc_lo, exec_lo, s13
	s_cbranch_vccz .LBB2_2318
; %bb.2305:                             ;   in Loop: Header=BB2_2110 Depth=2
	v_cmp_gt_i16_sdwa s29, v15, v84 src0_sel:BYTE_1 src1_sel:DWORD
	s_mov_b32 s13, 0
	s_and_saveexec_b32 s40, s29
	s_xor_b32 s29, exec_lo, s40
	s_cbranch_execz .LBB2_2728
; %bb.2306:                             ;   in Loop: Header=BB2_2110 Depth=2
	v_cmp_eq_u16_sdwa s41, v15, v85 src0_sel:BYTE_1 src1_sel:DWORD
	s_mov_b32 s13, -1
	s_and_saveexec_b32 s40, s41
; %bb.2307:                             ;   in Loop: Header=BB2_2110 Depth=2
	s_xor_b32 s13, exec_lo, -1
; %bb.2308:                             ;   in Loop: Header=BB2_2110 Depth=2
	s_or_b32 exec_lo, exec_lo, s40
	s_and_b32 s13, s13, exec_lo
	s_or_saveexec_b32 s29, s29
	v_mov_b32_e32 v112, 0x7f800001
	s_xor_b32 exec_lo, exec_lo, s29
	s_cbranch_execnz .LBB2_2729
.LBB2_2309:                             ;   in Loop: Header=BB2_2110 Depth=2
	s_or_b32 exec_lo, exec_lo, s29
	s_and_saveexec_b32 s29, s13
	s_cbranch_execz .LBB2_2311
.LBB2_2310:                             ;   in Loop: Header=BB2_2110 Depth=2
	v_and_b32_sdwa v112, v86, v15 dst_sel:DWORD dst_unused:UNUSED_PAD src0_sel:DWORD src1_sel:BYTE_1
	v_and_b32_e32 v113, 3, v112
	v_bfe_u32 v116, v112, 2, 5
	v_ffbh_u32_e32 v114, v113
	v_cmp_eq_u32_e32 vcc_lo, 0, v116
	v_min_u32_e32 v114, 32, v114
	v_subrev_nc_u32_e32 v115, 29, v114
	v_sub_nc_u32_e32 v114, 30, v114
	v_lshlrev_b32_e32 v112, v115, v112
	v_lshlrev_b32_e32 v115, 16, v15
	v_cndmask_b32_e32 v114, v116, v114, vcc_lo
	v_and_b32_e32 v112, 3, v112
	v_lshl_add_u32 v114, v114, 23, 0x37800000
	v_cndmask_b32_e32 v112, v113, v112, vcc_lo
	v_and_b32_e32 v113, 0x80000000, v115
	v_lshlrev_b32_e32 v112, 21, v112
	v_or3_b32 v112, v113, v114, v112
.LBB2_2311:                             ;   in Loop: Header=BB2_2110 Depth=2
	s_or_b32 exec_lo, exec_lo, s29
	v_cmp_gt_i16_sdwa s29, v11, v84 src0_sel:BYTE_1 src1_sel:DWORD
	s_mov_b32 s13, 0
	s_and_saveexec_b32 s40, s29
	s_xor_b32 s29, exec_lo, s40
	s_cbranch_execz .LBB2_2730
; %bb.2312:                             ;   in Loop: Header=BB2_2110 Depth=2
	v_cmp_eq_u16_sdwa s41, v11, v85 src0_sel:BYTE_1 src1_sel:DWORD
	s_mov_b32 s13, -1
	s_and_saveexec_b32 s40, s41
; %bb.2313:                             ;   in Loop: Header=BB2_2110 Depth=2
	s_xor_b32 s13, exec_lo, -1
; %bb.2314:                             ;   in Loop: Header=BB2_2110 Depth=2
	s_or_b32 exec_lo, exec_lo, s40
	s_and_b32 s13, s13, exec_lo
	s_or_saveexec_b32 s29, s29
	v_mov_b32_e32 v113, 0x7f800001
	s_xor_b32 exec_lo, exec_lo, s29
	s_cbranch_execnz .LBB2_2731
.LBB2_2315:                             ;   in Loop: Header=BB2_2110 Depth=2
	s_or_b32 exec_lo, exec_lo, s29
	s_and_saveexec_b32 s29, s13
.LBB2_2316:                             ;   in Loop: Header=BB2_2110 Depth=2
	v_mov_b32_e32 v113, v10
.LBB2_2317:                             ;   in Loop: Header=BB2_2110 Depth=2
	s_or_b32 exec_lo, exec_lo, s29
	v_max_f32_e32 v10, v113, v113
	v_max_f32_e32 v112, v112, v112
	v_min_f32_e32 v113, v112, v10
.LBB2_2318:                             ;   in Loop: Header=BB2_2110 Depth=2
	v_and_b32_e32 v10, 0x7f800000, v113
	v_mov_b32_e32 v112, 0x8000
	s_mov_b32 s29, exec_lo
	v_cmpx_ne_u32_e32 0x7f800000, v10
	s_cbranch_execz .LBB2_2326
; %bb.2319:                             ;   in Loop: Header=BB2_2110 Depth=2
	v_mov_b32_e32 v112, 0
	s_mov_b32 s40, exec_lo
	v_cmpx_ne_u32_e32 0, v113
	s_cbranch_execz .LBB2_2325
; %bb.2320:                             ;   in Loop: Header=BB2_2110 Depth=2
	v_bfe_u32 v10, v113, 23, 8
	v_and_b32_e32 v112, 0x7fffff, v113
	v_sub_nc_u32_e32 v114, 0x70, v10
	v_cmp_gt_u32_e32 vcc_lo, 0x71, v10
	v_or_b32_e32 v115, 0x800000, v112
	v_cndmask_b32_e32 v114, 0, v114, vcc_lo
	v_cmp_eq_u32_e32 vcc_lo, 0, v10
	v_add_nc_u32_e32 v10, 0xffffff91, v10
	v_cndmask_b32_e64 v114, v114, 0x6f, vcc_lo
	v_cndmask_b32_e32 v112, v115, v112, vcc_lo
	v_cndmask_b32_e64 v10, v10, 0xffffff92, vcc_lo
	v_lshl_add_u32 v115, 0x200000, v114, -1
	v_lshrrev_b32_e32 v116, v114, v112
	v_lshlrev_b32_e64 v118, v114, 0x100000
	v_add_nc_u32_e32 v114, v114, v10
	v_and_b32_e32 v112, v115, v112
	v_bfe_u32 v117, v116, 21, 1
	v_cmp_eq_u32_e64 s13, v112, v118
	v_add_nc_u32_e32 v115, -1, v117
	v_cndmask_b32_e64 v112, 0, v115, s13
	v_lshrrev_b32_e32 v115, 23, v116
	s_mov_b32 s13, exec_lo
	v_add_nc_u32_e32 v112, v112, v116
	v_xor_b32_e32 v115, 1, v115
	v_and_b32_e32 v10, 0x1fffff, v112
	v_add_nc_u32_e32 v112, v10, v116
                                        ; implicit-def: $vgpr10
	v_cmpx_ne_u32_e64 v114, v115
	s_xor_b32 s13, exec_lo, s13
; %bb.2321:                             ;   in Loop: Header=BB2_2110 Depth=2
	v_cmp_lt_u32_e32 vcc_lo, 0xffffff, v112
	v_sub_nc_u32_e32 v10, v114, v115
	v_cndmask_b32_e64 v114, 0, 1, vcc_lo
	v_add_co_ci_u32_e64 v10, null, 0, v10, vcc_lo
	v_lshrrev_b32_e32 v112, v114, v112
; %bb.2322:                             ;   in Loop: Header=BB2_2110 Depth=2
	s_andn2_saveexec_b32 s13, s13
; %bb.2323:                             ;   in Loop: Header=BB2_2110 Depth=2
	v_bfe_u32 v10, v112, 23, 1
; %bb.2324:                             ;   in Loop: Header=BB2_2110 Depth=2
	s_or_b32 exec_lo, exec_lo, s13
	v_lshrrev_b32_e32 v112, 21, v112
	v_min_i32_e32 v114, 31, v10
	v_cmp_gt_i32_e32 vcc_lo, 32, v10
	v_and_b32_sdwa v113, v113, v85 dst_sel:DWORD dst_unused:UNUSED_PAD src0_sel:BYTE_3 src1_sel:DWORD
	v_lshlrev_b32_e32 v114, 2, v114
	v_cndmask_b32_e32 v112, 3, v112, vcc_lo
	v_and_b32_e32 v114, 0xfc, v114
	v_and_b32_e32 v115, 3, v112
	v_or_b32_e32 v10, v10, v112
	v_or3_b32 v113, v113, v114, v115
	v_cmp_ne_u32_e32 vcc_lo, 0, v10
	v_lshlrev_b32_e32 v112, 8, v113
	v_cndmask_b32_e32 v112, 0, v112, vcc_lo
.LBB2_2325:                             ;   in Loop: Header=BB2_2110 Depth=2
	s_or_b32 exec_lo, exec_lo, s40
.LBB2_2326:                             ;   in Loop: Header=BB2_2110 Depth=2
	s_or_b32 exec_lo, exec_lo, s29
	v_bfe_u32 v10, v11, 16, 2
	v_bfe_u32 v115, v11, 18, 5
	v_lshlrev_b32_e32 v116, 8, v11
	s_mov_b32 s29, -1
	v_ffbh_u32_e32 v113, v10
	v_cmp_eq_u32_e32 vcc_lo, 0, v115
	v_min_u32_e32 v113, 32, v113
	v_subrev_nc_u32_e32 v114, 29, v113
	v_sub_nc_u32_e32 v113, 30, v113
	v_lshlrev_b32_sdwa v114, v114, v11 dst_sel:DWORD dst_unused:UNUSED_PAD src0_sel:DWORD src1_sel:WORD_1
	v_cndmask_b32_e32 v113, v115, v113, vcc_lo
	v_and_b32_e32 v114, 3, v114
	v_lshl_add_u32 v115, v113, 23, 0x37800000
	v_and_b32_sdwa v113, v15, v96 dst_sel:DWORD dst_unused:UNUSED_PAD src0_sel:WORD_1 src1_sel:DWORD
	v_cndmask_b32_e32 v10, v10, v114, vcc_lo
	v_and_b32_e32 v114, 0x80000000, v116
	v_cmp_lt_i16_e64 s13, 0x7f, v113
	s_and_b32 vcc_lo, exec_lo, s28
	v_lshlrev_b32_e32 v10, 21, v10
	v_or3_b32 v10, v114, v115, v10
                                        ; implicit-def: $vgpr114
	s_cbranch_vccz .LBB2_2340
; %bb.2327:                             ;   in Loop: Header=BB2_2110 Depth=2
	s_mov_b32 s29, 0
	s_and_saveexec_b32 s40, s13
	s_xor_b32 s13, exec_lo, s40
	s_cbranch_execz .LBB2_2732
; %bb.2328:                             ;   in Loop: Header=BB2_2110 Depth=2
	s_mov_b32 s29, -1
	s_mov_b32 s40, exec_lo
	v_cmpx_eq_u16_e32 0x80, v113
; %bb.2329:                             ;   in Loop: Header=BB2_2110 Depth=2
	s_xor_b32 s29, exec_lo, -1
; %bb.2330:                             ;   in Loop: Header=BB2_2110 Depth=2
	s_or_b32 exec_lo, exec_lo, s40
	s_and_b32 s29, s29, exec_lo
	s_or_saveexec_b32 s13, s13
	v_mov_b32_e32 v114, 0x7f800001
	s_xor_b32 exec_lo, exec_lo, s13
	s_cbranch_execnz .LBB2_2733
.LBB2_2331:                             ;   in Loop: Header=BB2_2110 Depth=2
	s_or_b32 exec_lo, exec_lo, s13
	s_and_saveexec_b32 s13, s29
	s_cbranch_execz .LBB2_2333
.LBB2_2332:                             ;   in Loop: Header=BB2_2110 Depth=2
	v_bfe_u32 v114, v15, 16, 2
	v_bfe_u32 v117, v15, 18, 5
	v_lshlrev_b32_sdwa v118, v87, v15 dst_sel:DWORD dst_unused:UNUSED_PAD src0_sel:DWORD src1_sel:WORD_1
	v_ffbh_u32_e32 v115, v114
	v_cmp_eq_u32_e32 vcc_lo, 0, v117
	v_min_u32_e32 v115, 32, v115
	v_subrev_nc_u32_e32 v116, 29, v115
	v_sub_nc_u32_e32 v115, 30, v115
	v_lshlrev_b32_sdwa v116, v116, v15 dst_sel:DWORD dst_unused:UNUSED_PAD src0_sel:DWORD src1_sel:WORD_1
	v_cndmask_b32_e32 v115, v117, v115, vcc_lo
	v_and_b32_e32 v116, 3, v116
	v_lshl_add_u32 v115, v115, 23, 0x37800000
	v_cndmask_b32_e32 v114, v114, v116, vcc_lo
	v_and_b32_e32 v116, 0x80000000, v118
	v_lshlrev_b32_e32 v114, 21, v114
	v_or3_b32 v114, v116, v115, v114
.LBB2_2333:                             ;   in Loop: Header=BB2_2110 Depth=2
	s_or_b32 exec_lo, exec_lo, s13
	v_and_b32_sdwa v116, v11, v96 dst_sel:DWORD dst_unused:UNUSED_PAD src0_sel:WORD_1 src1_sel:DWORD
	s_mov_b32 s13, 0
	s_mov_b32 s29, exec_lo
	v_cmpx_lt_i16_e32 0x7f, v116
	s_xor_b32 s29, exec_lo, s29
	s_cbranch_execz .LBB2_2734
; %bb.2334:                             ;   in Loop: Header=BB2_2110 Depth=2
	s_mov_b32 s13, -1
	s_mov_b32 s40, exec_lo
	v_cmpx_eq_u16_e32 0x80, v116
; %bb.2335:                             ;   in Loop: Header=BB2_2110 Depth=2
	s_xor_b32 s13, exec_lo, -1
; %bb.2336:                             ;   in Loop: Header=BB2_2110 Depth=2
	s_or_b32 exec_lo, exec_lo, s40
	s_and_b32 s13, s13, exec_lo
                                        ; implicit-def: $vgpr116
	s_or_saveexec_b32 s29, s29
	v_mov_b32_e32 v115, 0x7f800001
	s_xor_b32 exec_lo, exec_lo, s29
	s_cbranch_execnz .LBB2_2735
.LBB2_2337:                             ;   in Loop: Header=BB2_2110 Depth=2
	s_or_b32 exec_lo, exec_lo, s29
	s_and_saveexec_b32 s29, s13
.LBB2_2338:                             ;   in Loop: Header=BB2_2110 Depth=2
	v_mov_b32_e32 v115, v10
.LBB2_2339:                             ;   in Loop: Header=BB2_2110 Depth=2
	s_or_b32 exec_lo, exec_lo, s29
	v_max_f32_e32 v115, v115, v115
	v_max_f32_e32 v114, v114, v114
	s_mov_b32 s29, 0
	v_max_f32_e32 v114, v114, v115
.LBB2_2340:                             ;   in Loop: Header=BB2_2110 Depth=2
	s_and_b32 vcc_lo, exec_lo, s29
	s_cbranch_vccz .LBB2_2354
; %bb.2341:                             ;   in Loop: Header=BB2_2110 Depth=2
	s_mov_b32 s13, 0
	s_mov_b32 s29, exec_lo
	v_cmpx_lt_i16_e32 0x7f, v113
	s_xor_b32 s29, exec_lo, s29
	s_cbranch_execz .LBB2_2736
; %bb.2342:                             ;   in Loop: Header=BB2_2110 Depth=2
	s_mov_b32 s13, -1
	s_mov_b32 s40, exec_lo
	v_cmpx_eq_u16_e32 0x80, v113
; %bb.2343:                             ;   in Loop: Header=BB2_2110 Depth=2
	s_xor_b32 s13, exec_lo, -1
; %bb.2344:                             ;   in Loop: Header=BB2_2110 Depth=2
	s_or_b32 exec_lo, exec_lo, s40
	s_and_b32 s13, s13, exec_lo
                                        ; implicit-def: $vgpr113
	s_or_saveexec_b32 s29, s29
	v_mov_b32_e32 v114, 0x7f800001
	s_xor_b32 exec_lo, exec_lo, s29
	s_cbranch_execnz .LBB2_2737
.LBB2_2345:                             ;   in Loop: Header=BB2_2110 Depth=2
	s_or_b32 exec_lo, exec_lo, s29
	s_and_saveexec_b32 s29, s13
	s_cbranch_execz .LBB2_2347
.LBB2_2346:                             ;   in Loop: Header=BB2_2110 Depth=2
	v_bfe_u32 v113, v15, 16, 2
	v_bfe_u32 v116, v15, 18, 5
	v_lshlrev_b32_sdwa v117, v87, v15 dst_sel:DWORD dst_unused:UNUSED_PAD src0_sel:DWORD src1_sel:WORD_1
	v_ffbh_u32_e32 v114, v113
	v_cmp_eq_u32_e32 vcc_lo, 0, v116
	v_min_u32_e32 v114, 32, v114
	v_subrev_nc_u32_e32 v115, 29, v114
	v_sub_nc_u32_e32 v114, 30, v114
	v_lshlrev_b32_sdwa v115, v115, v15 dst_sel:DWORD dst_unused:UNUSED_PAD src0_sel:DWORD src1_sel:WORD_1
	v_cndmask_b32_e32 v114, v116, v114, vcc_lo
	v_and_b32_e32 v115, 3, v115
	v_lshl_add_u32 v114, v114, 23, 0x37800000
	v_cndmask_b32_e32 v113, v113, v115, vcc_lo
	v_and_b32_e32 v115, 0x80000000, v117
	v_lshlrev_b32_e32 v113, 21, v113
	v_or3_b32 v114, v115, v114, v113
.LBB2_2347:                             ;   in Loop: Header=BB2_2110 Depth=2
	s_or_b32 exec_lo, exec_lo, s29
	v_and_b32_sdwa v115, v11, v96 dst_sel:DWORD dst_unused:UNUSED_PAD src0_sel:WORD_1 src1_sel:DWORD
	s_mov_b32 s13, 0
	s_mov_b32 s29, exec_lo
	v_cmpx_lt_i16_e32 0x7f, v115
	s_xor_b32 s29, exec_lo, s29
	s_cbranch_execz .LBB2_2738
; %bb.2348:                             ;   in Loop: Header=BB2_2110 Depth=2
	s_mov_b32 s13, -1
	s_mov_b32 s40, exec_lo
	v_cmpx_eq_u16_e32 0x80, v115
; %bb.2349:                             ;   in Loop: Header=BB2_2110 Depth=2
	s_xor_b32 s13, exec_lo, -1
; %bb.2350:                             ;   in Loop: Header=BB2_2110 Depth=2
	s_or_b32 exec_lo, exec_lo, s40
	s_and_b32 s13, s13, exec_lo
                                        ; implicit-def: $vgpr115
	s_or_saveexec_b32 s29, s29
	v_mov_b32_e32 v113, 0x7f800001
	s_xor_b32 exec_lo, exec_lo, s29
	s_cbranch_execnz .LBB2_2739
.LBB2_2351:                             ;   in Loop: Header=BB2_2110 Depth=2
	s_or_b32 exec_lo, exec_lo, s29
	s_and_saveexec_b32 s29, s13
.LBB2_2352:                             ;   in Loop: Header=BB2_2110 Depth=2
	v_mov_b32_e32 v113, v10
.LBB2_2353:                             ;   in Loop: Header=BB2_2110 Depth=2
	s_or_b32 exec_lo, exec_lo, s29
	v_max_f32_e32 v10, v113, v113
	v_max_f32_e32 v113, v114, v114
	v_min_f32_e32 v114, v113, v10
.LBB2_2354:                             ;   in Loop: Header=BB2_2110 Depth=2
	v_and_b32_e32 v10, 0x7f800000, v114
	v_mov_b32_e32 v113, 0x80
	s_mov_b32 s29, exec_lo
	v_cmpx_ne_u32_e32 0x7f800000, v10
	s_cbranch_execz .LBB2_2362
; %bb.2355:                             ;   in Loop: Header=BB2_2110 Depth=2
	v_mov_b32_e32 v113, 0
	s_mov_b32 s40, exec_lo
	v_cmpx_ne_u32_e32 0, v114
	s_cbranch_execz .LBB2_2361
; %bb.2356:                             ;   in Loop: Header=BB2_2110 Depth=2
	v_bfe_u32 v10, v114, 23, 8
	v_and_b32_e32 v113, 0x7fffff, v114
	v_sub_nc_u32_e32 v115, 0x70, v10
	v_cmp_gt_u32_e32 vcc_lo, 0x71, v10
	v_or_b32_e32 v116, 0x800000, v113
	v_cndmask_b32_e32 v115, 0, v115, vcc_lo
	v_cmp_eq_u32_e32 vcc_lo, 0, v10
	v_add_nc_u32_e32 v10, 0xffffff91, v10
	v_cndmask_b32_e64 v115, v115, 0x6f, vcc_lo
	v_cndmask_b32_e32 v113, v116, v113, vcc_lo
	v_cndmask_b32_e64 v10, v10, 0xffffff92, vcc_lo
	v_lshl_add_u32 v116, 0x200000, v115, -1
	v_lshrrev_b32_e32 v117, v115, v113
	v_lshlrev_b32_e64 v119, v115, 0x100000
	v_add_nc_u32_e32 v115, v115, v10
	v_and_b32_e32 v113, v116, v113
	v_bfe_u32 v118, v117, 21, 1
	v_cmp_eq_u32_e64 s13, v113, v119
	v_add_nc_u32_e32 v116, -1, v118
	v_cndmask_b32_e64 v113, 0, v116, s13
	v_lshrrev_b32_e32 v116, 23, v117
	s_mov_b32 s13, exec_lo
	v_add_nc_u32_e32 v113, v113, v117
	v_xor_b32_e32 v116, 1, v116
	v_and_b32_e32 v10, 0x1fffff, v113
	v_add_nc_u32_e32 v113, v10, v117
                                        ; implicit-def: $vgpr10
	v_cmpx_ne_u32_e64 v115, v116
	s_xor_b32 s13, exec_lo, s13
; %bb.2357:                             ;   in Loop: Header=BB2_2110 Depth=2
	v_cmp_lt_u32_e32 vcc_lo, 0xffffff, v113
	v_sub_nc_u32_e32 v10, v115, v116
	v_cndmask_b32_e64 v115, 0, 1, vcc_lo
	v_add_co_ci_u32_e64 v10, null, 0, v10, vcc_lo
	v_lshrrev_b32_e32 v113, v115, v113
; %bb.2358:                             ;   in Loop: Header=BB2_2110 Depth=2
	s_andn2_saveexec_b32 s13, s13
; %bb.2359:                             ;   in Loop: Header=BB2_2110 Depth=2
	v_bfe_u32 v10, v113, 23, 1
; %bb.2360:                             ;   in Loop: Header=BB2_2110 Depth=2
	s_or_b32 exec_lo, exec_lo, s13
	v_lshrrev_b32_e32 v113, 21, v113
	v_min_i32_e32 v115, 31, v10
	v_cmp_gt_i32_e32 vcc_lo, 32, v10
	v_and_b32_sdwa v114, v114, v85 dst_sel:DWORD dst_unused:UNUSED_PAD src0_sel:BYTE_3 src1_sel:DWORD
	v_lshlrev_b32_e32 v115, 2, v115
	v_cndmask_b32_e32 v113, 3, v113, vcc_lo
	v_and_b32_e32 v115, 0xfc, v115
	v_and_b32_e32 v116, 3, v113
	v_or_b32_e32 v10, v10, v113
	v_or3_b32 v113, v115, v114, v116
	v_cmp_ne_u32_e32 vcc_lo, 0, v10
	v_cndmask_b32_e32 v113, 0, v113, vcc_lo
.LBB2_2361:                             ;   in Loop: Header=BB2_2110 Depth=2
	s_or_b32 exec_lo, exec_lo, s40
.LBB2_2362:                             ;   in Loop: Header=BB2_2110 Depth=2
	s_or_b32 exec_lo, exec_lo, s29
	v_bfe_u32 v10, v11, 24, 2
	v_bfe_u32 v116, v11, 26, 5
	v_cmp_gt_i16_sdwa s29, v15, v84 src0_sel:BYTE_3 src1_sel:DWORD
	s_mov_b32 s13, -1
	v_ffbh_u32_e32 v114, v10
	v_cmp_eq_u32_e32 vcc_lo, 0, v116
	v_min_u32_e32 v114, 32, v114
	v_subrev_nc_u32_e32 v115, 29, v114
	v_sub_nc_u32_e32 v114, 30, v114
	v_lshlrev_b32_sdwa v115, v115, v11 dst_sel:DWORD dst_unused:UNUSED_PAD src0_sel:DWORD src1_sel:BYTE_3
	v_cndmask_b32_e32 v114, v116, v114, vcc_lo
	v_and_b32_e32 v115, 3, v115
	v_lshl_add_u32 v114, v114, 23, 0x37800000
	v_cndmask_b32_e32 v10, v10, v115, vcc_lo
	v_and_b32_e32 v115, 0x80000000, v11
	s_and_b32 vcc_lo, exec_lo, s28
	v_lshlrev_b32_e32 v10, 21, v10
	v_or3_b32 v10, v115, v114, v10
                                        ; implicit-def: $vgpr114
	s_cbranch_vccz .LBB2_2376
; %bb.2363:                             ;   in Loop: Header=BB2_2110 Depth=2
	s_mov_b32 s13, 0
	s_and_saveexec_b32 s40, s29
	s_xor_b32 s29, exec_lo, s40
	s_cbranch_execz .LBB2_2740
; %bb.2364:                             ;   in Loop: Header=BB2_2110 Depth=2
	v_cmp_eq_u16_sdwa s41, v15, v85 src0_sel:BYTE_3 src1_sel:DWORD
	s_mov_b32 s13, -1
	s_and_saveexec_b32 s40, s41
; %bb.2365:                             ;   in Loop: Header=BB2_2110 Depth=2
	s_xor_b32 s13, exec_lo, -1
; %bb.2366:                             ;   in Loop: Header=BB2_2110 Depth=2
	s_or_b32 exec_lo, exec_lo, s40
	s_and_b32 s13, s13, exec_lo
	s_or_saveexec_b32 s29, s29
	v_mov_b32_e32 v114, 0x7f800001
	s_xor_b32 exec_lo, exec_lo, s29
	s_cbranch_execnz .LBB2_2741
.LBB2_2367:                             ;   in Loop: Header=BB2_2110 Depth=2
	s_or_b32 exec_lo, exec_lo, s29
	s_and_saveexec_b32 s29, s13
	s_cbranch_execz .LBB2_2369
.LBB2_2368:                             ;   in Loop: Header=BB2_2110 Depth=2
	v_bfe_u32 v114, v15, 24, 2
	v_bfe_u32 v117, v15, 26, 5
	v_ffbh_u32_e32 v115, v114
	v_cmp_eq_u32_e32 vcc_lo, 0, v117
	v_min_u32_e32 v115, 32, v115
	v_subrev_nc_u32_e32 v116, 29, v115
	v_sub_nc_u32_e32 v115, 30, v115
	v_lshlrev_b32_sdwa v116, v116, v15 dst_sel:DWORD dst_unused:UNUSED_PAD src0_sel:DWORD src1_sel:BYTE_3
	v_cndmask_b32_e32 v115, v117, v115, vcc_lo
	v_and_b32_e32 v116, 3, v116
	v_lshl_add_u32 v115, v115, 23, 0x37800000
	v_cndmask_b32_e32 v114, v114, v116, vcc_lo
	v_and_b32_e32 v116, 0x80000000, v15
	v_lshlrev_b32_e32 v114, 21, v114
	v_or3_b32 v114, v116, v115, v114
.LBB2_2369:                             ;   in Loop: Header=BB2_2110 Depth=2
	s_or_b32 exec_lo, exec_lo, s29
	v_cmp_gt_i16_sdwa s29, v11, v84 src0_sel:BYTE_3 src1_sel:DWORD
	s_mov_b32 s13, 0
	s_and_saveexec_b32 s40, s29
	s_xor_b32 s29, exec_lo, s40
	s_cbranch_execz .LBB2_2742
; %bb.2370:                             ;   in Loop: Header=BB2_2110 Depth=2
	v_cmp_eq_u16_sdwa s41, v11, v85 src0_sel:BYTE_3 src1_sel:DWORD
	s_mov_b32 s13, -1
	s_and_saveexec_b32 s40, s41
; %bb.2371:                             ;   in Loop: Header=BB2_2110 Depth=2
	s_xor_b32 s13, exec_lo, -1
; %bb.2372:                             ;   in Loop: Header=BB2_2110 Depth=2
	s_or_b32 exec_lo, exec_lo, s40
	s_and_b32 s13, s13, exec_lo
	s_or_saveexec_b32 s29, s29
	v_mov_b32_e32 v115, 0x7f800001
	s_xor_b32 exec_lo, exec_lo, s29
	s_cbranch_execnz .LBB2_2743
.LBB2_2373:                             ;   in Loop: Header=BB2_2110 Depth=2
	s_or_b32 exec_lo, exec_lo, s29
	s_and_saveexec_b32 s29, s13
.LBB2_2374:                             ;   in Loop: Header=BB2_2110 Depth=2
	v_mov_b32_e32 v115, v10
.LBB2_2375:                             ;   in Loop: Header=BB2_2110 Depth=2
	s_or_b32 exec_lo, exec_lo, s29
	v_max_f32_e32 v115, v115, v115
	v_max_f32_e32 v114, v114, v114
	s_mov_b32 s13, 0
	v_max_f32_e32 v114, v114, v115
.LBB2_2376:                             ;   in Loop: Header=BB2_2110 Depth=2
	s_and_b32 vcc_lo, exec_lo, s13
	s_cbranch_vccz .LBB2_2390
; %bb.2377:                             ;   in Loop: Header=BB2_2110 Depth=2
	v_cmp_gt_i16_sdwa s29, v15, v84 src0_sel:BYTE_3 src1_sel:DWORD
	s_mov_b32 s13, 0
	s_and_saveexec_b32 s40, s29
	s_xor_b32 s29, exec_lo, s40
	s_cbranch_execz .LBB2_2744
; %bb.2378:                             ;   in Loop: Header=BB2_2110 Depth=2
	v_cmp_eq_u16_sdwa s41, v15, v85 src0_sel:BYTE_3 src1_sel:DWORD
	s_mov_b32 s13, -1
	s_and_saveexec_b32 s40, s41
; %bb.2379:                             ;   in Loop: Header=BB2_2110 Depth=2
	s_xor_b32 s13, exec_lo, -1
; %bb.2380:                             ;   in Loop: Header=BB2_2110 Depth=2
	s_or_b32 exec_lo, exec_lo, s40
	s_and_b32 s13, s13, exec_lo
	s_or_saveexec_b32 s29, s29
	v_mov_b32_e32 v114, 0x7f800001
	s_xor_b32 exec_lo, exec_lo, s29
	s_cbranch_execnz .LBB2_2745
.LBB2_2381:                             ;   in Loop: Header=BB2_2110 Depth=2
	s_or_b32 exec_lo, exec_lo, s29
	s_and_saveexec_b32 s29, s13
	s_cbranch_execz .LBB2_2383
.LBB2_2382:                             ;   in Loop: Header=BB2_2110 Depth=2
	v_bfe_u32 v114, v15, 24, 2
	v_bfe_u32 v117, v15, 26, 5
	v_ffbh_u32_e32 v115, v114
	v_cmp_eq_u32_e32 vcc_lo, 0, v117
	v_min_u32_e32 v115, 32, v115
	v_subrev_nc_u32_e32 v116, 29, v115
	v_sub_nc_u32_e32 v115, 30, v115
	v_lshlrev_b32_sdwa v116, v116, v15 dst_sel:DWORD dst_unused:UNUSED_PAD src0_sel:DWORD src1_sel:BYTE_3
	v_cndmask_b32_e32 v115, v117, v115, vcc_lo
	v_and_b32_e32 v15, 0x80000000, v15
	v_and_b32_e32 v116, 3, v116
	v_lshl_add_u32 v115, v115, 23, 0x37800000
	v_cndmask_b32_e32 v114, v114, v116, vcc_lo
	v_lshlrev_b32_e32 v114, 21, v114
	v_or3_b32 v114, v15, v115, v114
.LBB2_2383:                             ;   in Loop: Header=BB2_2110 Depth=2
	s_or_b32 exec_lo, exec_lo, s29
	v_cmp_gt_i16_sdwa s29, v11, v84 src0_sel:BYTE_3 src1_sel:DWORD
	s_mov_b32 s13, 0
	s_and_saveexec_b32 s40, s29
	s_xor_b32 s29, exec_lo, s40
	s_cbranch_execz .LBB2_2746
; %bb.2384:                             ;   in Loop: Header=BB2_2110 Depth=2
	v_cmp_eq_u16_sdwa s41, v11, v85 src0_sel:BYTE_3 src1_sel:DWORD
	s_mov_b32 s13, -1
	s_and_saveexec_b32 s40, s41
; %bb.2385:                             ;   in Loop: Header=BB2_2110 Depth=2
	s_xor_b32 s13, exec_lo, -1
; %bb.2386:                             ;   in Loop: Header=BB2_2110 Depth=2
	s_or_b32 exec_lo, exec_lo, s40
	s_and_b32 s13, s13, exec_lo
	s_or_saveexec_b32 s29, s29
	v_mov_b32_e32 v15, 0x7f800001
	s_xor_b32 exec_lo, exec_lo, s29
	s_cbranch_execnz .LBB2_2747
.LBB2_2387:                             ;   in Loop: Header=BB2_2110 Depth=2
	s_or_b32 exec_lo, exec_lo, s29
	s_and_saveexec_b32 s29, s13
.LBB2_2388:                             ;   in Loop: Header=BB2_2110 Depth=2
	v_mov_b32_e32 v15, v10
.LBB2_2389:                             ;   in Loop: Header=BB2_2110 Depth=2
	s_or_b32 exec_lo, exec_lo, s29
	v_max_f32_e32 v10, v15, v15
	v_max_f32_e32 v11, v114, v114
	v_min_f32_e32 v114, v11, v10
.LBB2_2390:                             ;   in Loop: Header=BB2_2110 Depth=2
	v_and_b32_e32 v10, 0x7f800000, v114
	v_mov_b32_e32 v15, 0x8000
	s_mov_b32 s29, exec_lo
	v_cmpx_ne_u32_e32 0x7f800000, v10
	s_cbranch_execz .LBB2_2398
; %bb.2391:                             ;   in Loop: Header=BB2_2110 Depth=2
	v_mov_b32_e32 v15, 0
	s_mov_b32 s40, exec_lo
	v_cmpx_ne_u32_e32 0, v114
	s_cbranch_execz .LBB2_2397
; %bb.2392:                             ;   in Loop: Header=BB2_2110 Depth=2
	v_bfe_u32 v10, v114, 23, 8
	v_and_b32_e32 v11, 0x7fffff, v114
	v_sub_nc_u32_e32 v15, 0x70, v10
	v_cmp_gt_u32_e32 vcc_lo, 0x71, v10
	v_or_b32_e32 v115, 0x800000, v11
	v_cndmask_b32_e32 v15, 0, v15, vcc_lo
	v_cmp_eq_u32_e32 vcc_lo, 0, v10
	v_add_nc_u32_e32 v10, 0xffffff91, v10
	v_cndmask_b32_e64 v15, v15, 0x6f, vcc_lo
	v_cndmask_b32_e32 v11, v115, v11, vcc_lo
	v_cndmask_b32_e64 v10, v10, 0xffffff92, vcc_lo
	v_lshl_add_u32 v115, 0x200000, v15, -1
	v_lshrrev_b32_e32 v116, v15, v11
	v_lshlrev_b32_e64 v118, v15, 0x100000
	v_add_nc_u32_e32 v15, v15, v10
	v_and_b32_e32 v11, v115, v11
	v_bfe_u32 v117, v116, 21, 1
	v_cmp_eq_u32_e64 s13, v11, v118
	v_add_nc_u32_e32 v115, -1, v117
	v_cndmask_b32_e64 v11, 0, v115, s13
	v_lshrrev_b32_e32 v115, 23, v116
	s_mov_b32 s13, exec_lo
	v_add_nc_u32_e32 v11, v11, v116
	v_xor_b32_e32 v115, 1, v115
	v_and_b32_e32 v10, 0x1fffff, v11
	v_add_nc_u32_e32 v11, v10, v116
                                        ; implicit-def: $vgpr10
	v_cmpx_ne_u32_e64 v15, v115
	s_xor_b32 s13, exec_lo, s13
; %bb.2393:                             ;   in Loop: Header=BB2_2110 Depth=2
	v_cmp_lt_u32_e32 vcc_lo, 0xffffff, v11
	v_sub_nc_u32_e32 v10, v15, v115
	v_cndmask_b32_e64 v15, 0, 1, vcc_lo
	v_add_co_ci_u32_e64 v10, null, 0, v10, vcc_lo
	v_lshrrev_b32_e32 v11, v15, v11
; %bb.2394:                             ;   in Loop: Header=BB2_2110 Depth=2
	s_andn2_saveexec_b32 s13, s13
; %bb.2395:                             ;   in Loop: Header=BB2_2110 Depth=2
	v_bfe_u32 v10, v11, 23, 1
; %bb.2396:                             ;   in Loop: Header=BB2_2110 Depth=2
	s_or_b32 exec_lo, exec_lo, s13
	v_lshrrev_b32_e32 v11, 21, v11
	v_min_i32_e32 v15, 31, v10
	v_cmp_gt_i32_e32 vcc_lo, 32, v10
	v_and_b32_sdwa v114, v114, v85 dst_sel:DWORD dst_unused:UNUSED_PAD src0_sel:BYTE_3 src1_sel:DWORD
	v_lshlrev_b32_e32 v15, 2, v15
	v_cndmask_b32_e32 v11, 3, v11, vcc_lo
	v_and_b32_e32 v15, 0xfc, v15
	v_and_b32_e32 v115, 3, v11
	v_or_b32_e32 v10, v10, v11
	v_or3_b32 v15, v114, v15, v115
	v_cmp_ne_u32_e32 vcc_lo, 0, v10
	v_lshlrev_b32_e32 v11, 8, v15
	v_cndmask_b32_e32 v15, 0, v11, vcc_lo
.LBB2_2397:                             ;   in Loop: Header=BB2_2110 Depth=2
	s_or_b32 exec_lo, exec_lo, s40
.LBB2_2398:                             ;   in Loop: Header=BB2_2110 Depth=2
	s_or_b32 exec_lo, exec_lo, s29
	v_and_b32_e32 v10, 3, v12
	v_bfe_u32 v115, v12, 2, 5
	v_lshlrev_b32_e32 v116, 24, v12
	v_cmp_gt_i16_sdwa s29, v16, v84 src0_sel:BYTE_0 src1_sel:DWORD
	s_mov_b32 s13, -1
	v_ffbh_u32_e32 v11, v10
	v_cmp_eq_u32_e32 vcc_lo, 0, v115
	v_min_u32_e32 v11, 32, v11
	v_subrev_nc_u32_e32 v114, 29, v11
	v_sub_nc_u32_e32 v11, 30, v11
	v_lshlrev_b32_e32 v114, v114, v12
	v_cndmask_b32_e32 v11, v115, v11, vcc_lo
	v_and_b32_e32 v114, 3, v114
	v_lshl_add_u32 v11, v11, 23, 0x37800000
	v_cndmask_b32_e32 v10, v10, v114, vcc_lo
	v_and_b32_e32 v114, 0x80000000, v116
	s_and_b32 vcc_lo, exec_lo, s28
	v_lshlrev_b32_e32 v10, 21, v10
	v_or3_b32 v10, v114, v11, v10
                                        ; implicit-def: $vgpr11
	s_cbranch_vccz .LBB2_2412
; %bb.2399:                             ;   in Loop: Header=BB2_2110 Depth=2
	s_mov_b32 s13, 0
	s_and_saveexec_b32 s40, s29
	s_xor_b32 s29, exec_lo, s40
	s_cbranch_execz .LBB2_2748
; %bb.2400:                             ;   in Loop: Header=BB2_2110 Depth=2
	v_cmp_eq_u16_sdwa s41, v16, v85 src0_sel:BYTE_0 src1_sel:DWORD
	s_mov_b32 s13, -1
	s_and_saveexec_b32 s40, s41
; %bb.2401:                             ;   in Loop: Header=BB2_2110 Depth=2
	s_xor_b32 s13, exec_lo, -1
; %bb.2402:                             ;   in Loop: Header=BB2_2110 Depth=2
	s_or_b32 exec_lo, exec_lo, s40
	s_and_b32 s13, s13, exec_lo
	s_or_saveexec_b32 s29, s29
	v_mov_b32_e32 v11, 0x7f800001
	s_xor_b32 exec_lo, exec_lo, s29
	s_cbranch_execnz .LBB2_2749
.LBB2_2403:                             ;   in Loop: Header=BB2_2110 Depth=2
	s_or_b32 exec_lo, exec_lo, s29
	s_and_saveexec_b32 s29, s13
	s_cbranch_execz .LBB2_2405
.LBB2_2404:                             ;   in Loop: Header=BB2_2110 Depth=2
	v_and_b32_e32 v11, 3, v16
	v_bfe_u32 v116, v16, 2, 5
	v_lshlrev_b32_e32 v117, 24, v16
	v_ffbh_u32_e32 v114, v11
	v_cmp_eq_u32_e32 vcc_lo, 0, v116
	v_min_u32_e32 v114, 32, v114
	v_subrev_nc_u32_e32 v115, 29, v114
	v_sub_nc_u32_e32 v114, 30, v114
	v_lshlrev_b32_e32 v115, v115, v16
	v_cndmask_b32_e32 v114, v116, v114, vcc_lo
	v_and_b32_e32 v115, 3, v115
	v_lshl_add_u32 v114, v114, 23, 0x37800000
	v_cndmask_b32_e32 v11, v11, v115, vcc_lo
	v_and_b32_e32 v115, 0x80000000, v117
	v_lshlrev_b32_e32 v11, 21, v11
	v_or3_b32 v11, v115, v114, v11
.LBB2_2405:                             ;   in Loop: Header=BB2_2110 Depth=2
	s_or_b32 exec_lo, exec_lo, s29
	v_cmp_gt_i16_sdwa s29, v12, v84 src0_sel:BYTE_0 src1_sel:DWORD
	s_mov_b32 s13, 0
	s_and_saveexec_b32 s40, s29
	s_xor_b32 s29, exec_lo, s40
	s_cbranch_execz .LBB2_2750
; %bb.2406:                             ;   in Loop: Header=BB2_2110 Depth=2
	v_cmp_eq_u16_sdwa s41, v12, v85 src0_sel:BYTE_0 src1_sel:DWORD
	s_mov_b32 s13, -1
	s_and_saveexec_b32 s40, s41
; %bb.2407:                             ;   in Loop: Header=BB2_2110 Depth=2
	s_xor_b32 s13, exec_lo, -1
; %bb.2408:                             ;   in Loop: Header=BB2_2110 Depth=2
	s_or_b32 exec_lo, exec_lo, s40
	s_and_b32 s13, s13, exec_lo
	s_or_saveexec_b32 s29, s29
	v_mov_b32_e32 v114, 0x7f800001
	s_xor_b32 exec_lo, exec_lo, s29
	s_cbranch_execnz .LBB2_2751
.LBB2_2409:                             ;   in Loop: Header=BB2_2110 Depth=2
	s_or_b32 exec_lo, exec_lo, s29
	s_and_saveexec_b32 s29, s13
.LBB2_2410:                             ;   in Loop: Header=BB2_2110 Depth=2
	v_mov_b32_e32 v114, v10
.LBB2_2411:                             ;   in Loop: Header=BB2_2110 Depth=2
	s_or_b32 exec_lo, exec_lo, s29
	v_max_f32_e32 v114, v114, v114
	v_max_f32_e32 v11, v11, v11
	s_mov_b32 s13, 0
	v_max_f32_e32 v11, v11, v114
.LBB2_2412:                             ;   in Loop: Header=BB2_2110 Depth=2
	s_and_b32 vcc_lo, exec_lo, s13
	s_cbranch_vccz .LBB2_2426
; %bb.2413:                             ;   in Loop: Header=BB2_2110 Depth=2
	v_cmp_gt_i16_sdwa s29, v16, v84 src0_sel:BYTE_0 src1_sel:DWORD
	s_mov_b32 s13, 0
	s_and_saveexec_b32 s40, s29
	s_xor_b32 s29, exec_lo, s40
	s_cbranch_execz .LBB2_2752
; %bb.2414:                             ;   in Loop: Header=BB2_2110 Depth=2
	v_cmp_eq_u16_sdwa s41, v16, v85 src0_sel:BYTE_0 src1_sel:DWORD
	s_mov_b32 s13, -1
	s_and_saveexec_b32 s40, s41
; %bb.2415:                             ;   in Loop: Header=BB2_2110 Depth=2
	s_xor_b32 s13, exec_lo, -1
; %bb.2416:                             ;   in Loop: Header=BB2_2110 Depth=2
	s_or_b32 exec_lo, exec_lo, s40
	s_and_b32 s13, s13, exec_lo
	s_or_saveexec_b32 s29, s29
	v_mov_b32_e32 v11, 0x7f800001
	s_xor_b32 exec_lo, exec_lo, s29
	s_cbranch_execnz .LBB2_2753
.LBB2_2417:                             ;   in Loop: Header=BB2_2110 Depth=2
	s_or_b32 exec_lo, exec_lo, s29
	s_and_saveexec_b32 s29, s13
	s_cbranch_execz .LBB2_2419
.LBB2_2418:                             ;   in Loop: Header=BB2_2110 Depth=2
	v_and_b32_e32 v11, 3, v16
	v_bfe_u32 v116, v16, 2, 5
	v_lshlrev_b32_e32 v117, 24, v16
	v_ffbh_u32_e32 v114, v11
	v_cmp_eq_u32_e32 vcc_lo, 0, v116
	v_min_u32_e32 v114, 32, v114
	v_subrev_nc_u32_e32 v115, 29, v114
	v_sub_nc_u32_e32 v114, 30, v114
	v_lshlrev_b32_e32 v115, v115, v16
	v_cndmask_b32_e32 v114, v116, v114, vcc_lo
	v_and_b32_e32 v115, 3, v115
	v_lshl_add_u32 v114, v114, 23, 0x37800000
	v_cndmask_b32_e32 v11, v11, v115, vcc_lo
	v_and_b32_e32 v115, 0x80000000, v117
	v_lshlrev_b32_e32 v11, 21, v11
	v_or3_b32 v11, v115, v114, v11
.LBB2_2419:                             ;   in Loop: Header=BB2_2110 Depth=2
	s_or_b32 exec_lo, exec_lo, s29
	v_cmp_gt_i16_sdwa s29, v12, v84 src0_sel:BYTE_0 src1_sel:DWORD
	s_mov_b32 s13, 0
	s_and_saveexec_b32 s40, s29
	s_xor_b32 s29, exec_lo, s40
	s_cbranch_execz .LBB2_2754
; %bb.2420:                             ;   in Loop: Header=BB2_2110 Depth=2
	v_cmp_eq_u16_sdwa s41, v12, v85 src0_sel:BYTE_0 src1_sel:DWORD
	s_mov_b32 s13, -1
	s_and_saveexec_b32 s40, s41
; %bb.2421:                             ;   in Loop: Header=BB2_2110 Depth=2
	s_xor_b32 s13, exec_lo, -1
; %bb.2422:                             ;   in Loop: Header=BB2_2110 Depth=2
	s_or_b32 exec_lo, exec_lo, s40
	s_and_b32 s13, s13, exec_lo
	s_or_saveexec_b32 s29, s29
	v_mov_b32_e32 v114, 0x7f800001
	s_xor_b32 exec_lo, exec_lo, s29
	s_cbranch_execnz .LBB2_2755
.LBB2_2423:                             ;   in Loop: Header=BB2_2110 Depth=2
	s_or_b32 exec_lo, exec_lo, s29
	s_and_saveexec_b32 s29, s13
.LBB2_2424:                             ;   in Loop: Header=BB2_2110 Depth=2
	v_mov_b32_e32 v114, v10
.LBB2_2425:                             ;   in Loop: Header=BB2_2110 Depth=2
	s_or_b32 exec_lo, exec_lo, s29
	v_max_f32_e32 v10, v114, v114
	v_max_f32_e32 v11, v11, v11
	v_min_f32_e32 v11, v11, v10
.LBB2_2426:                             ;   in Loop: Header=BB2_2110 Depth=2
	v_and_b32_e32 v10, 0x7f800000, v11
	v_mov_b32_e32 v114, 0x80
	s_mov_b32 s29, exec_lo
	v_cmpx_ne_u32_e32 0x7f800000, v10
	s_cbranch_execz .LBB2_2434
; %bb.2427:                             ;   in Loop: Header=BB2_2110 Depth=2
	v_mov_b32_e32 v114, 0
	s_mov_b32 s40, exec_lo
	v_cmpx_ne_u32_e32 0, v11
	s_cbranch_execz .LBB2_2433
; %bb.2428:                             ;   in Loop: Header=BB2_2110 Depth=2
	v_bfe_u32 v10, v11, 23, 8
	v_and_b32_e32 v114, 0x7fffff, v11
	v_sub_nc_u32_e32 v115, 0x70, v10
	v_cmp_gt_u32_e32 vcc_lo, 0x71, v10
	v_or_b32_e32 v116, 0x800000, v114
	v_cndmask_b32_e32 v115, 0, v115, vcc_lo
	v_cmp_eq_u32_e32 vcc_lo, 0, v10
	v_add_nc_u32_e32 v10, 0xffffff91, v10
	v_cndmask_b32_e64 v115, v115, 0x6f, vcc_lo
	v_cndmask_b32_e32 v114, v116, v114, vcc_lo
	v_cndmask_b32_e64 v10, v10, 0xffffff92, vcc_lo
	v_lshl_add_u32 v116, 0x200000, v115, -1
	v_lshrrev_b32_e32 v117, v115, v114
	v_lshlrev_b32_e64 v119, v115, 0x100000
	v_add_nc_u32_e32 v115, v115, v10
	v_and_b32_e32 v114, v116, v114
	v_bfe_u32 v118, v117, 21, 1
	v_cmp_eq_u32_e64 s13, v114, v119
	v_add_nc_u32_e32 v116, -1, v118
	v_cndmask_b32_e64 v114, 0, v116, s13
	v_lshrrev_b32_e32 v116, 23, v117
	s_mov_b32 s13, exec_lo
	v_add_nc_u32_e32 v114, v114, v117
	v_xor_b32_e32 v116, 1, v116
	v_and_b32_e32 v10, 0x1fffff, v114
	v_add_nc_u32_e32 v114, v10, v117
                                        ; implicit-def: $vgpr10
	v_cmpx_ne_u32_e64 v115, v116
	s_xor_b32 s13, exec_lo, s13
; %bb.2429:                             ;   in Loop: Header=BB2_2110 Depth=2
	v_cmp_lt_u32_e32 vcc_lo, 0xffffff, v114
	v_sub_nc_u32_e32 v10, v115, v116
	v_cndmask_b32_e64 v115, 0, 1, vcc_lo
	v_add_co_ci_u32_e64 v10, null, 0, v10, vcc_lo
	v_lshrrev_b32_e32 v114, v115, v114
; %bb.2430:                             ;   in Loop: Header=BB2_2110 Depth=2
	s_andn2_saveexec_b32 s13, s13
; %bb.2431:                             ;   in Loop: Header=BB2_2110 Depth=2
	v_bfe_u32 v10, v114, 23, 1
; %bb.2432:                             ;   in Loop: Header=BB2_2110 Depth=2
	s_or_b32 exec_lo, exec_lo, s13
	v_lshrrev_b32_e32 v114, 21, v114
	v_min_i32_e32 v115, 31, v10
	v_cmp_gt_i32_e32 vcc_lo, 32, v10
	v_and_b32_sdwa v11, v11, v85 dst_sel:DWORD dst_unused:UNUSED_PAD src0_sel:BYTE_3 src1_sel:DWORD
	v_lshlrev_b32_e32 v115, 2, v115
	v_cndmask_b32_e32 v114, 3, v114, vcc_lo
	v_and_b32_e32 v115, 0xfc, v115
	v_and_b32_e32 v116, 3, v114
	v_or_b32_e32 v10, v10, v114
	v_or3_b32 v11, v115, v11, v116
	v_cmp_ne_u32_e32 vcc_lo, 0, v10
	v_cndmask_b32_e32 v114, 0, v11, vcc_lo
.LBB2_2433:                             ;   in Loop: Header=BB2_2110 Depth=2
	s_or_b32 exec_lo, exec_lo, s40
.LBB2_2434:                             ;   in Loop: Header=BB2_2110 Depth=2
	s_or_b32 exec_lo, exec_lo, s29
	v_and_b32_sdwa v10, v86, v12 dst_sel:DWORD dst_unused:UNUSED_PAD src0_sel:DWORD src1_sel:BYTE_1
	v_cmp_gt_i16_sdwa s29, v16, v84 src0_sel:BYTE_1 src1_sel:DWORD
	s_mov_b32 s13, -1
	v_and_b32_e32 v11, 3, v10
	v_bfe_u32 v117, v10, 2, 5
	v_ffbh_u32_e32 v115, v11
	v_cmp_eq_u32_e32 vcc_lo, 0, v117
	v_min_u32_e32 v115, 32, v115
	v_subrev_nc_u32_e32 v116, 29, v115
	v_sub_nc_u32_e32 v115, 30, v115
	v_lshlrev_b32_e32 v10, v116, v10
	v_lshlrev_b32_sdwa v116, v87, v12 dst_sel:DWORD dst_unused:UNUSED_PAD src0_sel:DWORD src1_sel:BYTE_1
	v_cndmask_b32_e32 v115, v117, v115, vcc_lo
	v_and_b32_e32 v10, 3, v10
	v_lshl_add_u32 v115, v115, 23, 0x37800000
	v_cndmask_b32_e32 v10, v11, v10, vcc_lo
	v_and_b32_e32 v11, 0x80000000, v116
	s_and_b32 vcc_lo, exec_lo, s28
	v_lshlrev_b32_e32 v10, 21, v10
	v_or3_b32 v10, v11, v115, v10
                                        ; implicit-def: $vgpr11
	s_cbranch_vccz .LBB2_2448
; %bb.2435:                             ;   in Loop: Header=BB2_2110 Depth=2
	s_mov_b32 s13, 0
	s_and_saveexec_b32 s40, s29
	s_xor_b32 s29, exec_lo, s40
	s_cbranch_execz .LBB2_2756
; %bb.2436:                             ;   in Loop: Header=BB2_2110 Depth=2
	v_cmp_eq_u16_sdwa s41, v16, v85 src0_sel:BYTE_1 src1_sel:DWORD
	s_mov_b32 s13, -1
	s_and_saveexec_b32 s40, s41
; %bb.2437:                             ;   in Loop: Header=BB2_2110 Depth=2
	s_xor_b32 s13, exec_lo, -1
; %bb.2438:                             ;   in Loop: Header=BB2_2110 Depth=2
	s_or_b32 exec_lo, exec_lo, s40
	s_and_b32 s13, s13, exec_lo
	s_or_saveexec_b32 s29, s29
	v_mov_b32_e32 v11, 0x7f800001
	s_xor_b32 exec_lo, exec_lo, s29
	s_cbranch_execnz .LBB2_2757
.LBB2_2439:                             ;   in Loop: Header=BB2_2110 Depth=2
	s_or_b32 exec_lo, exec_lo, s29
	s_and_saveexec_b32 s29, s13
	s_cbranch_execz .LBB2_2441
.LBB2_2440:                             ;   in Loop: Header=BB2_2110 Depth=2
	v_and_b32_sdwa v11, v86, v16 dst_sel:DWORD dst_unused:UNUSED_PAD src0_sel:DWORD src1_sel:BYTE_1
	v_and_b32_e32 v115, 3, v11
	v_bfe_u32 v118, v11, 2, 5
	v_ffbh_u32_e32 v116, v115
	v_cmp_eq_u32_e32 vcc_lo, 0, v118
	v_min_u32_e32 v116, 32, v116
	v_subrev_nc_u32_e32 v117, 29, v116
	v_sub_nc_u32_e32 v116, 30, v116
	v_lshlrev_b32_e32 v11, v117, v11
	v_lshlrev_b32_e32 v117, 16, v16
	v_cndmask_b32_e32 v116, v118, v116, vcc_lo
	v_and_b32_e32 v11, 3, v11
	v_lshl_add_u32 v116, v116, 23, 0x37800000
	v_cndmask_b32_e32 v11, v115, v11, vcc_lo
	v_and_b32_e32 v115, 0x80000000, v117
	v_lshlrev_b32_e32 v11, 21, v11
	v_or3_b32 v11, v115, v116, v11
.LBB2_2441:                             ;   in Loop: Header=BB2_2110 Depth=2
	s_or_b32 exec_lo, exec_lo, s29
	v_cmp_gt_i16_sdwa s29, v12, v84 src0_sel:BYTE_1 src1_sel:DWORD
	s_mov_b32 s13, 0
	s_and_saveexec_b32 s40, s29
	s_xor_b32 s29, exec_lo, s40
	s_cbranch_execz .LBB2_2758
; %bb.2442:                             ;   in Loop: Header=BB2_2110 Depth=2
	v_cmp_eq_u16_sdwa s41, v12, v85 src0_sel:BYTE_1 src1_sel:DWORD
	s_mov_b32 s13, -1
	s_and_saveexec_b32 s40, s41
; %bb.2443:                             ;   in Loop: Header=BB2_2110 Depth=2
	s_xor_b32 s13, exec_lo, -1
; %bb.2444:                             ;   in Loop: Header=BB2_2110 Depth=2
	s_or_b32 exec_lo, exec_lo, s40
	s_and_b32 s13, s13, exec_lo
	s_or_saveexec_b32 s29, s29
	v_mov_b32_e32 v115, 0x7f800001
	s_xor_b32 exec_lo, exec_lo, s29
	s_cbranch_execnz .LBB2_2759
.LBB2_2445:                             ;   in Loop: Header=BB2_2110 Depth=2
	s_or_b32 exec_lo, exec_lo, s29
	s_and_saveexec_b32 s29, s13
.LBB2_2446:                             ;   in Loop: Header=BB2_2110 Depth=2
	v_mov_b32_e32 v115, v10
.LBB2_2447:                             ;   in Loop: Header=BB2_2110 Depth=2
	s_or_b32 exec_lo, exec_lo, s29
	v_max_f32_e32 v115, v115, v115
	v_max_f32_e32 v11, v11, v11
	s_mov_b32 s13, 0
	v_max_f32_e32 v11, v11, v115
.LBB2_2448:                             ;   in Loop: Header=BB2_2110 Depth=2
	s_and_b32 vcc_lo, exec_lo, s13
	s_cbranch_vccz .LBB2_2462
; %bb.2449:                             ;   in Loop: Header=BB2_2110 Depth=2
	v_cmp_gt_i16_sdwa s29, v16, v84 src0_sel:BYTE_1 src1_sel:DWORD
	s_mov_b32 s13, 0
	s_and_saveexec_b32 s40, s29
	s_xor_b32 s29, exec_lo, s40
	s_cbranch_execz .LBB2_2760
; %bb.2450:                             ;   in Loop: Header=BB2_2110 Depth=2
	v_cmp_eq_u16_sdwa s41, v16, v85 src0_sel:BYTE_1 src1_sel:DWORD
	s_mov_b32 s13, -1
	s_and_saveexec_b32 s40, s41
; %bb.2451:                             ;   in Loop: Header=BB2_2110 Depth=2
	s_xor_b32 s13, exec_lo, -1
; %bb.2452:                             ;   in Loop: Header=BB2_2110 Depth=2
	s_or_b32 exec_lo, exec_lo, s40
	s_and_b32 s13, s13, exec_lo
	s_or_saveexec_b32 s29, s29
	v_mov_b32_e32 v11, 0x7f800001
	s_xor_b32 exec_lo, exec_lo, s29
	s_cbranch_execnz .LBB2_2761
.LBB2_2453:                             ;   in Loop: Header=BB2_2110 Depth=2
	s_or_b32 exec_lo, exec_lo, s29
	s_and_saveexec_b32 s29, s13
	s_cbranch_execz .LBB2_2455
.LBB2_2454:                             ;   in Loop: Header=BB2_2110 Depth=2
	v_and_b32_sdwa v11, v86, v16 dst_sel:DWORD dst_unused:UNUSED_PAD src0_sel:DWORD src1_sel:BYTE_1
	v_and_b32_e32 v115, 3, v11
	v_bfe_u32 v118, v11, 2, 5
	v_ffbh_u32_e32 v116, v115
	v_cmp_eq_u32_e32 vcc_lo, 0, v118
	v_min_u32_e32 v116, 32, v116
	v_subrev_nc_u32_e32 v117, 29, v116
	v_sub_nc_u32_e32 v116, 30, v116
	v_lshlrev_b32_e32 v11, v117, v11
	v_lshlrev_b32_e32 v117, 16, v16
	v_cndmask_b32_e32 v116, v118, v116, vcc_lo
	v_and_b32_e32 v11, 3, v11
	v_lshl_add_u32 v116, v116, 23, 0x37800000
	v_cndmask_b32_e32 v11, v115, v11, vcc_lo
	v_and_b32_e32 v115, 0x80000000, v117
	v_lshlrev_b32_e32 v11, 21, v11
	v_or3_b32 v11, v115, v116, v11
.LBB2_2455:                             ;   in Loop: Header=BB2_2110 Depth=2
	s_or_b32 exec_lo, exec_lo, s29
	v_cmp_gt_i16_sdwa s29, v12, v84 src0_sel:BYTE_1 src1_sel:DWORD
	s_mov_b32 s13, 0
	s_and_saveexec_b32 s40, s29
	s_xor_b32 s29, exec_lo, s40
	s_cbranch_execz .LBB2_2762
; %bb.2456:                             ;   in Loop: Header=BB2_2110 Depth=2
	v_cmp_eq_u16_sdwa s41, v12, v85 src0_sel:BYTE_1 src1_sel:DWORD
	s_mov_b32 s13, -1
	s_and_saveexec_b32 s40, s41
; %bb.2457:                             ;   in Loop: Header=BB2_2110 Depth=2
	s_xor_b32 s13, exec_lo, -1
; %bb.2458:                             ;   in Loop: Header=BB2_2110 Depth=2
	s_or_b32 exec_lo, exec_lo, s40
	s_and_b32 s13, s13, exec_lo
	s_or_saveexec_b32 s29, s29
	v_mov_b32_e32 v115, 0x7f800001
	s_xor_b32 exec_lo, exec_lo, s29
	s_cbranch_execnz .LBB2_2763
.LBB2_2459:                             ;   in Loop: Header=BB2_2110 Depth=2
	s_or_b32 exec_lo, exec_lo, s29
	s_and_saveexec_b32 s29, s13
.LBB2_2460:                             ;   in Loop: Header=BB2_2110 Depth=2
	v_mov_b32_e32 v115, v10
.LBB2_2461:                             ;   in Loop: Header=BB2_2110 Depth=2
	s_or_b32 exec_lo, exec_lo, s29
	v_max_f32_e32 v10, v115, v115
	v_max_f32_e32 v11, v11, v11
	v_min_f32_e32 v11, v11, v10
.LBB2_2462:                             ;   in Loop: Header=BB2_2110 Depth=2
	v_and_b32_e32 v10, 0x7f800000, v11
	v_mov_b32_e32 v115, 0x8000
	s_mov_b32 s29, exec_lo
	v_cmpx_ne_u32_e32 0x7f800000, v10
	s_cbranch_execz .LBB2_2470
; %bb.2463:                             ;   in Loop: Header=BB2_2110 Depth=2
	v_mov_b32_e32 v115, 0
	s_mov_b32 s40, exec_lo
	v_cmpx_ne_u32_e32 0, v11
	s_cbranch_execz .LBB2_2469
; %bb.2464:                             ;   in Loop: Header=BB2_2110 Depth=2
	v_bfe_u32 v10, v11, 23, 8
	v_and_b32_e32 v115, 0x7fffff, v11
	v_sub_nc_u32_e32 v116, 0x70, v10
	v_cmp_gt_u32_e32 vcc_lo, 0x71, v10
	v_or_b32_e32 v117, 0x800000, v115
	v_cndmask_b32_e32 v116, 0, v116, vcc_lo
	v_cmp_eq_u32_e32 vcc_lo, 0, v10
	v_add_nc_u32_e32 v10, 0xffffff91, v10
	v_cndmask_b32_e64 v116, v116, 0x6f, vcc_lo
	v_cndmask_b32_e32 v115, v117, v115, vcc_lo
	v_cndmask_b32_e64 v10, v10, 0xffffff92, vcc_lo
	v_lshl_add_u32 v117, 0x200000, v116, -1
	v_lshrrev_b32_e32 v118, v116, v115
	v_lshlrev_b32_e64 v40, v116, 0x100000
	v_add_nc_u32_e32 v116, v116, v10
	v_and_b32_e32 v115, v117, v115
	v_bfe_u32 v119, v118, 21, 1
	v_cmp_eq_u32_e64 s13, v115, v40
	v_add_nc_u32_e32 v117, -1, v119
	v_cndmask_b32_e64 v115, 0, v117, s13
	v_lshrrev_b32_e32 v117, 23, v118
	s_mov_b32 s13, exec_lo
	v_add_nc_u32_e32 v115, v115, v118
	v_xor_b32_e32 v117, 1, v117
	v_and_b32_e32 v10, 0x1fffff, v115
	v_add_nc_u32_e32 v115, v10, v118
                                        ; implicit-def: $vgpr10
	v_cmpx_ne_u32_e64 v116, v117
	s_xor_b32 s13, exec_lo, s13
; %bb.2465:                             ;   in Loop: Header=BB2_2110 Depth=2
	v_cmp_lt_u32_e32 vcc_lo, 0xffffff, v115
	v_sub_nc_u32_e32 v10, v116, v117
	v_cndmask_b32_e64 v116, 0, 1, vcc_lo
	v_add_co_ci_u32_e64 v10, null, 0, v10, vcc_lo
	v_lshrrev_b32_e32 v115, v116, v115
; %bb.2466:                             ;   in Loop: Header=BB2_2110 Depth=2
	s_andn2_saveexec_b32 s13, s13
; %bb.2467:                             ;   in Loop: Header=BB2_2110 Depth=2
	v_bfe_u32 v10, v115, 23, 1
; %bb.2468:                             ;   in Loop: Header=BB2_2110 Depth=2
	s_or_b32 exec_lo, exec_lo, s13
	v_lshrrev_b32_e32 v115, 21, v115
	v_min_i32_e32 v116, 31, v10
	v_cmp_gt_i32_e32 vcc_lo, 32, v10
	v_and_b32_sdwa v11, v11, v85 dst_sel:DWORD dst_unused:UNUSED_PAD src0_sel:BYTE_3 src1_sel:DWORD
	v_lshlrev_b32_e32 v116, 2, v116
	v_cndmask_b32_e32 v115, 3, v115, vcc_lo
	v_and_b32_e32 v116, 0xfc, v116
	v_and_b32_e32 v117, 3, v115
	v_or_b32_e32 v10, v10, v115
	v_or3_b32 v11, v11, v116, v117
	v_cmp_ne_u32_e32 vcc_lo, 0, v10
	v_lshlrev_b32_e32 v11, 8, v11
	v_cndmask_b32_e32 v115, 0, v11, vcc_lo
.LBB2_2469:                             ;   in Loop: Header=BB2_2110 Depth=2
	s_or_b32 exec_lo, exec_lo, s40
.LBB2_2470:                             ;   in Loop: Header=BB2_2110 Depth=2
	s_or_b32 exec_lo, exec_lo, s29
	v_bfe_u32 v10, v12, 16, 2
	v_bfe_u32 v117, v12, 18, 5
	v_lshlrev_b32_e32 v118, 8, v12
	s_mov_b32 s29, -1
	v_ffbh_u32_e32 v11, v10
	v_cmp_eq_u32_e32 vcc_lo, 0, v117
	v_min_u32_e32 v11, 32, v11
	v_subrev_nc_u32_e32 v116, 29, v11
	v_sub_nc_u32_e32 v11, 30, v11
	v_lshlrev_b32_sdwa v116, v116, v12 dst_sel:DWORD dst_unused:UNUSED_PAD src0_sel:DWORD src1_sel:WORD_1
	v_cndmask_b32_e32 v11, v117, v11, vcc_lo
	v_and_b32_e32 v116, 3, v116
	v_lshl_add_u32 v117, v11, 23, 0x37800000
	v_and_b32_sdwa v11, v16, v96 dst_sel:DWORD dst_unused:UNUSED_PAD src0_sel:WORD_1 src1_sel:DWORD
	v_cndmask_b32_e32 v10, v10, v116, vcc_lo
	v_and_b32_e32 v116, 0x80000000, v118
	v_cmp_lt_i16_e64 s13, 0x7f, v11
	s_and_b32 vcc_lo, exec_lo, s28
	v_lshlrev_b32_e32 v10, 21, v10
	v_or3_b32 v10, v116, v117, v10
                                        ; implicit-def: $vgpr117
	s_cbranch_vccz .LBB2_2484
; %bb.2471:                             ;   in Loop: Header=BB2_2110 Depth=2
	s_mov_b32 s29, 0
	s_and_saveexec_b32 s40, s13
	s_xor_b32 s13, exec_lo, s40
	s_cbranch_execz .LBB2_2764
; %bb.2472:                             ;   in Loop: Header=BB2_2110 Depth=2
	s_mov_b32 s29, -1
	s_mov_b32 s40, exec_lo
	v_cmpx_eq_u16_e32 0x80, v11
; %bb.2473:                             ;   in Loop: Header=BB2_2110 Depth=2
	s_xor_b32 s29, exec_lo, -1
; %bb.2474:                             ;   in Loop: Header=BB2_2110 Depth=2
	s_or_b32 exec_lo, exec_lo, s40
	s_and_b32 s29, s29, exec_lo
	s_or_saveexec_b32 s13, s13
	v_mov_b32_e32 v116, 0x7f800001
	s_xor_b32 exec_lo, exec_lo, s13
	s_cbranch_execnz .LBB2_2765
.LBB2_2475:                             ;   in Loop: Header=BB2_2110 Depth=2
	s_or_b32 exec_lo, exec_lo, s13
	s_and_saveexec_b32 s13, s29
	s_cbranch_execz .LBB2_2477
.LBB2_2476:                             ;   in Loop: Header=BB2_2110 Depth=2
	v_bfe_u32 v116, v16, 16, 2
	v_bfe_u32 v119, v16, 18, 5
	v_lshlrev_b32_sdwa v40, v87, v16 dst_sel:DWORD dst_unused:UNUSED_PAD src0_sel:DWORD src1_sel:WORD_1
	v_ffbh_u32_e32 v117, v116
	v_cmp_eq_u32_e32 vcc_lo, 0, v119
	v_min_u32_e32 v117, 32, v117
	v_subrev_nc_u32_e32 v118, 29, v117
	v_sub_nc_u32_e32 v117, 30, v117
	v_lshlrev_b32_sdwa v118, v118, v16 dst_sel:DWORD dst_unused:UNUSED_PAD src0_sel:DWORD src1_sel:WORD_1
	v_cndmask_b32_e32 v117, v119, v117, vcc_lo
	v_and_b32_e32 v118, 3, v118
	v_lshl_add_u32 v117, v117, 23, 0x37800000
	v_cndmask_b32_e32 v116, v116, v118, vcc_lo
	v_and_b32_e32 v118, 0x80000000, v40
	v_lshlrev_b32_e32 v116, 21, v116
	v_or3_b32 v116, v118, v117, v116
.LBB2_2477:                             ;   in Loop: Header=BB2_2110 Depth=2
	s_or_b32 exec_lo, exec_lo, s13
	v_and_b32_sdwa v118, v12, v96 dst_sel:DWORD dst_unused:UNUSED_PAD src0_sel:WORD_1 src1_sel:DWORD
	s_mov_b32 s13, 0
	s_mov_b32 s29, exec_lo
	v_cmpx_lt_i16_e32 0x7f, v118
	s_xor_b32 s29, exec_lo, s29
	s_cbranch_execz .LBB2_2766
; %bb.2478:                             ;   in Loop: Header=BB2_2110 Depth=2
	s_mov_b32 s13, -1
	s_mov_b32 s40, exec_lo
	v_cmpx_eq_u16_e32 0x80, v118
; %bb.2479:                             ;   in Loop: Header=BB2_2110 Depth=2
	s_xor_b32 s13, exec_lo, -1
; %bb.2480:                             ;   in Loop: Header=BB2_2110 Depth=2
	s_or_b32 exec_lo, exec_lo, s40
	s_and_b32 s13, s13, exec_lo
                                        ; implicit-def: $vgpr118
	s_or_saveexec_b32 s29, s29
	v_mov_b32_e32 v117, 0x7f800001
	s_xor_b32 exec_lo, exec_lo, s29
	s_cbranch_execnz .LBB2_2767
.LBB2_2481:                             ;   in Loop: Header=BB2_2110 Depth=2
	s_or_b32 exec_lo, exec_lo, s29
	s_and_saveexec_b32 s29, s13
.LBB2_2482:                             ;   in Loop: Header=BB2_2110 Depth=2
	v_mov_b32_e32 v117, v10
.LBB2_2483:                             ;   in Loop: Header=BB2_2110 Depth=2
	s_or_b32 exec_lo, exec_lo, s29
	v_max_f32_e32 v117, v117, v117
	v_max_f32_e32 v116, v116, v116
	s_mov_b32 s29, 0
	v_max_f32_e32 v117, v116, v117
.LBB2_2484:                             ;   in Loop: Header=BB2_2110 Depth=2
	s_and_b32 vcc_lo, exec_lo, s29
	s_cbranch_vccz .LBB2_2498
; %bb.2485:                             ;   in Loop: Header=BB2_2110 Depth=2
	s_mov_b32 s13, 0
	s_mov_b32 s29, exec_lo
	v_cmpx_lt_i16_e32 0x7f, v11
	s_xor_b32 s29, exec_lo, s29
	s_cbranch_execz .LBB2_2768
; %bb.2486:                             ;   in Loop: Header=BB2_2110 Depth=2
	s_mov_b32 s13, -1
	s_mov_b32 s40, exec_lo
	v_cmpx_eq_u16_e32 0x80, v11
; %bb.2487:                             ;   in Loop: Header=BB2_2110 Depth=2
	s_xor_b32 s13, exec_lo, -1
; %bb.2488:                             ;   in Loop: Header=BB2_2110 Depth=2
	s_or_b32 exec_lo, exec_lo, s40
	s_and_b32 s13, s13, exec_lo
                                        ; implicit-def: $vgpr11
	s_or_saveexec_b32 s29, s29
	v_mov_b32_e32 v116, 0x7f800001
	s_xor_b32 exec_lo, exec_lo, s29
	s_cbranch_execnz .LBB2_2769
.LBB2_2489:                             ;   in Loop: Header=BB2_2110 Depth=2
	s_or_b32 exec_lo, exec_lo, s29
	s_and_saveexec_b32 s29, s13
	s_cbranch_execz .LBB2_2491
.LBB2_2490:                             ;   in Loop: Header=BB2_2110 Depth=2
	v_bfe_u32 v11, v16, 16, 2
	v_bfe_u32 v118, v16, 18, 5
	v_lshlrev_b32_sdwa v119, v87, v16 dst_sel:DWORD dst_unused:UNUSED_PAD src0_sel:DWORD src1_sel:WORD_1
	v_ffbh_u32_e32 v116, v11
	v_cmp_eq_u32_e32 vcc_lo, 0, v118
	v_min_u32_e32 v116, 32, v116
	v_subrev_nc_u32_e32 v117, 29, v116
	v_sub_nc_u32_e32 v116, 30, v116
	v_lshlrev_b32_sdwa v117, v117, v16 dst_sel:DWORD dst_unused:UNUSED_PAD src0_sel:DWORD src1_sel:WORD_1
	v_cndmask_b32_e32 v116, v118, v116, vcc_lo
	v_and_b32_e32 v117, 3, v117
	v_lshl_add_u32 v116, v116, 23, 0x37800000
	v_cndmask_b32_e32 v11, v11, v117, vcc_lo
	v_and_b32_e32 v117, 0x80000000, v119
	v_lshlrev_b32_e32 v11, 21, v11
	v_or3_b32 v116, v117, v116, v11
.LBB2_2491:                             ;   in Loop: Header=BB2_2110 Depth=2
	s_or_b32 exec_lo, exec_lo, s29
	v_and_b32_sdwa v117, v12, v96 dst_sel:DWORD dst_unused:UNUSED_PAD src0_sel:WORD_1 src1_sel:DWORD
	s_mov_b32 s13, 0
	s_mov_b32 s29, exec_lo
	v_cmpx_lt_i16_e32 0x7f, v117
	s_xor_b32 s29, exec_lo, s29
	s_cbranch_execz .LBB2_2770
; %bb.2492:                             ;   in Loop: Header=BB2_2110 Depth=2
	s_mov_b32 s13, -1
	s_mov_b32 s40, exec_lo
	v_cmpx_eq_u16_e32 0x80, v117
; %bb.2493:                             ;   in Loop: Header=BB2_2110 Depth=2
	s_xor_b32 s13, exec_lo, -1
; %bb.2494:                             ;   in Loop: Header=BB2_2110 Depth=2
	s_or_b32 exec_lo, exec_lo, s40
	s_and_b32 s13, s13, exec_lo
                                        ; implicit-def: $vgpr117
	s_or_saveexec_b32 s29, s29
	v_mov_b32_e32 v11, 0x7f800001
	s_xor_b32 exec_lo, exec_lo, s29
	s_cbranch_execnz .LBB2_2771
.LBB2_2495:                             ;   in Loop: Header=BB2_2110 Depth=2
	s_or_b32 exec_lo, exec_lo, s29
	s_and_saveexec_b32 s29, s13
.LBB2_2496:                             ;   in Loop: Header=BB2_2110 Depth=2
	v_mov_b32_e32 v11, v10
.LBB2_2497:                             ;   in Loop: Header=BB2_2110 Depth=2
	s_or_b32 exec_lo, exec_lo, s29
	v_max_f32_e32 v10, v11, v11
	v_max_f32_e32 v11, v116, v116
	v_min_f32_e32 v117, v11, v10
.LBB2_2498:                             ;   in Loop: Header=BB2_2110 Depth=2
	v_and_b32_e32 v10, 0x7f800000, v117
	v_mov_b32_e32 v116, 0x80
	s_mov_b32 s29, exec_lo
	v_cmpx_ne_u32_e32 0x7f800000, v10
	s_cbranch_execz .LBB2_2506
; %bb.2499:                             ;   in Loop: Header=BB2_2110 Depth=2
	v_mov_b32_e32 v116, 0
	s_mov_b32 s40, exec_lo
	v_cmpx_ne_u32_e32 0, v117
	s_cbranch_execz .LBB2_2505
; %bb.2500:                             ;   in Loop: Header=BB2_2110 Depth=2
	v_bfe_u32 v10, v117, 23, 8
	v_and_b32_e32 v11, 0x7fffff, v117
	v_sub_nc_u32_e32 v116, 0x70, v10
	v_cmp_gt_u32_e32 vcc_lo, 0x71, v10
	v_or_b32_e32 v118, 0x800000, v11
	v_cndmask_b32_e32 v116, 0, v116, vcc_lo
	v_cmp_eq_u32_e32 vcc_lo, 0, v10
	v_add_nc_u32_e32 v10, 0xffffff91, v10
	v_cndmask_b32_e64 v116, v116, 0x6f, vcc_lo
	v_cndmask_b32_e32 v11, v118, v11, vcc_lo
	v_cndmask_b32_e64 v10, v10, 0xffffff92, vcc_lo
	v_lshl_add_u32 v118, 0x200000, v116, -1
	v_lshrrev_b32_e32 v119, v116, v11
	v_lshlrev_b32_e64 v41, v116, 0x100000
	v_add_nc_u32_e32 v116, v116, v10
	v_and_b32_e32 v11, v118, v11
	v_bfe_u32 v40, v119, 21, 1
	v_cmp_eq_u32_e64 s13, v11, v41
	v_add_nc_u32_e32 v118, -1, v40
	v_cndmask_b32_e64 v11, 0, v118, s13
	v_lshrrev_b32_e32 v118, 23, v119
	s_mov_b32 s13, exec_lo
	v_add_nc_u32_e32 v11, v11, v119
	v_xor_b32_e32 v118, 1, v118
	v_and_b32_e32 v10, 0x1fffff, v11
	v_add_nc_u32_e32 v11, v10, v119
                                        ; implicit-def: $vgpr10
	v_cmpx_ne_u32_e64 v116, v118
	s_xor_b32 s13, exec_lo, s13
; %bb.2501:                             ;   in Loop: Header=BB2_2110 Depth=2
	v_cmp_lt_u32_e32 vcc_lo, 0xffffff, v11
	v_sub_nc_u32_e32 v10, v116, v118
	v_cndmask_b32_e64 v116, 0, 1, vcc_lo
	v_add_co_ci_u32_e64 v10, null, 0, v10, vcc_lo
	v_lshrrev_b32_e32 v11, v116, v11
; %bb.2502:                             ;   in Loop: Header=BB2_2110 Depth=2
	s_andn2_saveexec_b32 s13, s13
; %bb.2503:                             ;   in Loop: Header=BB2_2110 Depth=2
	v_bfe_u32 v10, v11, 23, 1
; %bb.2504:                             ;   in Loop: Header=BB2_2110 Depth=2
	s_or_b32 exec_lo, exec_lo, s13
	v_lshrrev_b32_e32 v11, 21, v11
	v_min_i32_e32 v116, 31, v10
	v_cmp_gt_i32_e32 vcc_lo, 32, v10
	v_and_b32_sdwa v117, v117, v85 dst_sel:DWORD dst_unused:UNUSED_PAD src0_sel:BYTE_3 src1_sel:DWORD
	v_lshlrev_b32_e32 v116, 2, v116
	v_cndmask_b32_e32 v11, 3, v11, vcc_lo
	v_and_b32_e32 v116, 0xfc, v116
	v_and_b32_e32 v118, 3, v11
	v_or_b32_e32 v10, v10, v11
	v_or3_b32 v11, v116, v117, v118
	v_cmp_ne_u32_e32 vcc_lo, 0, v10
	v_cndmask_b32_e32 v116, 0, v11, vcc_lo
.LBB2_2505:                             ;   in Loop: Header=BB2_2110 Depth=2
	s_or_b32 exec_lo, exec_lo, s40
.LBB2_2506:                             ;   in Loop: Header=BB2_2110 Depth=2
	s_or_b32 exec_lo, exec_lo, s29
	v_bfe_u32 v10, v12, 24, 2
	v_bfe_u32 v118, v12, 26, 5
	v_cmp_gt_i16_sdwa s29, v16, v84 src0_sel:BYTE_3 src1_sel:DWORD
	s_mov_b32 s13, -1
	v_ffbh_u32_e32 v11, v10
	v_cmp_eq_u32_e32 vcc_lo, 0, v118
	v_min_u32_e32 v11, 32, v11
	v_subrev_nc_u32_e32 v117, 29, v11
	v_sub_nc_u32_e32 v11, 30, v11
	v_lshlrev_b32_sdwa v117, v117, v12 dst_sel:DWORD dst_unused:UNUSED_PAD src0_sel:DWORD src1_sel:BYTE_3
	v_cndmask_b32_e32 v11, v118, v11, vcc_lo
	v_and_b32_e32 v117, 3, v117
	v_lshl_add_u32 v11, v11, 23, 0x37800000
	v_cndmask_b32_e32 v10, v10, v117, vcc_lo
	v_and_b32_e32 v117, 0x80000000, v12
	s_and_b32 vcc_lo, exec_lo, s28
	v_lshlrev_b32_e32 v10, 21, v10
	v_or3_b32 v10, v117, v11, v10
                                        ; implicit-def: $vgpr11
	s_cbranch_vccz .LBB2_2520
; %bb.2507:                             ;   in Loop: Header=BB2_2110 Depth=2
	s_mov_b32 s13, 0
	s_and_saveexec_b32 s40, s29
	s_xor_b32 s29, exec_lo, s40
	s_cbranch_execz .LBB2_2772
; %bb.2508:                             ;   in Loop: Header=BB2_2110 Depth=2
	v_cmp_eq_u16_sdwa s41, v16, v85 src0_sel:BYTE_3 src1_sel:DWORD
	s_mov_b32 s13, -1
	s_and_saveexec_b32 s40, s41
; %bb.2509:                             ;   in Loop: Header=BB2_2110 Depth=2
	s_xor_b32 s13, exec_lo, -1
; %bb.2510:                             ;   in Loop: Header=BB2_2110 Depth=2
	s_or_b32 exec_lo, exec_lo, s40
	s_and_b32 s13, s13, exec_lo
	s_or_saveexec_b32 s29, s29
	v_mov_b32_e32 v11, 0x7f800001
	s_xor_b32 exec_lo, exec_lo, s29
	s_cbranch_execnz .LBB2_2773
.LBB2_2511:                             ;   in Loop: Header=BB2_2110 Depth=2
	s_or_b32 exec_lo, exec_lo, s29
	s_and_saveexec_b32 s29, s13
	s_cbranch_execz .LBB2_2513
.LBB2_2512:                             ;   in Loop: Header=BB2_2110 Depth=2
	v_bfe_u32 v11, v16, 24, 2
	v_bfe_u32 v119, v16, 26, 5
	v_ffbh_u32_e32 v117, v11
	v_cmp_eq_u32_e32 vcc_lo, 0, v119
	v_min_u32_e32 v117, 32, v117
	v_subrev_nc_u32_e32 v118, 29, v117
	v_sub_nc_u32_e32 v117, 30, v117
	v_lshlrev_b32_sdwa v118, v118, v16 dst_sel:DWORD dst_unused:UNUSED_PAD src0_sel:DWORD src1_sel:BYTE_3
	v_cndmask_b32_e32 v117, v119, v117, vcc_lo
	v_and_b32_e32 v118, 3, v118
	v_lshl_add_u32 v117, v117, 23, 0x37800000
	v_cndmask_b32_e32 v11, v11, v118, vcc_lo
	v_and_b32_e32 v118, 0x80000000, v16
	v_lshlrev_b32_e32 v11, 21, v11
	v_or3_b32 v11, v118, v117, v11
.LBB2_2513:                             ;   in Loop: Header=BB2_2110 Depth=2
	s_or_b32 exec_lo, exec_lo, s29
	v_cmp_gt_i16_sdwa s29, v12, v84 src0_sel:BYTE_3 src1_sel:DWORD
	s_mov_b32 s13, 0
	s_and_saveexec_b32 s40, s29
	s_xor_b32 s29, exec_lo, s40
	s_cbranch_execz .LBB2_2774
; %bb.2514:                             ;   in Loop: Header=BB2_2110 Depth=2
	v_cmp_eq_u16_sdwa s41, v12, v85 src0_sel:BYTE_3 src1_sel:DWORD
	s_mov_b32 s13, -1
	s_and_saveexec_b32 s40, s41
; %bb.2515:                             ;   in Loop: Header=BB2_2110 Depth=2
	s_xor_b32 s13, exec_lo, -1
; %bb.2516:                             ;   in Loop: Header=BB2_2110 Depth=2
	s_or_b32 exec_lo, exec_lo, s40
	s_and_b32 s13, s13, exec_lo
	s_or_saveexec_b32 s29, s29
	v_mov_b32_e32 v117, 0x7f800001
	s_xor_b32 exec_lo, exec_lo, s29
	s_cbranch_execnz .LBB2_2775
.LBB2_2517:                             ;   in Loop: Header=BB2_2110 Depth=2
	s_or_b32 exec_lo, exec_lo, s29
	s_and_saveexec_b32 s29, s13
.LBB2_2518:                             ;   in Loop: Header=BB2_2110 Depth=2
	v_mov_b32_e32 v117, v10
.LBB2_2519:                             ;   in Loop: Header=BB2_2110 Depth=2
	s_or_b32 exec_lo, exec_lo, s29
	v_max_f32_e32 v117, v117, v117
	v_max_f32_e32 v11, v11, v11
	s_mov_b32 s13, 0
	v_max_f32_e32 v11, v11, v117
.LBB2_2520:                             ;   in Loop: Header=BB2_2110 Depth=2
	s_and_b32 vcc_lo, exec_lo, s13
	s_cbranch_vccz .LBB2_2534
; %bb.2521:                             ;   in Loop: Header=BB2_2110 Depth=2
	v_cmp_gt_i16_sdwa s29, v16, v84 src0_sel:BYTE_3 src1_sel:DWORD
	s_mov_b32 s13, 0
	s_and_saveexec_b32 s40, s29
	s_xor_b32 s29, exec_lo, s40
	s_cbranch_execz .LBB2_2776
; %bb.2522:                             ;   in Loop: Header=BB2_2110 Depth=2
	v_cmp_eq_u16_sdwa s41, v16, v85 src0_sel:BYTE_3 src1_sel:DWORD
	s_mov_b32 s13, -1
	s_and_saveexec_b32 s40, s41
; %bb.2523:                             ;   in Loop: Header=BB2_2110 Depth=2
	s_xor_b32 s13, exec_lo, -1
; %bb.2524:                             ;   in Loop: Header=BB2_2110 Depth=2
	s_or_b32 exec_lo, exec_lo, s40
	s_and_b32 s13, s13, exec_lo
	s_or_saveexec_b32 s29, s29
	v_mov_b32_e32 v11, 0x7f800001
	s_xor_b32 exec_lo, exec_lo, s29
	s_cbranch_execnz .LBB2_2777
.LBB2_2525:                             ;   in Loop: Header=BB2_2110 Depth=2
	s_or_b32 exec_lo, exec_lo, s29
	s_and_saveexec_b32 s29, s13
	s_cbranch_execz .LBB2_2527
.LBB2_2526:                             ;   in Loop: Header=BB2_2110 Depth=2
	v_bfe_u32 v11, v16, 24, 2
	v_bfe_u32 v119, v16, 26, 5
	v_ffbh_u32_e32 v117, v11
	v_cmp_eq_u32_e32 vcc_lo, 0, v119
	v_min_u32_e32 v117, 32, v117
	v_subrev_nc_u32_e32 v118, 29, v117
	v_sub_nc_u32_e32 v117, 30, v117
	v_lshlrev_b32_sdwa v118, v118, v16 dst_sel:DWORD dst_unused:UNUSED_PAD src0_sel:DWORD src1_sel:BYTE_3
	v_cndmask_b32_e32 v117, v119, v117, vcc_lo
	v_and_b32_e32 v16, 0x80000000, v16
	v_and_b32_e32 v118, 3, v118
	v_lshl_add_u32 v117, v117, 23, 0x37800000
	v_cndmask_b32_e32 v11, v11, v118, vcc_lo
	v_lshlrev_b32_e32 v11, 21, v11
	v_or3_b32 v11, v16, v117, v11
.LBB2_2527:                             ;   in Loop: Header=BB2_2110 Depth=2
	s_or_b32 exec_lo, exec_lo, s29
	v_cmp_gt_i16_sdwa s29, v12, v84 src0_sel:BYTE_3 src1_sel:DWORD
	s_mov_b32 s13, 0
	s_and_saveexec_b32 s40, s29
	s_xor_b32 s29, exec_lo, s40
	s_cbranch_execz .LBB2_2778
; %bb.2528:                             ;   in Loop: Header=BB2_2110 Depth=2
	v_cmp_eq_u16_sdwa s41, v12, v85 src0_sel:BYTE_3 src1_sel:DWORD
	s_mov_b32 s13, -1
	s_and_saveexec_b32 s40, s41
; %bb.2529:                             ;   in Loop: Header=BB2_2110 Depth=2
	s_xor_b32 s13, exec_lo, -1
; %bb.2530:                             ;   in Loop: Header=BB2_2110 Depth=2
	s_or_b32 exec_lo, exec_lo, s40
	s_and_b32 s13, s13, exec_lo
	s_or_saveexec_b32 s29, s29
	v_mov_b32_e32 v16, 0x7f800001
	s_xor_b32 exec_lo, exec_lo, s29
	s_cbranch_execnz .LBB2_2779
.LBB2_2531:                             ;   in Loop: Header=BB2_2110 Depth=2
	s_or_b32 exec_lo, exec_lo, s29
	s_and_saveexec_b32 s29, s13
.LBB2_2532:                             ;   in Loop: Header=BB2_2110 Depth=2
	v_mov_b32_e32 v16, v10
.LBB2_2533:                             ;   in Loop: Header=BB2_2110 Depth=2
	s_or_b32 exec_lo, exec_lo, s29
	v_max_f32_e32 v10, v16, v16
	v_max_f32_e32 v11, v11, v11
	v_min_f32_e32 v11, v11, v10
.LBB2_2534:                             ;   in Loop: Header=BB2_2110 Depth=2
	v_and_b32_e32 v10, 0x7f800000, v11
	v_mov_b32_e32 v16, 0x8000
	s_mov_b32 s29, exec_lo
	v_cmpx_ne_u32_e32 0x7f800000, v10
	s_cbranch_execz .LBB2_2542
; %bb.2535:                             ;   in Loop: Header=BB2_2110 Depth=2
	v_mov_b32_e32 v16, 0
	s_mov_b32 s40, exec_lo
	v_cmpx_ne_u32_e32 0, v11
	s_cbranch_execz .LBB2_2541
; %bb.2536:                             ;   in Loop: Header=BB2_2110 Depth=2
	v_bfe_u32 v10, v11, 23, 8
	v_and_b32_e32 v12, 0x7fffff, v11
	v_sub_nc_u32_e32 v16, 0x70, v10
	v_cmp_gt_u32_e32 vcc_lo, 0x71, v10
	v_or_b32_e32 v117, 0x800000, v12
	v_cndmask_b32_e32 v16, 0, v16, vcc_lo
	v_cmp_eq_u32_e32 vcc_lo, 0, v10
	v_add_nc_u32_e32 v10, 0xffffff91, v10
	v_cndmask_b32_e64 v16, v16, 0x6f, vcc_lo
	v_cndmask_b32_e32 v12, v117, v12, vcc_lo
	v_cndmask_b32_e64 v10, v10, 0xffffff92, vcc_lo
	v_lshl_add_u32 v117, 0x200000, v16, -1
	v_lshrrev_b32_e32 v118, v16, v12
	v_lshlrev_b32_e64 v40, v16, 0x100000
	v_add_nc_u32_e32 v16, v16, v10
	v_and_b32_e32 v12, v117, v12
	v_bfe_u32 v119, v118, 21, 1
	v_cmp_eq_u32_e64 s13, v12, v40
	v_add_nc_u32_e32 v117, -1, v119
	v_cndmask_b32_e64 v12, 0, v117, s13
	v_lshrrev_b32_e32 v117, 23, v118
	s_mov_b32 s13, exec_lo
	v_add_nc_u32_e32 v12, v12, v118
	v_xor_b32_e32 v117, 1, v117
	v_and_b32_e32 v10, 0x1fffff, v12
	v_add_nc_u32_e32 v12, v10, v118
                                        ; implicit-def: $vgpr10
	v_cmpx_ne_u32_e64 v16, v117
	s_xor_b32 s13, exec_lo, s13
; %bb.2537:                             ;   in Loop: Header=BB2_2110 Depth=2
	v_cmp_lt_u32_e32 vcc_lo, 0xffffff, v12
	v_sub_nc_u32_e32 v10, v16, v117
	v_cndmask_b32_e64 v16, 0, 1, vcc_lo
	v_add_co_ci_u32_e64 v10, null, 0, v10, vcc_lo
	v_lshrrev_b32_e32 v12, v16, v12
; %bb.2538:                             ;   in Loop: Header=BB2_2110 Depth=2
	s_andn2_saveexec_b32 s13, s13
; %bb.2539:                             ;   in Loop: Header=BB2_2110 Depth=2
	v_bfe_u32 v10, v12, 23, 1
; %bb.2540:                             ;   in Loop: Header=BB2_2110 Depth=2
	s_or_b32 exec_lo, exec_lo, s13
	v_lshrrev_b32_e32 v12, 21, v12
	v_min_i32_e32 v16, 31, v10
	v_cmp_gt_i32_e32 vcc_lo, 32, v10
	v_and_b32_sdwa v11, v11, v85 dst_sel:DWORD dst_unused:UNUSED_PAD src0_sel:BYTE_3 src1_sel:DWORD
	v_lshlrev_b32_e32 v16, 2, v16
	v_cndmask_b32_e32 v12, 3, v12, vcc_lo
	v_and_b32_e32 v16, 0xfc, v16
	v_and_b32_e32 v117, 3, v12
	v_or_b32_e32 v10, v10, v12
	v_or3_b32 v11, v11, v16, v117
	v_cmp_ne_u32_e32 vcc_lo, 0, v10
	v_lshlrev_b32_e32 v11, 8, v11
	v_cndmask_b32_e32 v16, 0, v11, vcc_lo
.LBB2_2541:                             ;   in Loop: Header=BB2_2110 Depth=2
	s_or_b32 exec_lo, exec_lo, s40
.LBB2_2542:                             ;   in Loop: Header=BB2_2110 Depth=2
	s_or_b32 exec_lo, exec_lo, s29
	v_and_b32_e32 v10, 3, v13
	v_bfe_u32 v117, v13, 2, 5
	v_lshlrev_b32_e32 v118, 24, v13
	v_cmp_gt_i16_sdwa s29, v17, v84 src0_sel:BYTE_0 src1_sel:DWORD
	s_mov_b32 s13, -1
	v_ffbh_u32_e32 v11, v10
	v_cmp_eq_u32_e32 vcc_lo, 0, v117
	v_min_u32_e32 v11, 32, v11
	v_subrev_nc_u32_e32 v12, 29, v11
	v_sub_nc_u32_e32 v11, 30, v11
	v_lshlrev_b32_e32 v12, v12, v13
	v_cndmask_b32_e32 v11, v117, v11, vcc_lo
	v_and_b32_e32 v12, 3, v12
	v_lshl_add_u32 v11, v11, 23, 0x37800000
	v_cndmask_b32_e32 v10, v10, v12, vcc_lo
	v_and_b32_e32 v12, 0x80000000, v118
	s_and_b32 vcc_lo, exec_lo, s28
	v_lshlrev_b32_e32 v10, 21, v10
	v_or3_b32 v10, v12, v11, v10
                                        ; implicit-def: $vgpr11
	s_cbranch_vccz .LBB2_2556
; %bb.2543:                             ;   in Loop: Header=BB2_2110 Depth=2
	s_mov_b32 s13, 0
	s_and_saveexec_b32 s40, s29
	s_xor_b32 s29, exec_lo, s40
	s_cbranch_execz .LBB2_2780
; %bb.2544:                             ;   in Loop: Header=BB2_2110 Depth=2
	v_cmp_eq_u16_sdwa s41, v17, v85 src0_sel:BYTE_0 src1_sel:DWORD
	s_mov_b32 s13, -1
	s_and_saveexec_b32 s40, s41
; %bb.2545:                             ;   in Loop: Header=BB2_2110 Depth=2
	s_xor_b32 s13, exec_lo, -1
; %bb.2546:                             ;   in Loop: Header=BB2_2110 Depth=2
	s_or_b32 exec_lo, exec_lo, s40
	s_and_b32 s13, s13, exec_lo
	s_or_saveexec_b32 s29, s29
	v_mov_b32_e32 v11, 0x7f800001
	s_xor_b32 exec_lo, exec_lo, s29
	s_cbranch_execnz .LBB2_2781
.LBB2_2547:                             ;   in Loop: Header=BB2_2110 Depth=2
	s_or_b32 exec_lo, exec_lo, s29
	s_and_saveexec_b32 s29, s13
	s_cbranch_execz .LBB2_2549
.LBB2_2548:                             ;   in Loop: Header=BB2_2110 Depth=2
	v_and_b32_e32 v11, 3, v17
	v_bfe_u32 v118, v17, 2, 5
	v_lshlrev_b32_e32 v119, 24, v17
	v_ffbh_u32_e32 v12, v11
	v_cmp_eq_u32_e32 vcc_lo, 0, v118
	v_min_u32_e32 v12, 32, v12
	v_subrev_nc_u32_e32 v117, 29, v12
	v_sub_nc_u32_e32 v12, 30, v12
	v_lshlrev_b32_e32 v117, v117, v17
	v_cndmask_b32_e32 v12, v118, v12, vcc_lo
	v_and_b32_e32 v117, 3, v117
	v_lshl_add_u32 v12, v12, 23, 0x37800000
	v_cndmask_b32_e32 v11, v11, v117, vcc_lo
	v_and_b32_e32 v117, 0x80000000, v119
	v_lshlrev_b32_e32 v11, 21, v11
	v_or3_b32 v11, v117, v12, v11
.LBB2_2549:                             ;   in Loop: Header=BB2_2110 Depth=2
	s_or_b32 exec_lo, exec_lo, s29
	v_cmp_gt_i16_sdwa s29, v13, v84 src0_sel:BYTE_0 src1_sel:DWORD
	s_mov_b32 s13, 0
	s_and_saveexec_b32 s40, s29
	s_xor_b32 s29, exec_lo, s40
	s_cbranch_execz .LBB2_2782
; %bb.2550:                             ;   in Loop: Header=BB2_2110 Depth=2
	v_cmp_eq_u16_sdwa s41, v13, v85 src0_sel:BYTE_0 src1_sel:DWORD
	s_mov_b32 s13, -1
	s_and_saveexec_b32 s40, s41
; %bb.2551:                             ;   in Loop: Header=BB2_2110 Depth=2
	s_xor_b32 s13, exec_lo, -1
; %bb.2552:                             ;   in Loop: Header=BB2_2110 Depth=2
	s_or_b32 exec_lo, exec_lo, s40
	s_and_b32 s13, s13, exec_lo
	s_or_saveexec_b32 s29, s29
	v_mov_b32_e32 v12, 0x7f800001
	s_xor_b32 exec_lo, exec_lo, s29
	s_cbranch_execnz .LBB2_2783
.LBB2_2553:                             ;   in Loop: Header=BB2_2110 Depth=2
	s_or_b32 exec_lo, exec_lo, s29
	s_and_saveexec_b32 s29, s13
.LBB2_2554:                             ;   in Loop: Header=BB2_2110 Depth=2
	v_mov_b32_e32 v12, v10
.LBB2_2555:                             ;   in Loop: Header=BB2_2110 Depth=2
	s_or_b32 exec_lo, exec_lo, s29
	v_max_f32_e32 v12, v12, v12
	v_max_f32_e32 v11, v11, v11
	s_mov_b32 s13, 0
	v_max_f32_e32 v11, v11, v12
.LBB2_2556:                             ;   in Loop: Header=BB2_2110 Depth=2
	s_and_b32 vcc_lo, exec_lo, s13
	s_cbranch_vccz .LBB2_2570
; %bb.2557:                             ;   in Loop: Header=BB2_2110 Depth=2
	v_cmp_gt_i16_sdwa s29, v17, v84 src0_sel:BYTE_0 src1_sel:DWORD
	s_mov_b32 s13, 0
	s_and_saveexec_b32 s40, s29
	s_xor_b32 s29, exec_lo, s40
	s_cbranch_execz .LBB2_2784
; %bb.2558:                             ;   in Loop: Header=BB2_2110 Depth=2
	v_cmp_eq_u16_sdwa s41, v17, v85 src0_sel:BYTE_0 src1_sel:DWORD
	s_mov_b32 s13, -1
	s_and_saveexec_b32 s40, s41
; %bb.2559:                             ;   in Loop: Header=BB2_2110 Depth=2
	s_xor_b32 s13, exec_lo, -1
; %bb.2560:                             ;   in Loop: Header=BB2_2110 Depth=2
	s_or_b32 exec_lo, exec_lo, s40
	s_and_b32 s13, s13, exec_lo
	s_or_saveexec_b32 s29, s29
	v_mov_b32_e32 v11, 0x7f800001
	s_xor_b32 exec_lo, exec_lo, s29
	s_cbranch_execnz .LBB2_2785
.LBB2_2561:                             ;   in Loop: Header=BB2_2110 Depth=2
	s_or_b32 exec_lo, exec_lo, s29
	s_and_saveexec_b32 s29, s13
	s_cbranch_execz .LBB2_2563
.LBB2_2562:                             ;   in Loop: Header=BB2_2110 Depth=2
	v_and_b32_e32 v11, 3, v17
	v_bfe_u32 v118, v17, 2, 5
	v_lshlrev_b32_e32 v119, 24, v17
	v_ffbh_u32_e32 v12, v11
	v_cmp_eq_u32_e32 vcc_lo, 0, v118
	v_min_u32_e32 v12, 32, v12
	v_subrev_nc_u32_e32 v117, 29, v12
	v_sub_nc_u32_e32 v12, 30, v12
	v_lshlrev_b32_e32 v117, v117, v17
	v_cndmask_b32_e32 v12, v118, v12, vcc_lo
	v_and_b32_e32 v117, 3, v117
	v_lshl_add_u32 v12, v12, 23, 0x37800000
	v_cndmask_b32_e32 v11, v11, v117, vcc_lo
	v_and_b32_e32 v117, 0x80000000, v119
	v_lshlrev_b32_e32 v11, 21, v11
	v_or3_b32 v11, v117, v12, v11
.LBB2_2563:                             ;   in Loop: Header=BB2_2110 Depth=2
	s_or_b32 exec_lo, exec_lo, s29
	v_cmp_gt_i16_sdwa s29, v13, v84 src0_sel:BYTE_0 src1_sel:DWORD
	s_mov_b32 s13, 0
	s_and_saveexec_b32 s40, s29
	s_xor_b32 s29, exec_lo, s40
	s_cbranch_execz .LBB2_2786
; %bb.2564:                             ;   in Loop: Header=BB2_2110 Depth=2
	v_cmp_eq_u16_sdwa s41, v13, v85 src0_sel:BYTE_0 src1_sel:DWORD
	s_mov_b32 s13, -1
	s_and_saveexec_b32 s40, s41
; %bb.2565:                             ;   in Loop: Header=BB2_2110 Depth=2
	s_xor_b32 s13, exec_lo, -1
; %bb.2566:                             ;   in Loop: Header=BB2_2110 Depth=2
	s_or_b32 exec_lo, exec_lo, s40
	s_and_b32 s13, s13, exec_lo
	s_or_saveexec_b32 s29, s29
	v_mov_b32_e32 v12, 0x7f800001
	s_xor_b32 exec_lo, exec_lo, s29
	s_cbranch_execnz .LBB2_2787
.LBB2_2567:                             ;   in Loop: Header=BB2_2110 Depth=2
	s_or_b32 exec_lo, exec_lo, s29
	s_and_saveexec_b32 s29, s13
.LBB2_2568:                             ;   in Loop: Header=BB2_2110 Depth=2
	v_mov_b32_e32 v12, v10
.LBB2_2569:                             ;   in Loop: Header=BB2_2110 Depth=2
	s_or_b32 exec_lo, exec_lo, s29
	v_max_f32_e32 v10, v12, v12
	v_max_f32_e32 v11, v11, v11
	v_min_f32_e32 v11, v11, v10
.LBB2_2570:                             ;   in Loop: Header=BB2_2110 Depth=2
	v_and_b32_e32 v10, 0x7f800000, v11
	v_mov_b32_e32 v117, 0x80
	s_mov_b32 s29, exec_lo
	v_cmpx_ne_u32_e32 0x7f800000, v10
	s_cbranch_execz .LBB2_2578
; %bb.2571:                             ;   in Loop: Header=BB2_2110 Depth=2
	v_mov_b32_e32 v117, 0
	s_mov_b32 s40, exec_lo
	v_cmpx_ne_u32_e32 0, v11
	s_cbranch_execz .LBB2_2577
; %bb.2572:                             ;   in Loop: Header=BB2_2110 Depth=2
	v_bfe_u32 v10, v11, 23, 8
	v_and_b32_e32 v12, 0x7fffff, v11
	v_sub_nc_u32_e32 v117, 0x70, v10
	v_cmp_gt_u32_e32 vcc_lo, 0x71, v10
	v_or_b32_e32 v118, 0x800000, v12
	v_cndmask_b32_e32 v117, 0, v117, vcc_lo
	v_cmp_eq_u32_e32 vcc_lo, 0, v10
	v_add_nc_u32_e32 v10, 0xffffff91, v10
	v_cndmask_b32_e64 v117, v117, 0x6f, vcc_lo
	v_cndmask_b32_e32 v12, v118, v12, vcc_lo
	v_cndmask_b32_e64 v10, v10, 0xffffff92, vcc_lo
	v_lshl_add_u32 v118, 0x200000, v117, -1
	v_lshrrev_b32_e32 v119, v117, v12
	v_lshlrev_b32_e64 v41, v117, 0x100000
	v_add_nc_u32_e32 v117, v117, v10
	v_and_b32_e32 v12, v118, v12
	v_bfe_u32 v40, v119, 21, 1
	v_cmp_eq_u32_e64 s13, v12, v41
	v_add_nc_u32_e32 v118, -1, v40
	v_cndmask_b32_e64 v12, 0, v118, s13
	v_lshrrev_b32_e32 v118, 23, v119
	s_mov_b32 s13, exec_lo
	v_add_nc_u32_e32 v12, v12, v119
	v_xor_b32_e32 v118, 1, v118
	v_and_b32_e32 v10, 0x1fffff, v12
	v_add_nc_u32_e32 v12, v10, v119
                                        ; implicit-def: $vgpr10
	v_cmpx_ne_u32_e64 v117, v118
	s_xor_b32 s13, exec_lo, s13
; %bb.2573:                             ;   in Loop: Header=BB2_2110 Depth=2
	v_cmp_lt_u32_e32 vcc_lo, 0xffffff, v12
	v_sub_nc_u32_e32 v10, v117, v118
	v_cndmask_b32_e64 v117, 0, 1, vcc_lo
	v_add_co_ci_u32_e64 v10, null, 0, v10, vcc_lo
	v_lshrrev_b32_e32 v12, v117, v12
; %bb.2574:                             ;   in Loop: Header=BB2_2110 Depth=2
	s_andn2_saveexec_b32 s13, s13
; %bb.2575:                             ;   in Loop: Header=BB2_2110 Depth=2
	v_bfe_u32 v10, v12, 23, 1
; %bb.2576:                             ;   in Loop: Header=BB2_2110 Depth=2
	s_or_b32 exec_lo, exec_lo, s13
	v_lshrrev_b32_e32 v12, 21, v12
	v_min_i32_e32 v117, 31, v10
	v_cmp_gt_i32_e32 vcc_lo, 32, v10
	v_and_b32_sdwa v11, v11, v85 dst_sel:DWORD dst_unused:UNUSED_PAD src0_sel:BYTE_3 src1_sel:DWORD
	v_lshlrev_b32_e32 v117, 2, v117
	v_cndmask_b32_e32 v12, 3, v12, vcc_lo
	v_and_b32_e32 v117, 0xfc, v117
	v_and_b32_e32 v118, 3, v12
	v_or_b32_e32 v10, v10, v12
	v_or3_b32 v11, v117, v11, v118
	v_cmp_ne_u32_e32 vcc_lo, 0, v10
	v_cndmask_b32_e32 v117, 0, v11, vcc_lo
.LBB2_2577:                             ;   in Loop: Header=BB2_2110 Depth=2
	s_or_b32 exec_lo, exec_lo, s40
.LBB2_2578:                             ;   in Loop: Header=BB2_2110 Depth=2
	s_or_b32 exec_lo, exec_lo, s29
	v_and_b32_sdwa v10, v86, v13 dst_sel:DWORD dst_unused:UNUSED_PAD src0_sel:DWORD src1_sel:BYTE_1
	v_cmp_gt_i16_sdwa s29, v17, v84 src0_sel:BYTE_1 src1_sel:DWORD
	s_mov_b32 s13, -1
	v_and_b32_e32 v11, 3, v10
	v_bfe_u32 v119, v10, 2, 5
	v_ffbh_u32_e32 v12, v11
	v_cmp_eq_u32_e32 vcc_lo, 0, v119
	v_min_u32_e32 v12, 32, v12
	v_subrev_nc_u32_e32 v118, 29, v12
	v_sub_nc_u32_e32 v12, 30, v12
	v_lshlrev_b32_e32 v10, v118, v10
	v_lshlrev_b32_sdwa v118, v87, v13 dst_sel:DWORD dst_unused:UNUSED_PAD src0_sel:DWORD src1_sel:BYTE_1
	v_cndmask_b32_e32 v12, v119, v12, vcc_lo
	v_and_b32_e32 v10, 3, v10
	v_lshl_add_u32 v12, v12, 23, 0x37800000
	v_cndmask_b32_e32 v10, v11, v10, vcc_lo
	v_and_b32_e32 v11, 0x80000000, v118
	s_and_b32 vcc_lo, exec_lo, s28
	v_lshlrev_b32_e32 v10, 21, v10
	v_or3_b32 v10, v11, v12, v10
                                        ; implicit-def: $vgpr11
	s_cbranch_vccz .LBB2_2592
; %bb.2579:                             ;   in Loop: Header=BB2_2110 Depth=2
	s_mov_b32 s13, 0
	s_and_saveexec_b32 s40, s29
	s_xor_b32 s29, exec_lo, s40
	s_cbranch_execz .LBB2_2788
; %bb.2580:                             ;   in Loop: Header=BB2_2110 Depth=2
	v_cmp_eq_u16_sdwa s41, v17, v85 src0_sel:BYTE_1 src1_sel:DWORD
	s_mov_b32 s13, -1
	s_and_saveexec_b32 s40, s41
; %bb.2581:                             ;   in Loop: Header=BB2_2110 Depth=2
	s_xor_b32 s13, exec_lo, -1
; %bb.2582:                             ;   in Loop: Header=BB2_2110 Depth=2
	s_or_b32 exec_lo, exec_lo, s40
	s_and_b32 s13, s13, exec_lo
	s_or_saveexec_b32 s29, s29
	v_mov_b32_e32 v11, 0x7f800001
	s_xor_b32 exec_lo, exec_lo, s29
	s_cbranch_execnz .LBB2_2789
.LBB2_2583:                             ;   in Loop: Header=BB2_2110 Depth=2
	s_or_b32 exec_lo, exec_lo, s29
	s_and_saveexec_b32 s29, s13
	s_cbranch_execz .LBB2_2585
.LBB2_2584:                             ;   in Loop: Header=BB2_2110 Depth=2
	v_and_b32_sdwa v11, v86, v17 dst_sel:DWORD dst_unused:UNUSED_PAD src0_sel:DWORD src1_sel:BYTE_1
	v_and_b32_e32 v12, 3, v11
	v_bfe_u32 v40, v11, 2, 5
	v_ffbh_u32_e32 v118, v12
	v_cmp_eq_u32_e32 vcc_lo, 0, v40
	v_min_u32_e32 v118, 32, v118
	v_subrev_nc_u32_e32 v119, 29, v118
	v_sub_nc_u32_e32 v118, 30, v118
	v_lshlrev_b32_e32 v11, v119, v11
	v_lshlrev_b32_e32 v119, 16, v17
	v_cndmask_b32_e32 v118, v40, v118, vcc_lo
	v_and_b32_e32 v11, 3, v11
	v_lshl_add_u32 v118, v118, 23, 0x37800000
	v_cndmask_b32_e32 v11, v12, v11, vcc_lo
	v_and_b32_e32 v12, 0x80000000, v119
	v_lshlrev_b32_e32 v11, 21, v11
	v_or3_b32 v11, v12, v118, v11
.LBB2_2585:                             ;   in Loop: Header=BB2_2110 Depth=2
	s_or_b32 exec_lo, exec_lo, s29
	v_cmp_gt_i16_sdwa s29, v13, v84 src0_sel:BYTE_1 src1_sel:DWORD
	s_mov_b32 s13, 0
	s_and_saveexec_b32 s40, s29
	s_xor_b32 s29, exec_lo, s40
	s_cbranch_execz .LBB2_2790
; %bb.2586:                             ;   in Loop: Header=BB2_2110 Depth=2
	v_cmp_eq_u16_sdwa s41, v13, v85 src0_sel:BYTE_1 src1_sel:DWORD
	s_mov_b32 s13, -1
	s_and_saveexec_b32 s40, s41
; %bb.2587:                             ;   in Loop: Header=BB2_2110 Depth=2
	s_xor_b32 s13, exec_lo, -1
; %bb.2588:                             ;   in Loop: Header=BB2_2110 Depth=2
	s_or_b32 exec_lo, exec_lo, s40
	s_and_b32 s13, s13, exec_lo
	s_or_saveexec_b32 s29, s29
	v_mov_b32_e32 v12, 0x7f800001
	s_xor_b32 exec_lo, exec_lo, s29
	s_cbranch_execnz .LBB2_2791
.LBB2_2589:                             ;   in Loop: Header=BB2_2110 Depth=2
	s_or_b32 exec_lo, exec_lo, s29
	s_and_saveexec_b32 s29, s13
.LBB2_2590:                             ;   in Loop: Header=BB2_2110 Depth=2
	v_mov_b32_e32 v12, v10
.LBB2_2591:                             ;   in Loop: Header=BB2_2110 Depth=2
	s_or_b32 exec_lo, exec_lo, s29
	v_max_f32_e32 v12, v12, v12
	v_max_f32_e32 v11, v11, v11
	s_mov_b32 s13, 0
	v_max_f32_e32 v11, v11, v12
.LBB2_2592:                             ;   in Loop: Header=BB2_2110 Depth=2
	s_and_b32 vcc_lo, exec_lo, s13
	s_cbranch_vccz .LBB2_2606
; %bb.2593:                             ;   in Loop: Header=BB2_2110 Depth=2
	v_cmp_gt_i16_sdwa s29, v17, v84 src0_sel:BYTE_1 src1_sel:DWORD
	s_mov_b32 s13, 0
	s_and_saveexec_b32 s40, s29
	s_xor_b32 s29, exec_lo, s40
	s_cbranch_execz .LBB2_2792
; %bb.2594:                             ;   in Loop: Header=BB2_2110 Depth=2
	v_cmp_eq_u16_sdwa s41, v17, v85 src0_sel:BYTE_1 src1_sel:DWORD
	s_mov_b32 s13, -1
	s_and_saveexec_b32 s40, s41
; %bb.2595:                             ;   in Loop: Header=BB2_2110 Depth=2
	s_xor_b32 s13, exec_lo, -1
; %bb.2596:                             ;   in Loop: Header=BB2_2110 Depth=2
	s_or_b32 exec_lo, exec_lo, s40
	s_and_b32 s13, s13, exec_lo
	s_or_saveexec_b32 s29, s29
	v_mov_b32_e32 v11, 0x7f800001
	s_xor_b32 exec_lo, exec_lo, s29
	s_cbranch_execnz .LBB2_2793
.LBB2_2597:                             ;   in Loop: Header=BB2_2110 Depth=2
	s_or_b32 exec_lo, exec_lo, s29
	s_and_saveexec_b32 s29, s13
	s_cbranch_execz .LBB2_2599
.LBB2_2598:                             ;   in Loop: Header=BB2_2110 Depth=2
	v_and_b32_sdwa v11, v86, v17 dst_sel:DWORD dst_unused:UNUSED_PAD src0_sel:DWORD src1_sel:BYTE_1
	v_and_b32_e32 v12, 3, v11
	v_bfe_u32 v40, v11, 2, 5
	v_ffbh_u32_e32 v118, v12
	v_cmp_eq_u32_e32 vcc_lo, 0, v40
	v_min_u32_e32 v118, 32, v118
	v_subrev_nc_u32_e32 v119, 29, v118
	v_sub_nc_u32_e32 v118, 30, v118
	v_lshlrev_b32_e32 v11, v119, v11
	v_lshlrev_b32_e32 v119, 16, v17
	v_cndmask_b32_e32 v118, v40, v118, vcc_lo
	v_and_b32_e32 v11, 3, v11
	v_lshl_add_u32 v118, v118, 23, 0x37800000
	v_cndmask_b32_e32 v11, v12, v11, vcc_lo
	v_and_b32_e32 v12, 0x80000000, v119
	v_lshlrev_b32_e32 v11, 21, v11
	v_or3_b32 v11, v12, v118, v11
.LBB2_2599:                             ;   in Loop: Header=BB2_2110 Depth=2
	s_or_b32 exec_lo, exec_lo, s29
	v_cmp_gt_i16_sdwa s29, v13, v84 src0_sel:BYTE_1 src1_sel:DWORD
	s_mov_b32 s13, 0
	s_and_saveexec_b32 s40, s29
	s_xor_b32 s29, exec_lo, s40
	s_cbranch_execz .LBB2_2794
; %bb.2600:                             ;   in Loop: Header=BB2_2110 Depth=2
	v_cmp_eq_u16_sdwa s41, v13, v85 src0_sel:BYTE_1 src1_sel:DWORD
	s_mov_b32 s13, -1
	s_and_saveexec_b32 s40, s41
; %bb.2601:                             ;   in Loop: Header=BB2_2110 Depth=2
	s_xor_b32 s13, exec_lo, -1
; %bb.2602:                             ;   in Loop: Header=BB2_2110 Depth=2
	s_or_b32 exec_lo, exec_lo, s40
	s_and_b32 s13, s13, exec_lo
	s_or_saveexec_b32 s29, s29
	v_mov_b32_e32 v12, 0x7f800001
	s_xor_b32 exec_lo, exec_lo, s29
	s_cbranch_execnz .LBB2_2795
.LBB2_2603:                             ;   in Loop: Header=BB2_2110 Depth=2
	s_or_b32 exec_lo, exec_lo, s29
	s_and_saveexec_b32 s29, s13
.LBB2_2604:                             ;   in Loop: Header=BB2_2110 Depth=2
	v_mov_b32_e32 v12, v10
.LBB2_2605:                             ;   in Loop: Header=BB2_2110 Depth=2
	s_or_b32 exec_lo, exec_lo, s29
	v_max_f32_e32 v10, v12, v12
	v_max_f32_e32 v11, v11, v11
	v_min_f32_e32 v11, v11, v10
.LBB2_2606:                             ;   in Loop: Header=BB2_2110 Depth=2
	v_and_b32_e32 v10, 0x7f800000, v11
	v_mov_b32_e32 v118, 0x8000
	s_mov_b32 s29, exec_lo
	v_cmpx_ne_u32_e32 0x7f800000, v10
	s_cbranch_execz .LBB2_2614
; %bb.2607:                             ;   in Loop: Header=BB2_2110 Depth=2
	v_mov_b32_e32 v118, 0
	s_mov_b32 s40, exec_lo
	v_cmpx_ne_u32_e32 0, v11
	s_cbranch_execz .LBB2_2613
; %bb.2608:                             ;   in Loop: Header=BB2_2110 Depth=2
	v_bfe_u32 v10, v11, 23, 8
	v_and_b32_e32 v12, 0x7fffff, v11
	v_sub_nc_u32_e32 v118, 0x70, v10
	v_cmp_gt_u32_e32 vcc_lo, 0x71, v10
	v_or_b32_e32 v119, 0x800000, v12
	v_cndmask_b32_e32 v118, 0, v118, vcc_lo
	v_cmp_eq_u32_e32 vcc_lo, 0, v10
	v_add_nc_u32_e32 v10, 0xffffff91, v10
	v_cndmask_b32_e64 v118, v118, 0x6f, vcc_lo
	v_cndmask_b32_e32 v12, v119, v12, vcc_lo
	v_cndmask_b32_e64 v10, v10, 0xffffff92, vcc_lo
	v_lshl_add_u32 v119, 0x200000, v118, -1
	v_lshrrev_b32_e32 v40, v118, v12
	v_lshlrev_b32_e64 v42, v118, 0x100000
	v_add_nc_u32_e32 v118, v118, v10
	v_and_b32_e32 v12, v119, v12
	v_bfe_u32 v41, v40, 21, 1
	v_cmp_eq_u32_e64 s13, v12, v42
	v_add_nc_u32_e32 v119, -1, v41
	v_cndmask_b32_e64 v12, 0, v119, s13
	v_lshrrev_b32_e32 v119, 23, v40
	s_mov_b32 s13, exec_lo
	v_add_nc_u32_e32 v12, v12, v40
	v_xor_b32_e32 v119, 1, v119
	v_and_b32_e32 v10, 0x1fffff, v12
	v_add_nc_u32_e32 v12, v10, v40
                                        ; implicit-def: $vgpr10
	v_cmpx_ne_u32_e64 v118, v119
	s_xor_b32 s13, exec_lo, s13
; %bb.2609:                             ;   in Loop: Header=BB2_2110 Depth=2
	v_cmp_lt_u32_e32 vcc_lo, 0xffffff, v12
	v_sub_nc_u32_e32 v10, v118, v119
	v_cndmask_b32_e64 v118, 0, 1, vcc_lo
	v_add_co_ci_u32_e64 v10, null, 0, v10, vcc_lo
	v_lshrrev_b32_e32 v12, v118, v12
; %bb.2610:                             ;   in Loop: Header=BB2_2110 Depth=2
	s_andn2_saveexec_b32 s13, s13
; %bb.2611:                             ;   in Loop: Header=BB2_2110 Depth=2
	v_bfe_u32 v10, v12, 23, 1
; %bb.2612:                             ;   in Loop: Header=BB2_2110 Depth=2
	s_or_b32 exec_lo, exec_lo, s13
	v_lshrrev_b32_e32 v12, 21, v12
	v_min_i32_e32 v118, 31, v10
	v_cmp_gt_i32_e32 vcc_lo, 32, v10
	v_and_b32_sdwa v11, v11, v85 dst_sel:DWORD dst_unused:UNUSED_PAD src0_sel:BYTE_3 src1_sel:DWORD
	v_lshlrev_b32_e32 v118, 2, v118
	v_cndmask_b32_e32 v12, 3, v12, vcc_lo
	v_and_b32_e32 v118, 0xfc, v118
	v_and_b32_e32 v119, 3, v12
	v_or_b32_e32 v10, v10, v12
	v_or3_b32 v11, v11, v118, v119
	v_cmp_ne_u32_e32 vcc_lo, 0, v10
	v_lshlrev_b32_e32 v11, 8, v11
	v_cndmask_b32_e32 v118, 0, v11, vcc_lo
.LBB2_2613:                             ;   in Loop: Header=BB2_2110 Depth=2
	s_or_b32 exec_lo, exec_lo, s40
.LBB2_2614:                             ;   in Loop: Header=BB2_2110 Depth=2
	s_or_b32 exec_lo, exec_lo, s29
	v_bfe_u32 v10, v13, 16, 2
	v_bfe_u32 v119, v13, 18, 5
	v_lshlrev_b32_e32 v40, 8, v13
	s_mov_b32 s29, -1
	v_ffbh_u32_e32 v11, v10
	v_cmp_eq_u32_e32 vcc_lo, 0, v119
	v_min_u32_e32 v11, 32, v11
	v_subrev_nc_u32_e32 v12, 29, v11
	v_sub_nc_u32_e32 v11, 30, v11
	v_lshlrev_b32_sdwa v12, v12, v13 dst_sel:DWORD dst_unused:UNUSED_PAD src0_sel:DWORD src1_sel:WORD_1
	v_cndmask_b32_e32 v11, v119, v11, vcc_lo
	v_and_b32_e32 v12, 3, v12
	v_lshl_add_u32 v119, v11, 23, 0x37800000
	v_and_b32_sdwa v11, v17, v96 dst_sel:DWORD dst_unused:UNUSED_PAD src0_sel:WORD_1 src1_sel:DWORD
	v_cndmask_b32_e32 v10, v10, v12, vcc_lo
	v_and_b32_e32 v12, 0x80000000, v40
	v_cmp_lt_i16_e64 s13, 0x7f, v11
	s_and_b32 vcc_lo, exec_lo, s28
	v_lshlrev_b32_e32 v10, 21, v10
	v_or3_b32 v10, v12, v119, v10
                                        ; implicit-def: $vgpr12
	s_cbranch_vccz .LBB2_2628
; %bb.2615:                             ;   in Loop: Header=BB2_2110 Depth=2
	s_mov_b32 s29, 0
	s_and_saveexec_b32 s40, s13
	s_xor_b32 s13, exec_lo, s40
	s_cbranch_execz .LBB2_2796
; %bb.2616:                             ;   in Loop: Header=BB2_2110 Depth=2
	s_mov_b32 s29, -1
	s_mov_b32 s40, exec_lo
	v_cmpx_eq_u16_e32 0x80, v11
; %bb.2617:                             ;   in Loop: Header=BB2_2110 Depth=2
	s_xor_b32 s29, exec_lo, -1
; %bb.2618:                             ;   in Loop: Header=BB2_2110 Depth=2
	s_or_b32 exec_lo, exec_lo, s40
	s_and_b32 s29, s29, exec_lo
	s_or_saveexec_b32 s13, s13
	v_mov_b32_e32 v12, 0x7f800001
	s_xor_b32 exec_lo, exec_lo, s13
	s_cbranch_execnz .LBB2_2797
.LBB2_2619:                             ;   in Loop: Header=BB2_2110 Depth=2
	s_or_b32 exec_lo, exec_lo, s13
	s_and_saveexec_b32 s13, s29
	s_cbranch_execz .LBB2_2621
.LBB2_2620:                             ;   in Loop: Header=BB2_2110 Depth=2
	v_bfe_u32 v12, v17, 16, 2
	v_bfe_u32 v41, v17, 18, 5
	v_lshlrev_b32_sdwa v42, v87, v17 dst_sel:DWORD dst_unused:UNUSED_PAD src0_sel:DWORD src1_sel:WORD_1
	v_ffbh_u32_e32 v119, v12
	v_cmp_eq_u32_e32 vcc_lo, 0, v41
	v_min_u32_e32 v119, 32, v119
	v_subrev_nc_u32_e32 v40, 29, v119
	v_sub_nc_u32_e32 v119, 30, v119
	v_lshlrev_b32_sdwa v40, v40, v17 dst_sel:DWORD dst_unused:UNUSED_PAD src0_sel:DWORD src1_sel:WORD_1
	v_cndmask_b32_e32 v119, v41, v119, vcc_lo
	v_and_b32_e32 v40, 3, v40
	v_lshl_add_u32 v119, v119, 23, 0x37800000
	v_cndmask_b32_e32 v12, v12, v40, vcc_lo
	v_and_b32_e32 v40, 0x80000000, v42
	v_lshlrev_b32_e32 v12, 21, v12
	v_or3_b32 v12, v40, v119, v12
.LBB2_2621:                             ;   in Loop: Header=BB2_2110 Depth=2
	s_or_b32 exec_lo, exec_lo, s13
	v_and_b32_sdwa v40, v13, v96 dst_sel:DWORD dst_unused:UNUSED_PAD src0_sel:WORD_1 src1_sel:DWORD
	s_mov_b32 s13, 0
	s_mov_b32 s29, exec_lo
	v_cmpx_lt_i16_e32 0x7f, v40
	s_xor_b32 s29, exec_lo, s29
	s_cbranch_execz .LBB2_2798
; %bb.2622:                             ;   in Loop: Header=BB2_2110 Depth=2
	s_mov_b32 s13, -1
	s_mov_b32 s40, exec_lo
	v_cmpx_eq_u16_e32 0x80, v40
; %bb.2623:                             ;   in Loop: Header=BB2_2110 Depth=2
	s_xor_b32 s13, exec_lo, -1
; %bb.2624:                             ;   in Loop: Header=BB2_2110 Depth=2
	s_or_b32 exec_lo, exec_lo, s40
	s_and_b32 s13, s13, exec_lo
                                        ; implicit-def: $vgpr40
	s_or_saveexec_b32 s29, s29
	v_mov_b32_e32 v119, 0x7f800001
	s_xor_b32 exec_lo, exec_lo, s29
	s_cbranch_execnz .LBB2_2799
.LBB2_2625:                             ;   in Loop: Header=BB2_2110 Depth=2
	s_or_b32 exec_lo, exec_lo, s29
	s_and_saveexec_b32 s29, s13
.LBB2_2626:                             ;   in Loop: Header=BB2_2110 Depth=2
	v_mov_b32_e32 v119, v10
.LBB2_2627:                             ;   in Loop: Header=BB2_2110 Depth=2
	s_or_b32 exec_lo, exec_lo, s29
	v_max_f32_e32 v119, v119, v119
	v_max_f32_e32 v12, v12, v12
	s_mov_b32 s29, 0
	v_max_f32_e32 v12, v12, v119
.LBB2_2628:                             ;   in Loop: Header=BB2_2110 Depth=2
	s_and_b32 vcc_lo, exec_lo, s29
	s_cbranch_vccz .LBB2_2642
; %bb.2629:                             ;   in Loop: Header=BB2_2110 Depth=2
	s_mov_b32 s13, 0
	s_mov_b32 s29, exec_lo
	v_cmpx_lt_i16_e32 0x7f, v11
	s_xor_b32 s29, exec_lo, s29
	s_cbranch_execz .LBB2_2800
; %bb.2630:                             ;   in Loop: Header=BB2_2110 Depth=2
	s_mov_b32 s13, -1
	s_mov_b32 s40, exec_lo
	v_cmpx_eq_u16_e32 0x80, v11
; %bb.2631:                             ;   in Loop: Header=BB2_2110 Depth=2
	s_xor_b32 s13, exec_lo, -1
; %bb.2632:                             ;   in Loop: Header=BB2_2110 Depth=2
	s_or_b32 exec_lo, exec_lo, s40
	s_and_b32 s13, s13, exec_lo
                                        ; implicit-def: $vgpr11
	s_or_saveexec_b32 s29, s29
	v_mov_b32_e32 v12, 0x7f800001
	s_xor_b32 exec_lo, exec_lo, s29
	s_cbranch_execnz .LBB2_2801
.LBB2_2633:                             ;   in Loop: Header=BB2_2110 Depth=2
	s_or_b32 exec_lo, exec_lo, s29
	s_and_saveexec_b32 s29, s13
	s_cbranch_execz .LBB2_2635
.LBB2_2634:                             ;   in Loop: Header=BB2_2110 Depth=2
	v_bfe_u32 v11, v17, 16, 2
	v_bfe_u32 v40, v17, 18, 5
	v_lshlrev_b32_sdwa v41, v87, v17 dst_sel:DWORD dst_unused:UNUSED_PAD src0_sel:DWORD src1_sel:WORD_1
	v_ffbh_u32_e32 v12, v11
	v_cmp_eq_u32_e32 vcc_lo, 0, v40
	v_min_u32_e32 v12, 32, v12
	v_subrev_nc_u32_e32 v119, 29, v12
	v_sub_nc_u32_e32 v12, 30, v12
	v_lshlrev_b32_sdwa v119, v119, v17 dst_sel:DWORD dst_unused:UNUSED_PAD src0_sel:DWORD src1_sel:WORD_1
	v_cndmask_b32_e32 v12, v40, v12, vcc_lo
	v_and_b32_e32 v119, 3, v119
	v_lshl_add_u32 v12, v12, 23, 0x37800000
	v_cndmask_b32_e32 v11, v11, v119, vcc_lo
	v_and_b32_e32 v119, 0x80000000, v41
	v_lshlrev_b32_e32 v11, 21, v11
	v_or3_b32 v12, v119, v12, v11
.LBB2_2635:                             ;   in Loop: Header=BB2_2110 Depth=2
	s_or_b32 exec_lo, exec_lo, s29
	v_and_b32_sdwa v119, v13, v96 dst_sel:DWORD dst_unused:UNUSED_PAD src0_sel:WORD_1 src1_sel:DWORD
	s_mov_b32 s13, 0
	s_mov_b32 s29, exec_lo
	v_cmpx_lt_i16_e32 0x7f, v119
	s_xor_b32 s29, exec_lo, s29
	s_cbranch_execz .LBB2_2802
; %bb.2636:                             ;   in Loop: Header=BB2_2110 Depth=2
	s_mov_b32 s13, -1
	s_mov_b32 s40, exec_lo
	v_cmpx_eq_u16_e32 0x80, v119
; %bb.2637:                             ;   in Loop: Header=BB2_2110 Depth=2
	s_xor_b32 s13, exec_lo, -1
; %bb.2638:                             ;   in Loop: Header=BB2_2110 Depth=2
	s_or_b32 exec_lo, exec_lo, s40
	s_and_b32 s13, s13, exec_lo
                                        ; implicit-def: $vgpr119
	s_or_saveexec_b32 s29, s29
	v_mov_b32_e32 v11, 0x7f800001
	s_xor_b32 exec_lo, exec_lo, s29
	s_cbranch_execnz .LBB2_2803
.LBB2_2639:                             ;   in Loop: Header=BB2_2110 Depth=2
	s_or_b32 exec_lo, exec_lo, s29
	s_and_saveexec_b32 s29, s13
.LBB2_2640:                             ;   in Loop: Header=BB2_2110 Depth=2
	v_mov_b32_e32 v11, v10
.LBB2_2641:                             ;   in Loop: Header=BB2_2110 Depth=2
	s_or_b32 exec_lo, exec_lo, s29
	v_max_f32_e32 v10, v11, v11
	v_max_f32_e32 v11, v12, v12
	v_min_f32_e32 v12, v11, v10
.LBB2_2642:                             ;   in Loop: Header=BB2_2110 Depth=2
	v_and_b32_e32 v10, 0x7f800000, v12
	v_mov_b32_e32 v119, 0x80
	s_mov_b32 s29, exec_lo
	v_cmpx_ne_u32_e32 0x7f800000, v10
	s_cbranch_execz .LBB2_2650
; %bb.2643:                             ;   in Loop: Header=BB2_2110 Depth=2
	v_mov_b32_e32 v119, 0
	s_mov_b32 s40, exec_lo
	v_cmpx_ne_u32_e32 0, v12
	s_cbranch_execz .LBB2_2649
; %bb.2644:                             ;   in Loop: Header=BB2_2110 Depth=2
	v_bfe_u32 v10, v12, 23, 8
	v_and_b32_e32 v11, 0x7fffff, v12
	v_sub_nc_u32_e32 v119, 0x70, v10
	v_cmp_gt_u32_e32 vcc_lo, 0x71, v10
	v_or_b32_e32 v40, 0x800000, v11
	v_cndmask_b32_e32 v119, 0, v119, vcc_lo
	v_cmp_eq_u32_e32 vcc_lo, 0, v10
	v_add_nc_u32_e32 v10, 0xffffff91, v10
	v_cndmask_b32_e64 v119, v119, 0x6f, vcc_lo
	v_cndmask_b32_e32 v11, v40, v11, vcc_lo
	v_cndmask_b32_e64 v10, v10, 0xffffff92, vcc_lo
	v_lshl_add_u32 v40, 0x200000, v119, -1
	v_lshrrev_b32_e32 v41, v119, v11
	v_lshlrev_b32_e64 v43, v119, 0x100000
	v_add_nc_u32_e32 v119, v119, v10
	v_and_b32_e32 v11, v40, v11
	v_bfe_u32 v42, v41, 21, 1
	v_cmp_eq_u32_e64 s13, v11, v43
	v_add_nc_u32_e32 v40, -1, v42
	v_cndmask_b32_e64 v11, 0, v40, s13
	v_lshrrev_b32_e32 v40, 23, v41
	s_mov_b32 s13, exec_lo
	v_add_nc_u32_e32 v11, v11, v41
	v_xor_b32_e32 v40, 1, v40
	v_and_b32_e32 v10, 0x1fffff, v11
	v_add_nc_u32_e32 v11, v10, v41
                                        ; implicit-def: $vgpr10
	v_cmpx_ne_u32_e64 v119, v40
	s_xor_b32 s13, exec_lo, s13
; %bb.2645:                             ;   in Loop: Header=BB2_2110 Depth=2
	v_cmp_lt_u32_e32 vcc_lo, 0xffffff, v11
	v_sub_nc_u32_e32 v10, v119, v40
	v_cndmask_b32_e64 v119, 0, 1, vcc_lo
	v_add_co_ci_u32_e64 v10, null, 0, v10, vcc_lo
	v_lshrrev_b32_e32 v11, v119, v11
; %bb.2646:                             ;   in Loop: Header=BB2_2110 Depth=2
	s_andn2_saveexec_b32 s13, s13
; %bb.2647:                             ;   in Loop: Header=BB2_2110 Depth=2
	v_bfe_u32 v10, v11, 23, 1
; %bb.2648:                             ;   in Loop: Header=BB2_2110 Depth=2
	s_or_b32 exec_lo, exec_lo, s13
	v_lshrrev_b32_e32 v11, 21, v11
	v_min_i32_e32 v119, 31, v10
	v_cmp_gt_i32_e32 vcc_lo, 32, v10
	v_and_b32_sdwa v12, v12, v85 dst_sel:DWORD dst_unused:UNUSED_PAD src0_sel:BYTE_3 src1_sel:DWORD
	v_lshlrev_b32_e32 v119, 2, v119
	v_cndmask_b32_e32 v11, 3, v11, vcc_lo
	v_and_b32_e32 v119, 0xfc, v119
	v_and_b32_e32 v40, 3, v11
	v_or_b32_e32 v10, v10, v11
	v_or3_b32 v11, v119, v12, v40
	v_cmp_ne_u32_e32 vcc_lo, 0, v10
	v_cndmask_b32_e32 v119, 0, v11, vcc_lo
.LBB2_2649:                             ;   in Loop: Header=BB2_2110 Depth=2
	s_or_b32 exec_lo, exec_lo, s40
.LBB2_2650:                             ;   in Loop: Header=BB2_2110 Depth=2
	s_or_b32 exec_lo, exec_lo, s29
	v_bfe_u32 v10, v13, 24, 2
	v_bfe_u32 v40, v13, 26, 5
	v_cmp_gt_i16_sdwa s29, v17, v84 src0_sel:BYTE_3 src1_sel:DWORD
	s_mov_b32 s13, -1
	v_ffbh_u32_e32 v11, v10
	v_cmp_eq_u32_e32 vcc_lo, 0, v40
	v_min_u32_e32 v11, 32, v11
	v_subrev_nc_u32_e32 v12, 29, v11
	v_sub_nc_u32_e32 v11, 30, v11
	v_lshlrev_b32_sdwa v12, v12, v13 dst_sel:DWORD dst_unused:UNUSED_PAD src0_sel:DWORD src1_sel:BYTE_3
	v_cndmask_b32_e32 v11, v40, v11, vcc_lo
	v_and_b32_e32 v12, 3, v12
	v_lshl_add_u32 v11, v11, 23, 0x37800000
	v_cndmask_b32_e32 v10, v10, v12, vcc_lo
	v_and_b32_e32 v12, 0x80000000, v13
	s_and_b32 vcc_lo, exec_lo, s28
	v_lshlrev_b32_e32 v10, 21, v10
	v_or3_b32 v40, v12, v11, v10
                                        ; implicit-def: $vgpr10
	s_cbranch_vccz .LBB2_2664
; %bb.2651:                             ;   in Loop: Header=BB2_2110 Depth=2
	s_mov_b32 s13, 0
	s_and_saveexec_b32 s40, s29
	s_xor_b32 s29, exec_lo, s40
	s_cbranch_execz .LBB2_2804
; %bb.2652:                             ;   in Loop: Header=BB2_2110 Depth=2
	v_cmp_eq_u16_sdwa s41, v17, v85 src0_sel:BYTE_3 src1_sel:DWORD
	s_mov_b32 s13, -1
	s_and_saveexec_b32 s40, s41
; %bb.2653:                             ;   in Loop: Header=BB2_2110 Depth=2
	s_xor_b32 s13, exec_lo, -1
; %bb.2654:                             ;   in Loop: Header=BB2_2110 Depth=2
	s_or_b32 exec_lo, exec_lo, s40
	s_and_b32 s13, s13, exec_lo
	s_or_saveexec_b32 s29, s29
	v_mov_b32_e32 v10, 0x7f800001
	s_xor_b32 exec_lo, exec_lo, s29
	s_cbranch_execnz .LBB2_2805
.LBB2_2655:                             ;   in Loop: Header=BB2_2110 Depth=2
	s_or_b32 exec_lo, exec_lo, s29
	s_and_saveexec_b32 s29, s13
	s_cbranch_execz .LBB2_2657
.LBB2_2656:                             ;   in Loop: Header=BB2_2110 Depth=2
	v_bfe_u32 v10, v17, 24, 2
	v_bfe_u32 v41, v17, 26, 5
	v_ffbh_u32_e32 v11, v10
	v_cmp_eq_u32_e32 vcc_lo, 0, v41
	v_min_u32_e32 v11, 32, v11
	v_subrev_nc_u32_e32 v12, 29, v11
	v_sub_nc_u32_e32 v11, 30, v11
	v_lshlrev_b32_sdwa v12, v12, v17 dst_sel:DWORD dst_unused:UNUSED_PAD src0_sel:DWORD src1_sel:BYTE_3
	v_cndmask_b32_e32 v11, v41, v11, vcc_lo
	v_and_b32_e32 v12, 3, v12
	v_lshl_add_u32 v11, v11, 23, 0x37800000
	v_cndmask_b32_e32 v10, v10, v12, vcc_lo
	v_and_b32_e32 v12, 0x80000000, v17
	v_lshlrev_b32_e32 v10, 21, v10
	v_or3_b32 v10, v12, v11, v10
.LBB2_2657:                             ;   in Loop: Header=BB2_2110 Depth=2
	s_or_b32 exec_lo, exec_lo, s29
	v_cmp_gt_i16_sdwa s29, v13, v84 src0_sel:BYTE_3 src1_sel:DWORD
	s_mov_b32 s13, 0
	s_and_saveexec_b32 s40, s29
	s_xor_b32 s29, exec_lo, s40
	s_cbranch_execz .LBB2_2806
; %bb.2658:                             ;   in Loop: Header=BB2_2110 Depth=2
	v_cmp_eq_u16_sdwa s41, v13, v85 src0_sel:BYTE_3 src1_sel:DWORD
	s_mov_b32 s13, -1
	s_and_saveexec_b32 s40, s41
; %bb.2659:                             ;   in Loop: Header=BB2_2110 Depth=2
	s_xor_b32 s13, exec_lo, -1
; %bb.2660:                             ;   in Loop: Header=BB2_2110 Depth=2
	s_or_b32 exec_lo, exec_lo, s40
	s_and_b32 s13, s13, exec_lo
	s_or_saveexec_b32 s29, s29
	v_mov_b32_e32 v11, 0x7f800001
	s_xor_b32 exec_lo, exec_lo, s29
	s_cbranch_execnz .LBB2_2807
.LBB2_2661:                             ;   in Loop: Header=BB2_2110 Depth=2
	s_or_b32 exec_lo, exec_lo, s29
	s_and_saveexec_b32 s29, s13
.LBB2_2662:                             ;   in Loop: Header=BB2_2110 Depth=2
	v_mov_b32_e32 v11, v40
.LBB2_2663:                             ;   in Loop: Header=BB2_2110 Depth=2
	s_or_b32 exec_lo, exec_lo, s29
	v_max_f32_e32 v11, v11, v11
	v_max_f32_e32 v10, v10, v10
	s_mov_b32 s13, 0
	v_max_f32_e32 v10, v10, v11
.LBB2_2664:                             ;   in Loop: Header=BB2_2110 Depth=2
	s_and_b32 vcc_lo, exec_lo, s13
	s_cbranch_vccz .LBB2_2678
; %bb.2665:                             ;   in Loop: Header=BB2_2110 Depth=2
	v_cmp_gt_i16_sdwa s29, v17, v84 src0_sel:BYTE_3 src1_sel:DWORD
	s_mov_b32 s13, 0
	s_and_saveexec_b32 s40, s29
	s_xor_b32 s29, exec_lo, s40
	s_cbranch_execz .LBB2_2808
; %bb.2666:                             ;   in Loop: Header=BB2_2110 Depth=2
	v_cmp_eq_u16_sdwa s41, v17, v85 src0_sel:BYTE_3 src1_sel:DWORD
	s_mov_b32 s13, -1
	s_and_saveexec_b32 s40, s41
; %bb.2667:                             ;   in Loop: Header=BB2_2110 Depth=2
	s_xor_b32 s13, exec_lo, -1
; %bb.2668:                             ;   in Loop: Header=BB2_2110 Depth=2
	s_or_b32 exec_lo, exec_lo, s40
	s_and_b32 s13, s13, exec_lo
	s_or_saveexec_b32 s29, s29
	v_mov_b32_e32 v41, 0x7f800001
	s_xor_b32 exec_lo, exec_lo, s29
	s_cbranch_execnz .LBB2_2809
.LBB2_2669:                             ;   in Loop: Header=BB2_2110 Depth=2
	s_or_b32 exec_lo, exec_lo, s29
	s_and_saveexec_b32 s29, s13
	s_cbranch_execz .LBB2_2671
.LBB2_2670:                             ;   in Loop: Header=BB2_2110 Depth=2
	v_bfe_u32 v10, v17, 24, 2
	v_bfe_u32 v41, v17, 26, 5
	v_ffbh_u32_e32 v11, v10
	v_cmp_eq_u32_e32 vcc_lo, 0, v41
	v_min_u32_e32 v11, 32, v11
	v_subrev_nc_u32_e32 v12, 29, v11
	v_sub_nc_u32_e32 v11, 30, v11
	v_lshlrev_b32_sdwa v12, v12, v17 dst_sel:DWORD dst_unused:UNUSED_PAD src0_sel:DWORD src1_sel:BYTE_3
	v_cndmask_b32_e32 v11, v41, v11, vcc_lo
	v_and_b32_e32 v12, 3, v12
	v_lshl_add_u32 v11, v11, 23, 0x37800000
	v_cndmask_b32_e32 v10, v10, v12, vcc_lo
	v_and_b32_e32 v12, 0x80000000, v17
	v_lshlrev_b32_e32 v10, 21, v10
	v_or3_b32 v41, v12, v11, v10
.LBB2_2671:                             ;   in Loop: Header=BB2_2110 Depth=2
	s_or_b32 exec_lo, exec_lo, s29
	v_cmp_gt_i16_sdwa s29, v13, v84 src0_sel:BYTE_3 src1_sel:DWORD
	s_mov_b32 s13, 0
	s_and_saveexec_b32 s40, s29
	s_xor_b32 s29, exec_lo, s40
	s_cbranch_execz .LBB2_2810
; %bb.2672:                             ;   in Loop: Header=BB2_2110 Depth=2
	v_cmp_eq_u16_sdwa s41, v13, v85 src0_sel:BYTE_3 src1_sel:DWORD
	s_mov_b32 s13, -1
	s_and_saveexec_b32 s40, s41
; %bb.2673:                             ;   in Loop: Header=BB2_2110 Depth=2
	s_xor_b32 s13, exec_lo, -1
; %bb.2674:                             ;   in Loop: Header=BB2_2110 Depth=2
	s_or_b32 exec_lo, exec_lo, s40
	s_and_b32 s13, s13, exec_lo
                                        ; implicit-def: $vgpr10_vgpr11_vgpr12_vgpr13
	s_or_saveexec_b32 s29, s29
	v_mov_b32_e32 v10, 0x7f800001
	s_xor_b32 exec_lo, exec_lo, s29
	s_cbranch_execnz .LBB2_2811
.LBB2_2675:                             ;   in Loop: Header=BB2_2110 Depth=2
	s_or_b32 exec_lo, exec_lo, s29
	s_and_saveexec_b32 s29, s13
.LBB2_2676:                             ;   in Loop: Header=BB2_2110 Depth=2
	v_mov_b32_e32 v10, v40
.LBB2_2677:                             ;   in Loop: Header=BB2_2110 Depth=2
	s_or_b32 exec_lo, exec_lo, s29
	v_max_f32_e32 v10, v10, v10
	v_max_f32_e32 v11, v41, v41
	v_min_f32_e32 v10, v11, v10
.LBB2_2678:                             ;   in Loop: Header=BB2_2110 Depth=2
	v_and_b32_e32 v11, 0x7f800000, v10
	v_cmp_ne_u32_e32 vcc_lo, 0x7f800000, v11
	v_mov_b32_e32 v11, 0x8000
	s_and_saveexec_b32 s29, vcc_lo
	s_cbranch_execz .LBB2_2109
; %bb.2679:                             ;   in Loop: Header=BB2_2110 Depth=2
	v_mov_b32_e32 v11, 0
	s_mov_b32 s40, exec_lo
	v_cmpx_ne_u32_e32 0, v10
	s_cbranch_execz .LBB2_2108
; %bb.2680:                             ;   in Loop: Header=BB2_2110 Depth=2
	v_bfe_u32 v11, v10, 23, 8
	v_and_b32_e32 v12, 0x7fffff, v10
	v_sub_nc_u32_e32 v13, 0x70, v11
	v_cmp_gt_u32_e32 vcc_lo, 0x71, v11
	v_or_b32_e32 v17, 0x800000, v12
	v_cndmask_b32_e32 v13, 0, v13, vcc_lo
	v_cmp_eq_u32_e32 vcc_lo, 0, v11
	v_add_nc_u32_e32 v11, 0xffffff91, v11
	v_cndmask_b32_e64 v13, v13, 0x6f, vcc_lo
	v_cndmask_b32_e32 v12, v17, v12, vcc_lo
	v_cndmask_b32_e64 v11, v11, 0xffffff92, vcc_lo
	v_lshl_add_u32 v17, 0x200000, v13, -1
	v_lshrrev_b32_e32 v40, v13, v12
	v_lshlrev_b32_e64 v42, v13, 0x100000
	v_add_nc_u32_e32 v13, v13, v11
	v_and_b32_e32 v12, v17, v12
	v_bfe_u32 v41, v40, 21, 1
	v_cmp_eq_u32_e64 s13, v12, v42
	v_add_nc_u32_e32 v17, -1, v41
	v_cndmask_b32_e64 v12, 0, v17, s13
	v_lshrrev_b32_e32 v17, 23, v40
	s_mov_b32 s13, exec_lo
	v_add_nc_u32_e32 v12, v12, v40
	v_xor_b32_e32 v17, 1, v17
	v_and_b32_e32 v11, 0x1fffff, v12
	v_add_nc_u32_e32 v12, v11, v40
                                        ; implicit-def: $vgpr11
	v_cmpx_ne_u32_e64 v13, v17
	s_xor_b32 s13, exec_lo, s13
; %bb.2681:                             ;   in Loop: Header=BB2_2110 Depth=2
	v_cmp_lt_u32_e32 vcc_lo, 0xffffff, v12
	v_sub_nc_u32_e32 v11, v13, v17
	v_cndmask_b32_e64 v13, 0, 1, vcc_lo
	v_add_co_ci_u32_e64 v11, null, 0, v11, vcc_lo
	v_lshrrev_b32_e32 v12, v13, v12
; %bb.2682:                             ;   in Loop: Header=BB2_2110 Depth=2
	s_andn2_saveexec_b32 s13, s13
	s_cbranch_execz .LBB2_2107
; %bb.2683:                             ;   in Loop: Header=BB2_2110 Depth=2
	v_bfe_u32 v11, v12, 23, 1
	s_branch .LBB2_2107
.LBB2_2684:                             ;   in Loop: Header=BB2_2110 Depth=2
	s_or_saveexec_b32 s29, s29
	v_mov_b32_e32 v101, 0x7f800001
	s_xor_b32 exec_lo, exec_lo, s29
	s_cbranch_execz .LBB2_2115
.LBB2_2685:                             ;   in Loop: Header=BB2_2110 Depth=2
	v_cmp_ne_u16_sdwa s40, v14, v35 src0_sel:BYTE_0 src1_sel:DWORD
	v_mov_b32_e32 v101, 0
	s_andn2_b32 s13, s13, exec_lo
	s_and_b32 s40, s40, exec_lo
	s_or_b32 s13, s13, s40
	s_or_b32 exec_lo, exec_lo, s29
	s_and_saveexec_b32 s29, s13
	s_cbranch_execnz .LBB2_2116
	s_branch .LBB2_2117
.LBB2_2686:                             ;   in Loop: Header=BB2_2110 Depth=2
	s_or_saveexec_b32 s29, s29
	v_mov_b32_e32 v102, 0x7f800001
	s_xor_b32 exec_lo, exec_lo, s29
	s_cbranch_execz .LBB2_2121
.LBB2_2687:                             ;   in Loop: Header=BB2_2110 Depth=2
	v_cmp_ne_u16_sdwa s40, v10, v35 src0_sel:BYTE_0 src1_sel:DWORD
	v_mov_b32_e32 v102, 0
	s_andn2_b32 s13, s13, exec_lo
	s_and_b32 s40, s40, exec_lo
	s_or_b32 s13, s13, s40
	s_or_b32 exec_lo, exec_lo, s29
	s_and_saveexec_b32 s29, s13
	s_cbranch_execnz .LBB2_2122
	s_branch .LBB2_2123
.LBB2_2688:                             ;   in Loop: Header=BB2_2110 Depth=2
	s_or_saveexec_b32 s29, s29
	v_mov_b32_e32 v101, 0x7f800001
	s_xor_b32 exec_lo, exec_lo, s29
	s_cbranch_execz .LBB2_2129
.LBB2_2689:                             ;   in Loop: Header=BB2_2110 Depth=2
	v_cmp_ne_u16_sdwa s40, v14, v35 src0_sel:BYTE_0 src1_sel:DWORD
	v_mov_b32_e32 v101, 0
	s_andn2_b32 s13, s13, exec_lo
	s_and_b32 s40, s40, exec_lo
	s_or_b32 s13, s13, s40
	s_or_b32 exec_lo, exec_lo, s29
	s_and_saveexec_b32 s29, s13
	s_cbranch_execnz .LBB2_2130
	s_branch .LBB2_2131
.LBB2_2690:                             ;   in Loop: Header=BB2_2110 Depth=2
	s_or_saveexec_b32 s29, s29
	v_mov_b32_e32 v102, 0x7f800001
	s_xor_b32 exec_lo, exec_lo, s29
	s_cbranch_execz .LBB2_2135
.LBB2_2691:                             ;   in Loop: Header=BB2_2110 Depth=2
	v_cmp_ne_u16_sdwa s40, v10, v35 src0_sel:BYTE_0 src1_sel:DWORD
	v_mov_b32_e32 v102, 0
	s_andn2_b32 s13, s13, exec_lo
	s_and_b32 s40, s40, exec_lo
	s_or_b32 s13, s13, s40
	s_or_b32 exec_lo, exec_lo, s29
	s_and_saveexec_b32 s29, s13
	s_cbranch_execnz .LBB2_2136
	s_branch .LBB2_2137
.LBB2_2692:                             ;   in Loop: Header=BB2_2110 Depth=2
	s_or_saveexec_b32 s29, s29
	v_mov_b32_e32 v102, 0x7f800001
	s_xor_b32 exec_lo, exec_lo, s29
	s_cbranch_execz .LBB2_2151
.LBB2_2693:                             ;   in Loop: Header=BB2_2110 Depth=2
	v_cmp_ne_u16_sdwa s40, v14, v35 src0_sel:BYTE_1 src1_sel:DWORD
	v_mov_b32_e32 v102, 0
	s_andn2_b32 s13, s13, exec_lo
	s_and_b32 s40, s40, exec_lo
	s_or_b32 s13, s13, s40
	s_or_b32 exec_lo, exec_lo, s29
	s_and_saveexec_b32 s29, s13
	s_cbranch_execnz .LBB2_2152
	s_branch .LBB2_2153
.LBB2_2694:                             ;   in Loop: Header=BB2_2110 Depth=2
	s_or_saveexec_b32 s29, s29
	v_mov_b32_e32 v103, 0x7f800001
	s_xor_b32 exec_lo, exec_lo, s29
	s_cbranch_execz .LBB2_2157
.LBB2_2695:                             ;   in Loop: Header=BB2_2110 Depth=2
	v_cmp_ne_u16_sdwa s40, v10, v35 src0_sel:BYTE_1 src1_sel:DWORD
	v_mov_b32_e32 v103, 0
	s_andn2_b32 s13, s13, exec_lo
	s_and_b32 s40, s40, exec_lo
	s_or_b32 s13, s13, s40
	s_or_b32 exec_lo, exec_lo, s29
	s_and_saveexec_b32 s29, s13
	s_cbranch_execnz .LBB2_2158
	s_branch .LBB2_2159
.LBB2_2696:                             ;   in Loop: Header=BB2_2110 Depth=2
	s_or_saveexec_b32 s29, s29
	v_mov_b32_e32 v102, 0x7f800001
	s_xor_b32 exec_lo, exec_lo, s29
	s_cbranch_execz .LBB2_2165
.LBB2_2697:                             ;   in Loop: Header=BB2_2110 Depth=2
	v_cmp_ne_u16_sdwa s40, v14, v35 src0_sel:BYTE_1 src1_sel:DWORD
	v_mov_b32_e32 v102, 0
	s_andn2_b32 s13, s13, exec_lo
	s_and_b32 s40, s40, exec_lo
	s_or_b32 s13, s13, s40
	s_or_b32 exec_lo, exec_lo, s29
	s_and_saveexec_b32 s29, s13
	s_cbranch_execnz .LBB2_2166
	s_branch .LBB2_2167
.LBB2_2698:                             ;   in Loop: Header=BB2_2110 Depth=2
	s_or_saveexec_b32 s29, s29
	v_mov_b32_e32 v103, 0x7f800001
	s_xor_b32 exec_lo, exec_lo, s29
	s_cbranch_execz .LBB2_2171
.LBB2_2699:                             ;   in Loop: Header=BB2_2110 Depth=2
	v_cmp_ne_u16_sdwa s40, v10, v35 src0_sel:BYTE_1 src1_sel:DWORD
	v_mov_b32_e32 v103, 0
	s_andn2_b32 s13, s13, exec_lo
	s_and_b32 s40, s40, exec_lo
	s_or_b32 s13, s13, s40
	s_or_b32 exec_lo, exec_lo, s29
	s_and_saveexec_b32 s29, s13
	s_cbranch_execnz .LBB2_2172
	s_branch .LBB2_2173
.LBB2_2700:                             ;   in Loop: Header=BB2_2110 Depth=2
	s_or_saveexec_b32 s13, s13
	v_mov_b32_e32 v112, 0x7f800001
	s_xor_b32 exec_lo, exec_lo, s13
	s_cbranch_execz .LBB2_2187
.LBB2_2701:                             ;   in Loop: Header=BB2_2110 Depth=2
	v_cmp_ne_u16_e32 vcc_lo, 0, v103
	v_mov_b32_e32 v112, 0
	s_andn2_b32 s29, s29, exec_lo
	s_and_b32 s40, vcc_lo, exec_lo
	s_or_b32 s29, s29, s40
	s_or_b32 exec_lo, exec_lo, s13
	s_and_saveexec_b32 s13, s29
	s_cbranch_execnz .LBB2_2188
	s_branch .LBB2_2189
.LBB2_2702:                             ;   in Loop: Header=BB2_2110 Depth=2
	s_or_saveexec_b32 s29, s29
	v_mov_b32_e32 v113, 0x7f800001
	s_xor_b32 exec_lo, exec_lo, s29
	s_cbranch_execz .LBB2_2193
.LBB2_2703:                             ;   in Loop: Header=BB2_2110 Depth=2
	v_cmp_ne_u16_e32 vcc_lo, 0, v114
	v_mov_b32_e32 v113, 0
	s_andn2_b32 s13, s13, exec_lo
	s_and_b32 s40, vcc_lo, exec_lo
	s_or_b32 s13, s13, s40
	s_or_b32 exec_lo, exec_lo, s29
	s_and_saveexec_b32 s29, s13
	s_cbranch_execnz .LBB2_2194
	s_branch .LBB2_2195
.LBB2_2704:                             ;   in Loop: Header=BB2_2110 Depth=2
	s_or_saveexec_b32 s29, s29
	v_mov_b32_e32 v112, 0x7f800001
	s_xor_b32 exec_lo, exec_lo, s29
	s_cbranch_execz .LBB2_2201
.LBB2_2705:                             ;   in Loop: Header=BB2_2110 Depth=2
	v_cmp_ne_u16_e32 vcc_lo, 0, v103
	v_mov_b32_e32 v112, 0
	s_andn2_b32 s13, s13, exec_lo
	s_and_b32 s40, vcc_lo, exec_lo
	s_or_b32 s13, s13, s40
	s_or_b32 exec_lo, exec_lo, s29
	s_and_saveexec_b32 s29, s13
	s_cbranch_execnz .LBB2_2202
	s_branch .LBB2_2203
.LBB2_2706:                             ;   in Loop: Header=BB2_2110 Depth=2
	s_or_saveexec_b32 s29, s29
	v_mov_b32_e32 v103, 0x7f800001
	s_xor_b32 exec_lo, exec_lo, s29
	s_cbranch_execz .LBB2_2207
.LBB2_2707:                             ;   in Loop: Header=BB2_2110 Depth=2
	v_cmp_ne_u16_e32 vcc_lo, 0, v113
	v_mov_b32_e32 v103, 0
	s_andn2_b32 s13, s13, exec_lo
	s_and_b32 s40, vcc_lo, exec_lo
	s_or_b32 s13, s13, s40
	s_or_b32 exec_lo, exec_lo, s29
	s_and_saveexec_b32 s29, s13
	s_cbranch_execnz .LBB2_2208
	s_branch .LBB2_2209
.LBB2_2708:                             ;   in Loop: Header=BB2_2110 Depth=2
	s_or_saveexec_b32 s29, s29
	v_mov_b32_e32 v112, 0x7f800001
	s_xor_b32 exec_lo, exec_lo, s29
	s_cbranch_execz .LBB2_2223
.LBB2_2709:                             ;   in Loop: Header=BB2_2110 Depth=2
	v_cmp_ne_u16_sdwa s40, v14, v35 src0_sel:BYTE_3 src1_sel:DWORD
	v_mov_b32_e32 v112, 0
	s_andn2_b32 s13, s13, exec_lo
	s_and_b32 s40, s40, exec_lo
	s_or_b32 s13, s13, s40
	s_or_b32 exec_lo, exec_lo, s29
	s_and_saveexec_b32 s29, s13
	s_cbranch_execnz .LBB2_2224
	s_branch .LBB2_2225
.LBB2_2710:                             ;   in Loop: Header=BB2_2110 Depth=2
	s_or_saveexec_b32 s29, s29
	v_mov_b32_e32 v113, 0x7f800001
	s_xor_b32 exec_lo, exec_lo, s29
	s_cbranch_execz .LBB2_2229
.LBB2_2711:                             ;   in Loop: Header=BB2_2110 Depth=2
	v_cmp_ne_u16_sdwa s40, v10, v35 src0_sel:BYTE_3 src1_sel:DWORD
	v_mov_b32_e32 v113, 0
	s_andn2_b32 s13, s13, exec_lo
	s_and_b32 s40, s40, exec_lo
	s_or_b32 s13, s13, s40
	s_or_b32 exec_lo, exec_lo, s29
	s_and_saveexec_b32 s29, s13
	s_cbranch_execnz .LBB2_2230
	s_branch .LBB2_2231
.LBB2_2712:                             ;   in Loop: Header=BB2_2110 Depth=2
	s_or_saveexec_b32 s29, s29
	v_mov_b32_e32 v112, 0x7f800001
	s_xor_b32 exec_lo, exec_lo, s29
	s_cbranch_execz .LBB2_2237
.LBB2_2713:                             ;   in Loop: Header=BB2_2110 Depth=2
	v_cmp_ne_u16_sdwa s40, v14, v35 src0_sel:BYTE_3 src1_sel:DWORD
	v_mov_b32_e32 v112, 0
	s_andn2_b32 s13, s13, exec_lo
	s_and_b32 s40, s40, exec_lo
	s_or_b32 s13, s13, s40
	s_or_b32 exec_lo, exec_lo, s29
	s_and_saveexec_b32 s29, s13
	s_cbranch_execnz .LBB2_2238
	s_branch .LBB2_2239
.LBB2_2714:                             ;   in Loop: Header=BB2_2110 Depth=2
	s_or_saveexec_b32 s29, s29
	v_mov_b32_e32 v14, 0x7f800001
	s_xor_b32 exec_lo, exec_lo, s29
	s_cbranch_execz .LBB2_2243
.LBB2_2715:                             ;   in Loop: Header=BB2_2110 Depth=2
	v_cmp_ne_u16_sdwa s40, v10, v35 src0_sel:BYTE_3 src1_sel:DWORD
	v_mov_b32_e32 v14, 0
	s_andn2_b32 s13, s13, exec_lo
	s_and_b32 s40, s40, exec_lo
	s_or_b32 s13, s13, s40
	s_or_b32 exec_lo, exec_lo, s29
	s_and_saveexec_b32 s29, s13
	s_cbranch_execnz .LBB2_2244
	s_branch .LBB2_2245
.LBB2_2716:                             ;   in Loop: Header=BB2_2110 Depth=2
	s_or_saveexec_b32 s29, s29
	v_mov_b32_e32 v103, 0x7f800001
	s_xor_b32 exec_lo, exec_lo, s29
	s_cbranch_execz .LBB2_2259
.LBB2_2717:                             ;   in Loop: Header=BB2_2110 Depth=2
	v_cmp_ne_u16_sdwa s40, v15, v35 src0_sel:BYTE_0 src1_sel:DWORD
	v_mov_b32_e32 v103, 0
	s_andn2_b32 s13, s13, exec_lo
	s_and_b32 s40, s40, exec_lo
	s_or_b32 s13, s13, s40
	s_or_b32 exec_lo, exec_lo, s29
	s_and_saveexec_b32 s29, s13
	s_cbranch_execnz .LBB2_2260
	s_branch .LBB2_2261
.LBB2_2718:                             ;   in Loop: Header=BB2_2110 Depth=2
	s_or_saveexec_b32 s29, s29
	v_mov_b32_e32 v112, 0x7f800001
	s_xor_b32 exec_lo, exec_lo, s29
	s_cbranch_execz .LBB2_2265
.LBB2_2719:                             ;   in Loop: Header=BB2_2110 Depth=2
	v_cmp_ne_u16_sdwa s40, v11, v35 src0_sel:BYTE_0 src1_sel:DWORD
	v_mov_b32_e32 v112, 0
	s_andn2_b32 s13, s13, exec_lo
	s_and_b32 s40, s40, exec_lo
	s_or_b32 s13, s13, s40
	s_or_b32 exec_lo, exec_lo, s29
	s_and_saveexec_b32 s29, s13
	s_cbranch_execnz .LBB2_2266
	s_branch .LBB2_2267
.LBB2_2720:                             ;   in Loop: Header=BB2_2110 Depth=2
	s_or_saveexec_b32 s29, s29
	v_mov_b32_e32 v103, 0x7f800001
	s_xor_b32 exec_lo, exec_lo, s29
	s_cbranch_execz .LBB2_2273
.LBB2_2721:                             ;   in Loop: Header=BB2_2110 Depth=2
	v_cmp_ne_u16_sdwa s40, v15, v35 src0_sel:BYTE_0 src1_sel:DWORD
	v_mov_b32_e32 v103, 0
	s_andn2_b32 s13, s13, exec_lo
	s_and_b32 s40, s40, exec_lo
	s_or_b32 s13, s13, s40
	s_or_b32 exec_lo, exec_lo, s29
	s_and_saveexec_b32 s29, s13
	s_cbranch_execnz .LBB2_2274
	s_branch .LBB2_2275
.LBB2_2722:                             ;   in Loop: Header=BB2_2110 Depth=2
	s_or_saveexec_b32 s29, s29
	v_mov_b32_e32 v112, 0x7f800001
	s_xor_b32 exec_lo, exec_lo, s29
	s_cbranch_execz .LBB2_2279
.LBB2_2723:                             ;   in Loop: Header=BB2_2110 Depth=2
	v_cmp_ne_u16_sdwa s40, v11, v35 src0_sel:BYTE_0 src1_sel:DWORD
	v_mov_b32_e32 v112, 0
	s_andn2_b32 s13, s13, exec_lo
	s_and_b32 s40, s40, exec_lo
	s_or_b32 s13, s13, s40
	s_or_b32 exec_lo, exec_lo, s29
	s_and_saveexec_b32 s29, s13
	s_cbranch_execnz .LBB2_2280
	s_branch .LBB2_2281
.LBB2_2724:                             ;   in Loop: Header=BB2_2110 Depth=2
	s_or_saveexec_b32 s29, s29
	v_mov_b32_e32 v112, 0x7f800001
	s_xor_b32 exec_lo, exec_lo, s29
	s_cbranch_execz .LBB2_2295
.LBB2_2725:                             ;   in Loop: Header=BB2_2110 Depth=2
	v_cmp_ne_u16_sdwa s40, v15, v35 src0_sel:BYTE_1 src1_sel:DWORD
	v_mov_b32_e32 v112, 0
	s_andn2_b32 s13, s13, exec_lo
	s_and_b32 s40, s40, exec_lo
	s_or_b32 s13, s13, s40
	s_or_b32 exec_lo, exec_lo, s29
	s_and_saveexec_b32 s29, s13
	s_cbranch_execnz .LBB2_2296
	s_branch .LBB2_2297
.LBB2_2726:                             ;   in Loop: Header=BB2_2110 Depth=2
	s_or_saveexec_b32 s29, s29
	v_mov_b32_e32 v113, 0x7f800001
	s_xor_b32 exec_lo, exec_lo, s29
	s_cbranch_execz .LBB2_2301
.LBB2_2727:                             ;   in Loop: Header=BB2_2110 Depth=2
	v_cmp_ne_u16_sdwa s40, v11, v35 src0_sel:BYTE_1 src1_sel:DWORD
	v_mov_b32_e32 v113, 0
	s_andn2_b32 s13, s13, exec_lo
	s_and_b32 s40, s40, exec_lo
	s_or_b32 s13, s13, s40
	s_or_b32 exec_lo, exec_lo, s29
	s_and_saveexec_b32 s29, s13
	s_cbranch_execnz .LBB2_2302
	s_branch .LBB2_2303
.LBB2_2728:                             ;   in Loop: Header=BB2_2110 Depth=2
	s_or_saveexec_b32 s29, s29
	v_mov_b32_e32 v112, 0x7f800001
	s_xor_b32 exec_lo, exec_lo, s29
	s_cbranch_execz .LBB2_2309
.LBB2_2729:                             ;   in Loop: Header=BB2_2110 Depth=2
	v_cmp_ne_u16_sdwa s40, v15, v35 src0_sel:BYTE_1 src1_sel:DWORD
	v_mov_b32_e32 v112, 0
	s_andn2_b32 s13, s13, exec_lo
	s_and_b32 s40, s40, exec_lo
	s_or_b32 s13, s13, s40
	s_or_b32 exec_lo, exec_lo, s29
	s_and_saveexec_b32 s29, s13
	s_cbranch_execnz .LBB2_2310
	s_branch .LBB2_2311
.LBB2_2730:                             ;   in Loop: Header=BB2_2110 Depth=2
	s_or_saveexec_b32 s29, s29
	v_mov_b32_e32 v113, 0x7f800001
	s_xor_b32 exec_lo, exec_lo, s29
	s_cbranch_execz .LBB2_2315
.LBB2_2731:                             ;   in Loop: Header=BB2_2110 Depth=2
	v_cmp_ne_u16_sdwa s40, v11, v35 src0_sel:BYTE_1 src1_sel:DWORD
	v_mov_b32_e32 v113, 0
	s_andn2_b32 s13, s13, exec_lo
	s_and_b32 s40, s40, exec_lo
	s_or_b32 s13, s13, s40
	s_or_b32 exec_lo, exec_lo, s29
	s_and_saveexec_b32 s29, s13
	s_cbranch_execnz .LBB2_2316
	s_branch .LBB2_2317
.LBB2_2732:                             ;   in Loop: Header=BB2_2110 Depth=2
	s_or_saveexec_b32 s13, s13
	v_mov_b32_e32 v114, 0x7f800001
	s_xor_b32 exec_lo, exec_lo, s13
	s_cbranch_execz .LBB2_2331
.LBB2_2733:                             ;   in Loop: Header=BB2_2110 Depth=2
	v_cmp_ne_u16_e32 vcc_lo, 0, v113
	v_mov_b32_e32 v114, 0
	s_andn2_b32 s29, s29, exec_lo
	s_and_b32 s40, vcc_lo, exec_lo
	s_or_b32 s29, s29, s40
	s_or_b32 exec_lo, exec_lo, s13
	s_and_saveexec_b32 s13, s29
	s_cbranch_execnz .LBB2_2332
	s_branch .LBB2_2333
.LBB2_2734:                             ;   in Loop: Header=BB2_2110 Depth=2
	s_or_saveexec_b32 s29, s29
	v_mov_b32_e32 v115, 0x7f800001
	s_xor_b32 exec_lo, exec_lo, s29
	s_cbranch_execz .LBB2_2337
.LBB2_2735:                             ;   in Loop: Header=BB2_2110 Depth=2
	v_cmp_ne_u16_e32 vcc_lo, 0, v116
	v_mov_b32_e32 v115, 0
	s_andn2_b32 s13, s13, exec_lo
	s_and_b32 s40, vcc_lo, exec_lo
	s_or_b32 s13, s13, s40
	s_or_b32 exec_lo, exec_lo, s29
	s_and_saveexec_b32 s29, s13
	s_cbranch_execnz .LBB2_2338
	s_branch .LBB2_2339
.LBB2_2736:                             ;   in Loop: Header=BB2_2110 Depth=2
	s_or_saveexec_b32 s29, s29
	v_mov_b32_e32 v114, 0x7f800001
	s_xor_b32 exec_lo, exec_lo, s29
	s_cbranch_execz .LBB2_2345
.LBB2_2737:                             ;   in Loop: Header=BB2_2110 Depth=2
	v_cmp_ne_u16_e32 vcc_lo, 0, v113
	v_mov_b32_e32 v114, 0
	s_andn2_b32 s13, s13, exec_lo
	s_and_b32 s40, vcc_lo, exec_lo
	s_or_b32 s13, s13, s40
	s_or_b32 exec_lo, exec_lo, s29
	s_and_saveexec_b32 s29, s13
	s_cbranch_execnz .LBB2_2346
	s_branch .LBB2_2347
.LBB2_2738:                             ;   in Loop: Header=BB2_2110 Depth=2
	s_or_saveexec_b32 s29, s29
	v_mov_b32_e32 v113, 0x7f800001
	s_xor_b32 exec_lo, exec_lo, s29
	s_cbranch_execz .LBB2_2351
.LBB2_2739:                             ;   in Loop: Header=BB2_2110 Depth=2
	v_cmp_ne_u16_e32 vcc_lo, 0, v115
	v_mov_b32_e32 v113, 0
	s_andn2_b32 s13, s13, exec_lo
	s_and_b32 s40, vcc_lo, exec_lo
	s_or_b32 s13, s13, s40
	s_or_b32 exec_lo, exec_lo, s29
	s_and_saveexec_b32 s29, s13
	s_cbranch_execnz .LBB2_2352
	s_branch .LBB2_2353
.LBB2_2740:                             ;   in Loop: Header=BB2_2110 Depth=2
	s_or_saveexec_b32 s29, s29
	v_mov_b32_e32 v114, 0x7f800001
	s_xor_b32 exec_lo, exec_lo, s29
	s_cbranch_execz .LBB2_2367
.LBB2_2741:                             ;   in Loop: Header=BB2_2110 Depth=2
	v_cmp_ne_u16_sdwa s40, v15, v35 src0_sel:BYTE_3 src1_sel:DWORD
	v_mov_b32_e32 v114, 0
	s_andn2_b32 s13, s13, exec_lo
	s_and_b32 s40, s40, exec_lo
	s_or_b32 s13, s13, s40
	s_or_b32 exec_lo, exec_lo, s29
	s_and_saveexec_b32 s29, s13
	s_cbranch_execnz .LBB2_2368
	s_branch .LBB2_2369
.LBB2_2742:                             ;   in Loop: Header=BB2_2110 Depth=2
	s_or_saveexec_b32 s29, s29
	v_mov_b32_e32 v115, 0x7f800001
	s_xor_b32 exec_lo, exec_lo, s29
	s_cbranch_execz .LBB2_2373
.LBB2_2743:                             ;   in Loop: Header=BB2_2110 Depth=2
	v_cmp_ne_u16_sdwa s40, v11, v35 src0_sel:BYTE_3 src1_sel:DWORD
	v_mov_b32_e32 v115, 0
	s_andn2_b32 s13, s13, exec_lo
	s_and_b32 s40, s40, exec_lo
	s_or_b32 s13, s13, s40
	s_or_b32 exec_lo, exec_lo, s29
	s_and_saveexec_b32 s29, s13
	s_cbranch_execnz .LBB2_2374
	s_branch .LBB2_2375
.LBB2_2744:                             ;   in Loop: Header=BB2_2110 Depth=2
	s_or_saveexec_b32 s29, s29
	v_mov_b32_e32 v114, 0x7f800001
	s_xor_b32 exec_lo, exec_lo, s29
	s_cbranch_execz .LBB2_2381
.LBB2_2745:                             ;   in Loop: Header=BB2_2110 Depth=2
	v_cmp_ne_u16_sdwa s40, v15, v35 src0_sel:BYTE_3 src1_sel:DWORD
	v_mov_b32_e32 v114, 0
	s_andn2_b32 s13, s13, exec_lo
	s_and_b32 s40, s40, exec_lo
	s_or_b32 s13, s13, s40
	s_or_b32 exec_lo, exec_lo, s29
	s_and_saveexec_b32 s29, s13
	s_cbranch_execnz .LBB2_2382
	s_branch .LBB2_2383
.LBB2_2746:                             ;   in Loop: Header=BB2_2110 Depth=2
	s_or_saveexec_b32 s29, s29
	v_mov_b32_e32 v15, 0x7f800001
	s_xor_b32 exec_lo, exec_lo, s29
	s_cbranch_execz .LBB2_2387
.LBB2_2747:                             ;   in Loop: Header=BB2_2110 Depth=2
	v_cmp_ne_u16_sdwa s40, v11, v35 src0_sel:BYTE_3 src1_sel:DWORD
	v_mov_b32_e32 v15, 0
	s_andn2_b32 s13, s13, exec_lo
	s_and_b32 s40, s40, exec_lo
	s_or_b32 s13, s13, s40
	s_or_b32 exec_lo, exec_lo, s29
	s_and_saveexec_b32 s29, s13
	s_cbranch_execnz .LBB2_2388
	s_branch .LBB2_2389
.LBB2_2748:                             ;   in Loop: Header=BB2_2110 Depth=2
	s_or_saveexec_b32 s29, s29
	v_mov_b32_e32 v11, 0x7f800001
	s_xor_b32 exec_lo, exec_lo, s29
	s_cbranch_execz .LBB2_2403
.LBB2_2749:                             ;   in Loop: Header=BB2_2110 Depth=2
	v_cmp_ne_u16_sdwa s40, v16, v35 src0_sel:BYTE_0 src1_sel:DWORD
	v_mov_b32_e32 v11, 0
	s_andn2_b32 s13, s13, exec_lo
	s_and_b32 s40, s40, exec_lo
	s_or_b32 s13, s13, s40
	s_or_b32 exec_lo, exec_lo, s29
	s_and_saveexec_b32 s29, s13
	s_cbranch_execnz .LBB2_2404
	s_branch .LBB2_2405
.LBB2_2750:                             ;   in Loop: Header=BB2_2110 Depth=2
	s_or_saveexec_b32 s29, s29
	v_mov_b32_e32 v114, 0x7f800001
	s_xor_b32 exec_lo, exec_lo, s29
	s_cbranch_execz .LBB2_2409
.LBB2_2751:                             ;   in Loop: Header=BB2_2110 Depth=2
	v_cmp_ne_u16_sdwa s40, v12, v35 src0_sel:BYTE_0 src1_sel:DWORD
	v_mov_b32_e32 v114, 0
	s_andn2_b32 s13, s13, exec_lo
	s_and_b32 s40, s40, exec_lo
	s_or_b32 s13, s13, s40
	s_or_b32 exec_lo, exec_lo, s29
	s_and_saveexec_b32 s29, s13
	s_cbranch_execnz .LBB2_2410
	s_branch .LBB2_2411
.LBB2_2752:                             ;   in Loop: Header=BB2_2110 Depth=2
	s_or_saveexec_b32 s29, s29
	v_mov_b32_e32 v11, 0x7f800001
	s_xor_b32 exec_lo, exec_lo, s29
	s_cbranch_execz .LBB2_2417
.LBB2_2753:                             ;   in Loop: Header=BB2_2110 Depth=2
	v_cmp_ne_u16_sdwa s40, v16, v35 src0_sel:BYTE_0 src1_sel:DWORD
	v_mov_b32_e32 v11, 0
	s_andn2_b32 s13, s13, exec_lo
	s_and_b32 s40, s40, exec_lo
	s_or_b32 s13, s13, s40
	s_or_b32 exec_lo, exec_lo, s29
	s_and_saveexec_b32 s29, s13
	s_cbranch_execnz .LBB2_2418
	s_branch .LBB2_2419
.LBB2_2754:                             ;   in Loop: Header=BB2_2110 Depth=2
	s_or_saveexec_b32 s29, s29
	v_mov_b32_e32 v114, 0x7f800001
	s_xor_b32 exec_lo, exec_lo, s29
	s_cbranch_execz .LBB2_2423
.LBB2_2755:                             ;   in Loop: Header=BB2_2110 Depth=2
	v_cmp_ne_u16_sdwa s40, v12, v35 src0_sel:BYTE_0 src1_sel:DWORD
	v_mov_b32_e32 v114, 0
	s_andn2_b32 s13, s13, exec_lo
	s_and_b32 s40, s40, exec_lo
	s_or_b32 s13, s13, s40
	s_or_b32 exec_lo, exec_lo, s29
	s_and_saveexec_b32 s29, s13
	s_cbranch_execnz .LBB2_2424
	s_branch .LBB2_2425
.LBB2_2756:                             ;   in Loop: Header=BB2_2110 Depth=2
	s_or_saveexec_b32 s29, s29
	v_mov_b32_e32 v11, 0x7f800001
	s_xor_b32 exec_lo, exec_lo, s29
	s_cbranch_execz .LBB2_2439
.LBB2_2757:                             ;   in Loop: Header=BB2_2110 Depth=2
	v_cmp_ne_u16_sdwa s40, v16, v35 src0_sel:BYTE_1 src1_sel:DWORD
	v_mov_b32_e32 v11, 0
	s_andn2_b32 s13, s13, exec_lo
	s_and_b32 s40, s40, exec_lo
	s_or_b32 s13, s13, s40
	s_or_b32 exec_lo, exec_lo, s29
	s_and_saveexec_b32 s29, s13
	s_cbranch_execnz .LBB2_2440
	s_branch .LBB2_2441
.LBB2_2758:                             ;   in Loop: Header=BB2_2110 Depth=2
	s_or_saveexec_b32 s29, s29
	v_mov_b32_e32 v115, 0x7f800001
	s_xor_b32 exec_lo, exec_lo, s29
	s_cbranch_execz .LBB2_2445
.LBB2_2759:                             ;   in Loop: Header=BB2_2110 Depth=2
	v_cmp_ne_u16_sdwa s40, v12, v35 src0_sel:BYTE_1 src1_sel:DWORD
	v_mov_b32_e32 v115, 0
	s_andn2_b32 s13, s13, exec_lo
	s_and_b32 s40, s40, exec_lo
	s_or_b32 s13, s13, s40
	s_or_b32 exec_lo, exec_lo, s29
	s_and_saveexec_b32 s29, s13
	s_cbranch_execnz .LBB2_2446
	s_branch .LBB2_2447
.LBB2_2760:                             ;   in Loop: Header=BB2_2110 Depth=2
	s_or_saveexec_b32 s29, s29
	v_mov_b32_e32 v11, 0x7f800001
	s_xor_b32 exec_lo, exec_lo, s29
	s_cbranch_execz .LBB2_2453
.LBB2_2761:                             ;   in Loop: Header=BB2_2110 Depth=2
	v_cmp_ne_u16_sdwa s40, v16, v35 src0_sel:BYTE_1 src1_sel:DWORD
	v_mov_b32_e32 v11, 0
	s_andn2_b32 s13, s13, exec_lo
	s_and_b32 s40, s40, exec_lo
	s_or_b32 s13, s13, s40
	s_or_b32 exec_lo, exec_lo, s29
	s_and_saveexec_b32 s29, s13
	s_cbranch_execnz .LBB2_2454
	s_branch .LBB2_2455
.LBB2_2762:                             ;   in Loop: Header=BB2_2110 Depth=2
	s_or_saveexec_b32 s29, s29
	v_mov_b32_e32 v115, 0x7f800001
	s_xor_b32 exec_lo, exec_lo, s29
	s_cbranch_execz .LBB2_2459
.LBB2_2763:                             ;   in Loop: Header=BB2_2110 Depth=2
	v_cmp_ne_u16_sdwa s40, v12, v35 src0_sel:BYTE_1 src1_sel:DWORD
	v_mov_b32_e32 v115, 0
	s_andn2_b32 s13, s13, exec_lo
	s_and_b32 s40, s40, exec_lo
	s_or_b32 s13, s13, s40
	s_or_b32 exec_lo, exec_lo, s29
	s_and_saveexec_b32 s29, s13
	s_cbranch_execnz .LBB2_2460
	s_branch .LBB2_2461
.LBB2_2764:                             ;   in Loop: Header=BB2_2110 Depth=2
	s_or_saveexec_b32 s13, s13
	v_mov_b32_e32 v116, 0x7f800001
	s_xor_b32 exec_lo, exec_lo, s13
	s_cbranch_execz .LBB2_2475
.LBB2_2765:                             ;   in Loop: Header=BB2_2110 Depth=2
	v_cmp_ne_u16_e32 vcc_lo, 0, v11
	v_mov_b32_e32 v116, 0
	s_andn2_b32 s29, s29, exec_lo
	s_and_b32 s40, vcc_lo, exec_lo
	s_or_b32 s29, s29, s40
	s_or_b32 exec_lo, exec_lo, s13
	s_and_saveexec_b32 s13, s29
	s_cbranch_execnz .LBB2_2476
	s_branch .LBB2_2477
.LBB2_2766:                             ;   in Loop: Header=BB2_2110 Depth=2
	s_or_saveexec_b32 s29, s29
	v_mov_b32_e32 v117, 0x7f800001
	s_xor_b32 exec_lo, exec_lo, s29
	s_cbranch_execz .LBB2_2481
.LBB2_2767:                             ;   in Loop: Header=BB2_2110 Depth=2
	v_cmp_ne_u16_e32 vcc_lo, 0, v118
	v_mov_b32_e32 v117, 0
	s_andn2_b32 s13, s13, exec_lo
	s_and_b32 s40, vcc_lo, exec_lo
	s_or_b32 s13, s13, s40
	s_or_b32 exec_lo, exec_lo, s29
	s_and_saveexec_b32 s29, s13
	s_cbranch_execnz .LBB2_2482
	s_branch .LBB2_2483
.LBB2_2768:                             ;   in Loop: Header=BB2_2110 Depth=2
	s_or_saveexec_b32 s29, s29
	v_mov_b32_e32 v116, 0x7f800001
	s_xor_b32 exec_lo, exec_lo, s29
	s_cbranch_execz .LBB2_2489
.LBB2_2769:                             ;   in Loop: Header=BB2_2110 Depth=2
	v_cmp_ne_u16_e32 vcc_lo, 0, v11
	v_mov_b32_e32 v116, 0
	s_andn2_b32 s13, s13, exec_lo
	s_and_b32 s40, vcc_lo, exec_lo
	s_or_b32 s13, s13, s40
	s_or_b32 exec_lo, exec_lo, s29
	s_and_saveexec_b32 s29, s13
	s_cbranch_execnz .LBB2_2490
	s_branch .LBB2_2491
.LBB2_2770:                             ;   in Loop: Header=BB2_2110 Depth=2
	s_or_saveexec_b32 s29, s29
	v_mov_b32_e32 v11, 0x7f800001
	s_xor_b32 exec_lo, exec_lo, s29
	s_cbranch_execz .LBB2_2495
.LBB2_2771:                             ;   in Loop: Header=BB2_2110 Depth=2
	v_cmp_ne_u16_e32 vcc_lo, 0, v117
	v_mov_b32_e32 v11, 0
	s_andn2_b32 s13, s13, exec_lo
	s_and_b32 s40, vcc_lo, exec_lo
	s_or_b32 s13, s13, s40
	s_or_b32 exec_lo, exec_lo, s29
	s_and_saveexec_b32 s29, s13
	s_cbranch_execnz .LBB2_2496
	s_branch .LBB2_2497
.LBB2_2772:                             ;   in Loop: Header=BB2_2110 Depth=2
	s_or_saveexec_b32 s29, s29
	v_mov_b32_e32 v11, 0x7f800001
	s_xor_b32 exec_lo, exec_lo, s29
	s_cbranch_execz .LBB2_2511
.LBB2_2773:                             ;   in Loop: Header=BB2_2110 Depth=2
	v_cmp_ne_u16_sdwa s40, v16, v35 src0_sel:BYTE_3 src1_sel:DWORD
	v_mov_b32_e32 v11, 0
	s_andn2_b32 s13, s13, exec_lo
	s_and_b32 s40, s40, exec_lo
	s_or_b32 s13, s13, s40
	s_or_b32 exec_lo, exec_lo, s29
	s_and_saveexec_b32 s29, s13
	s_cbranch_execnz .LBB2_2512
	s_branch .LBB2_2513
.LBB2_2774:                             ;   in Loop: Header=BB2_2110 Depth=2
	s_or_saveexec_b32 s29, s29
	v_mov_b32_e32 v117, 0x7f800001
	s_xor_b32 exec_lo, exec_lo, s29
	s_cbranch_execz .LBB2_2517
.LBB2_2775:                             ;   in Loop: Header=BB2_2110 Depth=2
	v_cmp_ne_u16_sdwa s40, v12, v35 src0_sel:BYTE_3 src1_sel:DWORD
	v_mov_b32_e32 v117, 0
	s_andn2_b32 s13, s13, exec_lo
	s_and_b32 s40, s40, exec_lo
	s_or_b32 s13, s13, s40
	s_or_b32 exec_lo, exec_lo, s29
	s_and_saveexec_b32 s29, s13
	s_cbranch_execnz .LBB2_2518
	s_branch .LBB2_2519
.LBB2_2776:                             ;   in Loop: Header=BB2_2110 Depth=2
	s_or_saveexec_b32 s29, s29
	v_mov_b32_e32 v11, 0x7f800001
	s_xor_b32 exec_lo, exec_lo, s29
	s_cbranch_execz .LBB2_2525
.LBB2_2777:                             ;   in Loop: Header=BB2_2110 Depth=2
	v_cmp_ne_u16_sdwa s40, v16, v35 src0_sel:BYTE_3 src1_sel:DWORD
	v_mov_b32_e32 v11, 0
	s_andn2_b32 s13, s13, exec_lo
	s_and_b32 s40, s40, exec_lo
	s_or_b32 s13, s13, s40
	s_or_b32 exec_lo, exec_lo, s29
	s_and_saveexec_b32 s29, s13
	s_cbranch_execnz .LBB2_2526
	s_branch .LBB2_2527
.LBB2_2778:                             ;   in Loop: Header=BB2_2110 Depth=2
	s_or_saveexec_b32 s29, s29
	v_mov_b32_e32 v16, 0x7f800001
	s_xor_b32 exec_lo, exec_lo, s29
	s_cbranch_execz .LBB2_2531
.LBB2_2779:                             ;   in Loop: Header=BB2_2110 Depth=2
	v_cmp_ne_u16_sdwa s40, v12, v35 src0_sel:BYTE_3 src1_sel:DWORD
	v_mov_b32_e32 v16, 0
	s_andn2_b32 s13, s13, exec_lo
	s_and_b32 s40, s40, exec_lo
	s_or_b32 s13, s13, s40
	s_or_b32 exec_lo, exec_lo, s29
	s_and_saveexec_b32 s29, s13
	s_cbranch_execnz .LBB2_2532
	s_branch .LBB2_2533
.LBB2_2780:                             ;   in Loop: Header=BB2_2110 Depth=2
	s_or_saveexec_b32 s29, s29
	v_mov_b32_e32 v11, 0x7f800001
	s_xor_b32 exec_lo, exec_lo, s29
	s_cbranch_execz .LBB2_2547
.LBB2_2781:                             ;   in Loop: Header=BB2_2110 Depth=2
	v_cmp_ne_u16_sdwa s40, v17, v35 src0_sel:BYTE_0 src1_sel:DWORD
	v_mov_b32_e32 v11, 0
	s_andn2_b32 s13, s13, exec_lo
	s_and_b32 s40, s40, exec_lo
	s_or_b32 s13, s13, s40
	s_or_b32 exec_lo, exec_lo, s29
	s_and_saveexec_b32 s29, s13
	s_cbranch_execnz .LBB2_2548
	s_branch .LBB2_2549
.LBB2_2782:                             ;   in Loop: Header=BB2_2110 Depth=2
	s_or_saveexec_b32 s29, s29
	v_mov_b32_e32 v12, 0x7f800001
	s_xor_b32 exec_lo, exec_lo, s29
	s_cbranch_execz .LBB2_2553
.LBB2_2783:                             ;   in Loop: Header=BB2_2110 Depth=2
	v_cmp_ne_u16_sdwa s40, v13, v35 src0_sel:BYTE_0 src1_sel:DWORD
	v_mov_b32_e32 v12, 0
	s_andn2_b32 s13, s13, exec_lo
	s_and_b32 s40, s40, exec_lo
	s_or_b32 s13, s13, s40
	s_or_b32 exec_lo, exec_lo, s29
	s_and_saveexec_b32 s29, s13
	s_cbranch_execnz .LBB2_2554
	s_branch .LBB2_2555
.LBB2_2784:                             ;   in Loop: Header=BB2_2110 Depth=2
	s_or_saveexec_b32 s29, s29
	v_mov_b32_e32 v11, 0x7f800001
	s_xor_b32 exec_lo, exec_lo, s29
	s_cbranch_execz .LBB2_2561
.LBB2_2785:                             ;   in Loop: Header=BB2_2110 Depth=2
	v_cmp_ne_u16_sdwa s40, v17, v35 src0_sel:BYTE_0 src1_sel:DWORD
	v_mov_b32_e32 v11, 0
	s_andn2_b32 s13, s13, exec_lo
	s_and_b32 s40, s40, exec_lo
	s_or_b32 s13, s13, s40
	s_or_b32 exec_lo, exec_lo, s29
	s_and_saveexec_b32 s29, s13
	s_cbranch_execnz .LBB2_2562
	s_branch .LBB2_2563
.LBB2_2786:                             ;   in Loop: Header=BB2_2110 Depth=2
	s_or_saveexec_b32 s29, s29
	v_mov_b32_e32 v12, 0x7f800001
	s_xor_b32 exec_lo, exec_lo, s29
	s_cbranch_execz .LBB2_2567
.LBB2_2787:                             ;   in Loop: Header=BB2_2110 Depth=2
	v_cmp_ne_u16_sdwa s40, v13, v35 src0_sel:BYTE_0 src1_sel:DWORD
	v_mov_b32_e32 v12, 0
	s_andn2_b32 s13, s13, exec_lo
	s_and_b32 s40, s40, exec_lo
	s_or_b32 s13, s13, s40
	s_or_b32 exec_lo, exec_lo, s29
	s_and_saveexec_b32 s29, s13
	s_cbranch_execnz .LBB2_2568
	s_branch .LBB2_2569
.LBB2_2788:                             ;   in Loop: Header=BB2_2110 Depth=2
	s_or_saveexec_b32 s29, s29
	v_mov_b32_e32 v11, 0x7f800001
	s_xor_b32 exec_lo, exec_lo, s29
	s_cbranch_execz .LBB2_2583
.LBB2_2789:                             ;   in Loop: Header=BB2_2110 Depth=2
	v_cmp_ne_u16_sdwa s40, v17, v35 src0_sel:BYTE_1 src1_sel:DWORD
	v_mov_b32_e32 v11, 0
	s_andn2_b32 s13, s13, exec_lo
	s_and_b32 s40, s40, exec_lo
	s_or_b32 s13, s13, s40
	s_or_b32 exec_lo, exec_lo, s29
	s_and_saveexec_b32 s29, s13
	s_cbranch_execnz .LBB2_2584
	s_branch .LBB2_2585
.LBB2_2790:                             ;   in Loop: Header=BB2_2110 Depth=2
	s_or_saveexec_b32 s29, s29
	v_mov_b32_e32 v12, 0x7f800001
	s_xor_b32 exec_lo, exec_lo, s29
	s_cbranch_execz .LBB2_2589
.LBB2_2791:                             ;   in Loop: Header=BB2_2110 Depth=2
	v_cmp_ne_u16_sdwa s40, v13, v35 src0_sel:BYTE_1 src1_sel:DWORD
	v_mov_b32_e32 v12, 0
	s_andn2_b32 s13, s13, exec_lo
	s_and_b32 s40, s40, exec_lo
	s_or_b32 s13, s13, s40
	s_or_b32 exec_lo, exec_lo, s29
	s_and_saveexec_b32 s29, s13
	s_cbranch_execnz .LBB2_2590
	s_branch .LBB2_2591
.LBB2_2792:                             ;   in Loop: Header=BB2_2110 Depth=2
	s_or_saveexec_b32 s29, s29
	v_mov_b32_e32 v11, 0x7f800001
	s_xor_b32 exec_lo, exec_lo, s29
	s_cbranch_execz .LBB2_2597
.LBB2_2793:                             ;   in Loop: Header=BB2_2110 Depth=2
	v_cmp_ne_u16_sdwa s40, v17, v35 src0_sel:BYTE_1 src1_sel:DWORD
	v_mov_b32_e32 v11, 0
	s_andn2_b32 s13, s13, exec_lo
	s_and_b32 s40, s40, exec_lo
	s_or_b32 s13, s13, s40
	s_or_b32 exec_lo, exec_lo, s29
	s_and_saveexec_b32 s29, s13
	s_cbranch_execnz .LBB2_2598
	s_branch .LBB2_2599
.LBB2_2794:                             ;   in Loop: Header=BB2_2110 Depth=2
	s_or_saveexec_b32 s29, s29
	v_mov_b32_e32 v12, 0x7f800001
	s_xor_b32 exec_lo, exec_lo, s29
	s_cbranch_execz .LBB2_2603
.LBB2_2795:                             ;   in Loop: Header=BB2_2110 Depth=2
	v_cmp_ne_u16_sdwa s40, v13, v35 src0_sel:BYTE_1 src1_sel:DWORD
	v_mov_b32_e32 v12, 0
	s_andn2_b32 s13, s13, exec_lo
	s_and_b32 s40, s40, exec_lo
	s_or_b32 s13, s13, s40
	s_or_b32 exec_lo, exec_lo, s29
	s_and_saveexec_b32 s29, s13
	s_cbranch_execnz .LBB2_2604
	s_branch .LBB2_2605
.LBB2_2796:                             ;   in Loop: Header=BB2_2110 Depth=2
	s_or_saveexec_b32 s13, s13
	v_mov_b32_e32 v12, 0x7f800001
	s_xor_b32 exec_lo, exec_lo, s13
	s_cbranch_execz .LBB2_2619
.LBB2_2797:                             ;   in Loop: Header=BB2_2110 Depth=2
	v_cmp_ne_u16_e32 vcc_lo, 0, v11
	v_mov_b32_e32 v12, 0
	s_andn2_b32 s29, s29, exec_lo
	s_and_b32 s40, vcc_lo, exec_lo
	s_or_b32 s29, s29, s40
	s_or_b32 exec_lo, exec_lo, s13
	s_and_saveexec_b32 s13, s29
	s_cbranch_execnz .LBB2_2620
	s_branch .LBB2_2621
.LBB2_2798:                             ;   in Loop: Header=BB2_2110 Depth=2
	s_or_saveexec_b32 s29, s29
	v_mov_b32_e32 v119, 0x7f800001
	s_xor_b32 exec_lo, exec_lo, s29
	s_cbranch_execz .LBB2_2625
.LBB2_2799:                             ;   in Loop: Header=BB2_2110 Depth=2
	v_cmp_ne_u16_e32 vcc_lo, 0, v40
	v_mov_b32_e32 v119, 0
	s_andn2_b32 s13, s13, exec_lo
	s_and_b32 s40, vcc_lo, exec_lo
	s_or_b32 s13, s13, s40
	s_or_b32 exec_lo, exec_lo, s29
	s_and_saveexec_b32 s29, s13
	s_cbranch_execnz .LBB2_2626
	s_branch .LBB2_2627
.LBB2_2800:                             ;   in Loop: Header=BB2_2110 Depth=2
	s_or_saveexec_b32 s29, s29
	v_mov_b32_e32 v12, 0x7f800001
	s_xor_b32 exec_lo, exec_lo, s29
	s_cbranch_execz .LBB2_2633
.LBB2_2801:                             ;   in Loop: Header=BB2_2110 Depth=2
	v_cmp_ne_u16_e32 vcc_lo, 0, v11
	v_mov_b32_e32 v12, 0
	s_andn2_b32 s13, s13, exec_lo
	s_and_b32 s40, vcc_lo, exec_lo
	s_or_b32 s13, s13, s40
	s_or_b32 exec_lo, exec_lo, s29
	s_and_saveexec_b32 s29, s13
	s_cbranch_execnz .LBB2_2634
	s_branch .LBB2_2635
.LBB2_2802:                             ;   in Loop: Header=BB2_2110 Depth=2
	s_or_saveexec_b32 s29, s29
	v_mov_b32_e32 v11, 0x7f800001
	s_xor_b32 exec_lo, exec_lo, s29
	s_cbranch_execz .LBB2_2639
.LBB2_2803:                             ;   in Loop: Header=BB2_2110 Depth=2
	v_cmp_ne_u16_e32 vcc_lo, 0, v119
	v_mov_b32_e32 v11, 0
	s_andn2_b32 s13, s13, exec_lo
	s_and_b32 s40, vcc_lo, exec_lo
	s_or_b32 s13, s13, s40
	s_or_b32 exec_lo, exec_lo, s29
	s_and_saveexec_b32 s29, s13
	s_cbranch_execnz .LBB2_2640
	s_branch .LBB2_2641
.LBB2_2804:                             ;   in Loop: Header=BB2_2110 Depth=2
	s_or_saveexec_b32 s29, s29
	v_mov_b32_e32 v10, 0x7f800001
	s_xor_b32 exec_lo, exec_lo, s29
	s_cbranch_execz .LBB2_2655
.LBB2_2805:                             ;   in Loop: Header=BB2_2110 Depth=2
	v_cmp_ne_u16_sdwa s40, v17, v35 src0_sel:BYTE_3 src1_sel:DWORD
	v_mov_b32_e32 v10, 0
	s_andn2_b32 s13, s13, exec_lo
	s_and_b32 s40, s40, exec_lo
	s_or_b32 s13, s13, s40
	s_or_b32 exec_lo, exec_lo, s29
	s_and_saveexec_b32 s29, s13
	s_cbranch_execnz .LBB2_2656
	s_branch .LBB2_2657
.LBB2_2806:                             ;   in Loop: Header=BB2_2110 Depth=2
	s_or_saveexec_b32 s29, s29
	v_mov_b32_e32 v11, 0x7f800001
	s_xor_b32 exec_lo, exec_lo, s29
	s_cbranch_execz .LBB2_2661
.LBB2_2807:                             ;   in Loop: Header=BB2_2110 Depth=2
	v_cmp_ne_u16_sdwa s40, v13, v35 src0_sel:BYTE_3 src1_sel:DWORD
	v_mov_b32_e32 v11, 0
	s_andn2_b32 s13, s13, exec_lo
	s_and_b32 s40, s40, exec_lo
	s_or_b32 s13, s13, s40
	s_or_b32 exec_lo, exec_lo, s29
	s_and_saveexec_b32 s29, s13
	s_cbranch_execnz .LBB2_2662
	s_branch .LBB2_2663
.LBB2_2808:                             ;   in Loop: Header=BB2_2110 Depth=2
	s_or_saveexec_b32 s29, s29
	v_mov_b32_e32 v41, 0x7f800001
	s_xor_b32 exec_lo, exec_lo, s29
	s_cbranch_execz .LBB2_2669
.LBB2_2809:                             ;   in Loop: Header=BB2_2110 Depth=2
	v_cmp_ne_u16_sdwa s40, v17, v35 src0_sel:BYTE_3 src1_sel:DWORD
	v_mov_b32_e32 v41, 0
	s_andn2_b32 s13, s13, exec_lo
	s_and_b32 s40, s40, exec_lo
	s_or_b32 s13, s13, s40
	s_or_b32 exec_lo, exec_lo, s29
	s_and_saveexec_b32 s29, s13
	s_cbranch_execnz .LBB2_2670
	s_branch .LBB2_2671
.LBB2_2810:                             ;   in Loop: Header=BB2_2110 Depth=2
	s_or_saveexec_b32 s29, s29
	v_mov_b32_e32 v10, 0x7f800001
	s_xor_b32 exec_lo, exec_lo, s29
	s_cbranch_execz .LBB2_2675
.LBB2_2811:                             ;   in Loop: Header=BB2_2110 Depth=2
	v_cmp_ne_u16_sdwa s40, v13, v35 src0_sel:BYTE_3 src1_sel:DWORD
	v_mov_b32_e32 v10, 0
	s_andn2_b32 s13, s13, exec_lo
	s_and_b32 s40, s40, exec_lo
	s_or_b32 s13, s13, s40
	s_or_b32 exec_lo, exec_lo, s29
	s_and_saveexec_b32 s29, s13
	s_cbranch_execnz .LBB2_2676
	s_branch .LBB2_2677
.LBB2_2812:                             ;   in Loop: Header=BB2_2033 Depth=1
	s_or_b32 exec_lo, exec_lo, s27
.LBB2_2813:                             ;   in Loop: Header=BB2_2033 Depth=1
	s_or_b32 exec_lo, exec_lo, s26
	v_and_b32_e32 v10, 15, v34
	s_mov_b32 s26, 0
	s_mov_b32 s13, exec_lo
                                        ; implicit-def: $vgpr16
	v_cndmask_b32_e64 v98, v97, v10, s12
	v_mov_b32_e32 v97, 0
	v_cmpx_ne_u32_e32 0, v98
	s_cbranch_execz .LBB2_3523
; %bb.2814:                             ;   in Loop: Header=BB2_2033 Depth=1
	v_cmp_lt_i32_e32 vcc_lo, 0, v99
	s_mov_b32 s26, exec_lo
	v_cndmask_b32_e32 v10, 0, v67, vcc_lo
	v_sub_nc_u32_e32 v10, v10, v99
	v_lshl_or_b32 v10, v10, 5, v66
	v_ashrrev_i32_e32 v11, 31, v10
	v_lshrrev_b32_e32 v11, 27, v11
	v_add_nc_u32_e32 v11, v10, v11
	v_and_b32_e32 v12, 0xffffffe0, v11
	v_ashrrev_i32_e32 v11, 5, v11
	v_sub_nc_u32_e32 v99, v10, v12
	v_and_b32_e32 v12, 0x1f0, v34
	v_sub_nc_u32_e32 v100, 0, v11
	v_lshlrev_b32_e32 v10, 4, v99
	v_cndmask_b32_e64 v12, 0, v12, s12
	v_lshl_add_u32 v10, v11, 9, v10
	v_and_or_b32 v97, 0x3ffffe00, v34, v12
	v_sub_nc_u32_e32 v101, v98, v10
	v_cmpx_lt_i32_e32 15, v101
	s_cbranch_execz .LBB2_3522
; %bb.2815:                             ;   in Loop: Header=BB2_2033 Depth=1
	s_trap 2
	ds_read_b64 v[11:12], v0
	v_add_nc_u32_e32 v10, v10, v97
	s_bitcmp1_b32 s25, 0
	s_mov_b32 s27, 0
	s_cselect_b32 s28, -1, 0
	v_ashrrev_i32_e32 v13, 31, v10
	v_add_co_u32 v52, vcc_lo, v10, v48
	v_add_co_ci_u32_e64 v53, null, v13, v49, vcc_lo
	s_waitcnt lgkmcnt(0)
	v_add_co_u32 v54, vcc_lo, v11, v10
	v_add_co_ci_u32_e64 v55, null, v12, v13, vcc_lo
	v_add_co_u32 v64, vcc_lo, v10, v50
	v_add_co_ci_u32_e64 v65, null, v13, v51, vcc_lo
	s_branch .LBB2_2819
.LBB2_2816:                             ;   in Loop: Header=BB2_2819 Depth=2
	s_or_b32 exec_lo, exec_lo, s12
	v_lshrrev_b32_e32 v12, 21, v12
	v_min_i32_e32 v13, 31, v11
	v_cmp_gt_i32_e32 vcc_lo, 32, v11
	v_and_b32_sdwa v10, v10, v85 dst_sel:DWORD dst_unused:UNUSED_PAD src0_sel:BYTE_3 src1_sel:DWORD
	v_lshlrev_b32_e32 v13, 2, v13
	v_cndmask_b32_e32 v12, 3, v12, vcc_lo
	v_and_b32_e32 v13, 0xfc, v13
	v_and_b32_e32 v17, 3, v12
	v_or_b32_e32 v11, v11, v12
	v_or3_b32 v10, v10, v13, v17
	v_cmp_ne_u32_e32 vcc_lo, 0, v11
	v_lshlrev_b32_e32 v10, 8, v10
	v_cndmask_b32_e32 v11, 0, v10, vcc_lo
.LBB2_2817:                             ;   in Loop: Header=BB2_2819 Depth=2
	s_or_b32 exec_lo, exec_lo, s40
.LBB2_2818:                             ;   in Loop: Header=BB2_2819 Depth=2
	s_or_b32 exec_lo, exec_lo, s29
	v_or_b32_sdwa v10, v15, v115 dst_sel:WORD_1 dst_unused:UNUSED_PAD src0_sel:DWORD src1_sel:DWORD
	v_or_b32_sdwa v12, v14, v112 dst_sel:WORD_1 dst_unused:UNUSED_PAD src0_sel:DWORD src1_sel:DWORD
	;; [unrolled: 1-line block ×4, first 2 shown]
	v_sub_nc_u32_e32 v101, v101, v80
	v_or3_b32 v11, v114, v113, v10
	v_or3_b32 v10, v103, v102, v12
	;; [unrolled: 1-line block ×4, first 2 shown]
	v_add_co_u32 v52, vcc_lo, v52, v80
	v_add_co_ci_u32_e64 v53, null, 0, v53, vcc_lo
	v_add_co_u32 v54, vcc_lo, v54, v80
	global_store_dwordx4 v[64:65], v[10:13], off glc slc
	v_add_co_ci_u32_e64 v55, null, 0, v55, vcc_lo
	v_cmp_gt_i32_e32 vcc_lo, 16, v101
	v_add_co_u32 v64, s12, v64, v80
	v_add_co_ci_u32_e64 v65, null, 0, v65, s12
	v_sub_nc_u32_e32 v100, v100, v67
	s_or_b32 s27, vcc_lo, s27
	s_andn2_b32 exec_lo, exec_lo, s27
	s_cbranch_execz .LBB2_3521
.LBB2_2819:                             ;   Parent Loop BB2_2033 Depth=1
                                        ; =>  This Inner Loop Header: Depth=2
	global_load_dwordx4 v[10:13], v[54:55], off slc
	global_load_dwordx4 v[14:17], v[52:53], off slc
	s_mov_b32 s12, -1
	s_waitcnt vmcnt(1)
	v_and_b32_e32 v102, 3, v10
	v_bfe_u32 v113, v10, 2, 5
	v_lshlrev_b32_e32 v114, 24, v10
	s_waitcnt vmcnt(0)
	v_cmp_gt_i16_sdwa s29, v14, v84 src0_sel:BYTE_0 src1_sel:DWORD
	v_ffbh_u32_e32 v103, v102
	v_cmp_eq_u32_e32 vcc_lo, 0, v113
	v_min_u32_e32 v103, 32, v103
	v_subrev_nc_u32_e32 v112, 29, v103
	v_sub_nc_u32_e32 v103, 30, v103
	v_lshlrev_b32_e32 v112, v112, v10
	v_cndmask_b32_e32 v103, v113, v103, vcc_lo
	v_and_b32_e32 v112, 3, v112
	v_lshl_add_u32 v103, v103, 23, 0x37800000
	v_cndmask_b32_e32 v102, v102, v112, vcc_lo
	v_and_b32_e32 v112, 0x80000000, v114
	s_and_b32 vcc_lo, exec_lo, s28
	v_lshlrev_b32_e32 v102, 21, v102
	v_or3_b32 v102, v112, v103, v102
                                        ; implicit-def: $vgpr103
	s_cbranch_vccz .LBB2_2833
; %bb.2820:                             ;   in Loop: Header=BB2_2819 Depth=2
	s_mov_b32 s12, 0
	s_and_saveexec_b32 s40, s29
	s_xor_b32 s29, exec_lo, s40
	s_cbranch_execz .LBB2_3393
; %bb.2821:                             ;   in Loop: Header=BB2_2819 Depth=2
	v_cmp_eq_u16_sdwa s41, v14, v85 src0_sel:BYTE_0 src1_sel:DWORD
	s_mov_b32 s12, -1
	s_and_saveexec_b32 s40, s41
; %bb.2822:                             ;   in Loop: Header=BB2_2819 Depth=2
	s_xor_b32 s12, exec_lo, -1
; %bb.2823:                             ;   in Loop: Header=BB2_2819 Depth=2
	s_or_b32 exec_lo, exec_lo, s40
	s_and_b32 s12, s12, exec_lo
	s_or_saveexec_b32 s29, s29
	v_mov_b32_e32 v103, 0x7f800001
	s_xor_b32 exec_lo, exec_lo, s29
	s_cbranch_execnz .LBB2_3394
.LBB2_2824:                             ;   in Loop: Header=BB2_2819 Depth=2
	s_or_b32 exec_lo, exec_lo, s29
	s_and_saveexec_b32 s29, s12
	s_cbranch_execz .LBB2_2826
.LBB2_2825:                             ;   in Loop: Header=BB2_2819 Depth=2
	v_and_b32_e32 v103, 3, v14
	v_bfe_u32 v114, v14, 2, 5
	v_lshlrev_b32_e32 v115, 24, v14
	v_ffbh_u32_e32 v112, v103
	v_cmp_eq_u32_e32 vcc_lo, 0, v114
	v_min_u32_e32 v112, 32, v112
	v_subrev_nc_u32_e32 v113, 29, v112
	v_sub_nc_u32_e32 v112, 30, v112
	v_lshlrev_b32_e32 v113, v113, v14
	v_cndmask_b32_e32 v112, v114, v112, vcc_lo
	v_and_b32_e32 v113, 3, v113
	v_lshl_add_u32 v112, v112, 23, 0x37800000
	v_cndmask_b32_e32 v103, v103, v113, vcc_lo
	v_and_b32_e32 v113, 0x80000000, v115
	v_lshlrev_b32_e32 v103, 21, v103
	v_or3_b32 v103, v113, v112, v103
.LBB2_2826:                             ;   in Loop: Header=BB2_2819 Depth=2
	s_or_b32 exec_lo, exec_lo, s29
	v_cmp_gt_i16_sdwa s29, v10, v84 src0_sel:BYTE_0 src1_sel:DWORD
	s_mov_b32 s12, 0
	s_and_saveexec_b32 s40, s29
	s_xor_b32 s29, exec_lo, s40
	s_cbranch_execz .LBB2_3395
; %bb.2827:                             ;   in Loop: Header=BB2_2819 Depth=2
	v_cmp_eq_u16_sdwa s41, v10, v85 src0_sel:BYTE_0 src1_sel:DWORD
	s_mov_b32 s12, -1
	s_and_saveexec_b32 s40, s41
; %bb.2828:                             ;   in Loop: Header=BB2_2819 Depth=2
	s_xor_b32 s12, exec_lo, -1
; %bb.2829:                             ;   in Loop: Header=BB2_2819 Depth=2
	s_or_b32 exec_lo, exec_lo, s40
	s_and_b32 s12, s12, exec_lo
	s_or_saveexec_b32 s29, s29
	v_mov_b32_e32 v112, 0x7f800001
	s_xor_b32 exec_lo, exec_lo, s29
	s_cbranch_execnz .LBB2_3396
.LBB2_2830:                             ;   in Loop: Header=BB2_2819 Depth=2
	s_or_b32 exec_lo, exec_lo, s29
	s_and_saveexec_b32 s29, s12
.LBB2_2831:                             ;   in Loop: Header=BB2_2819 Depth=2
	v_mov_b32_e32 v112, v102
.LBB2_2832:                             ;   in Loop: Header=BB2_2819 Depth=2
	s_or_b32 exec_lo, exec_lo, s29
	v_max_f32_e32 v112, v112, v112
	v_max_f32_e32 v103, v103, v103
	s_mov_b32 s12, 0
	v_max_f32_e32 v103, v103, v112
.LBB2_2833:                             ;   in Loop: Header=BB2_2819 Depth=2
	s_and_b32 vcc_lo, exec_lo, s12
	s_cbranch_vccz .LBB2_2847
; %bb.2834:                             ;   in Loop: Header=BB2_2819 Depth=2
	v_cmp_gt_i16_sdwa s29, v14, v84 src0_sel:BYTE_0 src1_sel:DWORD
	s_mov_b32 s12, 0
	s_and_saveexec_b32 s40, s29
	s_xor_b32 s29, exec_lo, s40
	s_cbranch_execz .LBB2_3397
; %bb.2835:                             ;   in Loop: Header=BB2_2819 Depth=2
	v_cmp_eq_u16_sdwa s41, v14, v85 src0_sel:BYTE_0 src1_sel:DWORD
	s_mov_b32 s12, -1
	s_and_saveexec_b32 s40, s41
; %bb.2836:                             ;   in Loop: Header=BB2_2819 Depth=2
	s_xor_b32 s12, exec_lo, -1
; %bb.2837:                             ;   in Loop: Header=BB2_2819 Depth=2
	s_or_b32 exec_lo, exec_lo, s40
	s_and_b32 s12, s12, exec_lo
	s_or_saveexec_b32 s29, s29
	v_mov_b32_e32 v103, 0x7f800001
	s_xor_b32 exec_lo, exec_lo, s29
	s_cbranch_execnz .LBB2_3398
.LBB2_2838:                             ;   in Loop: Header=BB2_2819 Depth=2
	s_or_b32 exec_lo, exec_lo, s29
	s_and_saveexec_b32 s29, s12
	s_cbranch_execz .LBB2_2840
.LBB2_2839:                             ;   in Loop: Header=BB2_2819 Depth=2
	v_and_b32_e32 v103, 3, v14
	v_bfe_u32 v114, v14, 2, 5
	v_lshlrev_b32_e32 v115, 24, v14
	v_ffbh_u32_e32 v112, v103
	v_cmp_eq_u32_e32 vcc_lo, 0, v114
	v_min_u32_e32 v112, 32, v112
	v_subrev_nc_u32_e32 v113, 29, v112
	v_sub_nc_u32_e32 v112, 30, v112
	v_lshlrev_b32_e32 v113, v113, v14
	v_cndmask_b32_e32 v112, v114, v112, vcc_lo
	v_and_b32_e32 v113, 3, v113
	v_lshl_add_u32 v112, v112, 23, 0x37800000
	v_cndmask_b32_e32 v103, v103, v113, vcc_lo
	v_and_b32_e32 v113, 0x80000000, v115
	v_lshlrev_b32_e32 v103, 21, v103
	v_or3_b32 v103, v113, v112, v103
.LBB2_2840:                             ;   in Loop: Header=BB2_2819 Depth=2
	s_or_b32 exec_lo, exec_lo, s29
	v_cmp_gt_i16_sdwa s29, v10, v84 src0_sel:BYTE_0 src1_sel:DWORD
	s_mov_b32 s12, 0
	s_and_saveexec_b32 s40, s29
	s_xor_b32 s29, exec_lo, s40
	s_cbranch_execz .LBB2_3399
; %bb.2841:                             ;   in Loop: Header=BB2_2819 Depth=2
	v_cmp_eq_u16_sdwa s41, v10, v85 src0_sel:BYTE_0 src1_sel:DWORD
	s_mov_b32 s12, -1
	s_and_saveexec_b32 s40, s41
; %bb.2842:                             ;   in Loop: Header=BB2_2819 Depth=2
	s_xor_b32 s12, exec_lo, -1
; %bb.2843:                             ;   in Loop: Header=BB2_2819 Depth=2
	s_or_b32 exec_lo, exec_lo, s40
	s_and_b32 s12, s12, exec_lo
	s_or_saveexec_b32 s29, s29
	v_mov_b32_e32 v112, 0x7f800001
	s_xor_b32 exec_lo, exec_lo, s29
	s_cbranch_execnz .LBB2_3400
.LBB2_2844:                             ;   in Loop: Header=BB2_2819 Depth=2
	s_or_b32 exec_lo, exec_lo, s29
	s_and_saveexec_b32 s29, s12
.LBB2_2845:                             ;   in Loop: Header=BB2_2819 Depth=2
	v_mov_b32_e32 v112, v102
.LBB2_2846:                             ;   in Loop: Header=BB2_2819 Depth=2
	s_or_b32 exec_lo, exec_lo, s29
	v_max_f32_e32 v102, v112, v112
	v_max_f32_e32 v103, v103, v103
	v_min_f32_e32 v103, v103, v102
.LBB2_2847:                             ;   in Loop: Header=BB2_2819 Depth=2
	v_and_b32_e32 v102, 0x7f800000, v103
	v_cmp_ne_u32_e32 vcc_lo, 0x7f800000, v102
	v_mov_b32_e32 v102, 0x80
	s_and_saveexec_b32 s29, vcc_lo
	s_cbranch_execz .LBB2_2855
; %bb.2848:                             ;   in Loop: Header=BB2_2819 Depth=2
	v_mov_b32_e32 v102, 0
	s_mov_b32 s40, exec_lo
	v_cmpx_ne_u32_e32 0, v103
	s_cbranch_execz .LBB2_2854
; %bb.2849:                             ;   in Loop: Header=BB2_2819 Depth=2
	v_bfe_u32 v102, v103, 23, 8
	v_and_b32_e32 v112, 0x7fffff, v103
	v_sub_nc_u32_e32 v113, 0x70, v102
	v_cmp_gt_u32_e32 vcc_lo, 0x71, v102
	v_or_b32_e32 v114, 0x800000, v112
	v_cndmask_b32_e32 v113, 0, v113, vcc_lo
	v_cmp_eq_u32_e32 vcc_lo, 0, v102
	v_add_nc_u32_e32 v102, 0xffffff91, v102
	v_cndmask_b32_e64 v113, v113, 0x6f, vcc_lo
	v_cndmask_b32_e32 v112, v114, v112, vcc_lo
	v_cndmask_b32_e64 v102, v102, 0xffffff92, vcc_lo
	v_lshl_add_u32 v114, 0x200000, v113, -1
	v_lshrrev_b32_e32 v115, v113, v112
	v_lshlrev_b32_e64 v117, v113, 0x100000
	v_add_nc_u32_e32 v113, v113, v102
	v_and_b32_e32 v112, v114, v112
	v_bfe_u32 v116, v115, 21, 1
	v_cmp_eq_u32_e64 s12, v112, v117
	v_add_nc_u32_e32 v114, -1, v116
	v_cndmask_b32_e64 v112, 0, v114, s12
	v_lshrrev_b32_e32 v114, 23, v115
	s_mov_b32 s12, exec_lo
	v_add_nc_u32_e32 v112, v112, v115
	v_xor_b32_e32 v114, 1, v114
	v_and_b32_e32 v102, 0x1fffff, v112
	v_add_nc_u32_e32 v112, v102, v115
                                        ; implicit-def: $vgpr102
	v_cmpx_ne_u32_e64 v113, v114
	s_xor_b32 s12, exec_lo, s12
; %bb.2850:                             ;   in Loop: Header=BB2_2819 Depth=2
	v_cmp_lt_u32_e32 vcc_lo, 0xffffff, v112
	v_sub_nc_u32_e32 v102, v113, v114
	v_cndmask_b32_e64 v113, 0, 1, vcc_lo
	v_add_co_ci_u32_e64 v102, null, 0, v102, vcc_lo
	v_lshrrev_b32_e32 v112, v113, v112
; %bb.2851:                             ;   in Loop: Header=BB2_2819 Depth=2
	s_andn2_saveexec_b32 s12, s12
; %bb.2852:                             ;   in Loop: Header=BB2_2819 Depth=2
	v_bfe_u32 v102, v112, 23, 1
; %bb.2853:                             ;   in Loop: Header=BB2_2819 Depth=2
	s_or_b32 exec_lo, exec_lo, s12
	v_lshrrev_b32_e32 v112, 21, v112
	v_min_i32_e32 v113, 31, v102
	v_cmp_gt_i32_e32 vcc_lo, 32, v102
	v_and_b32_sdwa v103, v103, v85 dst_sel:DWORD dst_unused:UNUSED_PAD src0_sel:BYTE_3 src1_sel:DWORD
	v_lshlrev_b32_e32 v113, 2, v113
	v_cndmask_b32_e32 v112, 3, v112, vcc_lo
	v_and_b32_e32 v113, 0xfc, v113
	v_and_b32_e32 v114, 3, v112
	v_or_b32_e32 v102, v102, v112
	v_or3_b32 v103, v113, v103, v114
	v_cmp_ne_u32_e32 vcc_lo, 0, v102
	v_cndmask_b32_e32 v102, 0, v103, vcc_lo
.LBB2_2854:                             ;   in Loop: Header=BB2_2819 Depth=2
	s_or_b32 exec_lo, exec_lo, s40
.LBB2_2855:                             ;   in Loop: Header=BB2_2819 Depth=2
	s_or_b32 exec_lo, exec_lo, s29
	v_and_b32_sdwa v103, v86, v10 dst_sel:DWORD dst_unused:UNUSED_PAD src0_sel:DWORD src1_sel:BYTE_1
	v_cmp_gt_i16_sdwa s29, v14, v84 src0_sel:BYTE_1 src1_sel:DWORD
	s_mov_b32 s12, -1
	v_and_b32_e32 v112, 3, v103
	v_bfe_u32 v115, v103, 2, 5
	v_ffbh_u32_e32 v113, v112
	v_cmp_eq_u32_e32 vcc_lo, 0, v115
	v_min_u32_e32 v113, 32, v113
	v_subrev_nc_u32_e32 v114, 29, v113
	v_sub_nc_u32_e32 v113, 30, v113
	v_lshlrev_b32_e32 v103, v114, v103
	v_lshlrev_b32_sdwa v114, v87, v10 dst_sel:DWORD dst_unused:UNUSED_PAD src0_sel:DWORD src1_sel:BYTE_1
	v_cndmask_b32_e32 v113, v115, v113, vcc_lo
	v_and_b32_e32 v103, 3, v103
	v_lshl_add_u32 v113, v113, 23, 0x37800000
	v_cndmask_b32_e32 v103, v112, v103, vcc_lo
	v_and_b32_e32 v112, 0x80000000, v114
	s_and_b32 vcc_lo, exec_lo, s28
	v_lshlrev_b32_e32 v103, 21, v103
	v_or3_b32 v103, v112, v113, v103
                                        ; implicit-def: $vgpr112
	s_cbranch_vccz .LBB2_2869
; %bb.2856:                             ;   in Loop: Header=BB2_2819 Depth=2
	s_mov_b32 s12, 0
	s_and_saveexec_b32 s40, s29
	s_xor_b32 s29, exec_lo, s40
	s_cbranch_execz .LBB2_3401
; %bb.2857:                             ;   in Loop: Header=BB2_2819 Depth=2
	v_cmp_eq_u16_sdwa s41, v14, v85 src0_sel:BYTE_1 src1_sel:DWORD
	s_mov_b32 s12, -1
	s_and_saveexec_b32 s40, s41
; %bb.2858:                             ;   in Loop: Header=BB2_2819 Depth=2
	s_xor_b32 s12, exec_lo, -1
; %bb.2859:                             ;   in Loop: Header=BB2_2819 Depth=2
	s_or_b32 exec_lo, exec_lo, s40
	s_and_b32 s12, s12, exec_lo
	s_or_saveexec_b32 s29, s29
	v_mov_b32_e32 v112, 0x7f800001
	s_xor_b32 exec_lo, exec_lo, s29
	s_cbranch_execnz .LBB2_3402
.LBB2_2860:                             ;   in Loop: Header=BB2_2819 Depth=2
	s_or_b32 exec_lo, exec_lo, s29
	s_and_saveexec_b32 s29, s12
	s_cbranch_execz .LBB2_2862
.LBB2_2861:                             ;   in Loop: Header=BB2_2819 Depth=2
	v_and_b32_sdwa v112, v86, v14 dst_sel:DWORD dst_unused:UNUSED_PAD src0_sel:DWORD src1_sel:BYTE_1
	v_and_b32_e32 v113, 3, v112
	v_bfe_u32 v116, v112, 2, 5
	v_ffbh_u32_e32 v114, v113
	v_cmp_eq_u32_e32 vcc_lo, 0, v116
	v_min_u32_e32 v114, 32, v114
	v_subrev_nc_u32_e32 v115, 29, v114
	v_sub_nc_u32_e32 v114, 30, v114
	v_lshlrev_b32_e32 v112, v115, v112
	v_lshlrev_b32_e32 v115, 16, v14
	v_cndmask_b32_e32 v114, v116, v114, vcc_lo
	v_and_b32_e32 v112, 3, v112
	v_lshl_add_u32 v114, v114, 23, 0x37800000
	v_cndmask_b32_e32 v112, v113, v112, vcc_lo
	v_and_b32_e32 v113, 0x80000000, v115
	v_lshlrev_b32_e32 v112, 21, v112
	v_or3_b32 v112, v113, v114, v112
.LBB2_2862:                             ;   in Loop: Header=BB2_2819 Depth=2
	s_or_b32 exec_lo, exec_lo, s29
	v_cmp_gt_i16_sdwa s29, v10, v84 src0_sel:BYTE_1 src1_sel:DWORD
	s_mov_b32 s12, 0
	s_and_saveexec_b32 s40, s29
	s_xor_b32 s29, exec_lo, s40
	s_cbranch_execz .LBB2_3403
; %bb.2863:                             ;   in Loop: Header=BB2_2819 Depth=2
	v_cmp_eq_u16_sdwa s41, v10, v85 src0_sel:BYTE_1 src1_sel:DWORD
	s_mov_b32 s12, -1
	s_and_saveexec_b32 s40, s41
; %bb.2864:                             ;   in Loop: Header=BB2_2819 Depth=2
	s_xor_b32 s12, exec_lo, -1
; %bb.2865:                             ;   in Loop: Header=BB2_2819 Depth=2
	s_or_b32 exec_lo, exec_lo, s40
	s_and_b32 s12, s12, exec_lo
	s_or_saveexec_b32 s29, s29
	v_mov_b32_e32 v113, 0x7f800001
	s_xor_b32 exec_lo, exec_lo, s29
	s_cbranch_execnz .LBB2_3404
.LBB2_2866:                             ;   in Loop: Header=BB2_2819 Depth=2
	s_or_b32 exec_lo, exec_lo, s29
	s_and_saveexec_b32 s29, s12
.LBB2_2867:                             ;   in Loop: Header=BB2_2819 Depth=2
	v_mov_b32_e32 v113, v103
.LBB2_2868:                             ;   in Loop: Header=BB2_2819 Depth=2
	s_or_b32 exec_lo, exec_lo, s29
	v_max_f32_e32 v113, v113, v113
	v_max_f32_e32 v112, v112, v112
	s_mov_b32 s12, 0
	v_max_f32_e32 v112, v112, v113
.LBB2_2869:                             ;   in Loop: Header=BB2_2819 Depth=2
	s_and_b32 vcc_lo, exec_lo, s12
	s_cbranch_vccz .LBB2_2883
; %bb.2870:                             ;   in Loop: Header=BB2_2819 Depth=2
	v_cmp_gt_i16_sdwa s29, v14, v84 src0_sel:BYTE_1 src1_sel:DWORD
	s_mov_b32 s12, 0
	s_and_saveexec_b32 s40, s29
	s_xor_b32 s29, exec_lo, s40
	s_cbranch_execz .LBB2_3405
; %bb.2871:                             ;   in Loop: Header=BB2_2819 Depth=2
	v_cmp_eq_u16_sdwa s41, v14, v85 src0_sel:BYTE_1 src1_sel:DWORD
	s_mov_b32 s12, -1
	s_and_saveexec_b32 s40, s41
; %bb.2872:                             ;   in Loop: Header=BB2_2819 Depth=2
	s_xor_b32 s12, exec_lo, -1
; %bb.2873:                             ;   in Loop: Header=BB2_2819 Depth=2
	s_or_b32 exec_lo, exec_lo, s40
	s_and_b32 s12, s12, exec_lo
	s_or_saveexec_b32 s29, s29
	v_mov_b32_e32 v112, 0x7f800001
	s_xor_b32 exec_lo, exec_lo, s29
	s_cbranch_execnz .LBB2_3406
.LBB2_2874:                             ;   in Loop: Header=BB2_2819 Depth=2
	s_or_b32 exec_lo, exec_lo, s29
	s_and_saveexec_b32 s29, s12
	s_cbranch_execz .LBB2_2876
.LBB2_2875:                             ;   in Loop: Header=BB2_2819 Depth=2
	v_and_b32_sdwa v112, v86, v14 dst_sel:DWORD dst_unused:UNUSED_PAD src0_sel:DWORD src1_sel:BYTE_1
	v_and_b32_e32 v113, 3, v112
	v_bfe_u32 v116, v112, 2, 5
	v_ffbh_u32_e32 v114, v113
	v_cmp_eq_u32_e32 vcc_lo, 0, v116
	v_min_u32_e32 v114, 32, v114
	v_subrev_nc_u32_e32 v115, 29, v114
	v_sub_nc_u32_e32 v114, 30, v114
	v_lshlrev_b32_e32 v112, v115, v112
	v_lshlrev_b32_e32 v115, 16, v14
	v_cndmask_b32_e32 v114, v116, v114, vcc_lo
	v_and_b32_e32 v112, 3, v112
	v_lshl_add_u32 v114, v114, 23, 0x37800000
	v_cndmask_b32_e32 v112, v113, v112, vcc_lo
	v_and_b32_e32 v113, 0x80000000, v115
	v_lshlrev_b32_e32 v112, 21, v112
	v_or3_b32 v112, v113, v114, v112
.LBB2_2876:                             ;   in Loop: Header=BB2_2819 Depth=2
	s_or_b32 exec_lo, exec_lo, s29
	v_cmp_gt_i16_sdwa s29, v10, v84 src0_sel:BYTE_1 src1_sel:DWORD
	s_mov_b32 s12, 0
	s_and_saveexec_b32 s40, s29
	s_xor_b32 s29, exec_lo, s40
	s_cbranch_execz .LBB2_3407
; %bb.2877:                             ;   in Loop: Header=BB2_2819 Depth=2
	v_cmp_eq_u16_sdwa s41, v10, v85 src0_sel:BYTE_1 src1_sel:DWORD
	s_mov_b32 s12, -1
	s_and_saveexec_b32 s40, s41
; %bb.2878:                             ;   in Loop: Header=BB2_2819 Depth=2
	s_xor_b32 s12, exec_lo, -1
; %bb.2879:                             ;   in Loop: Header=BB2_2819 Depth=2
	s_or_b32 exec_lo, exec_lo, s40
	s_and_b32 s12, s12, exec_lo
	s_or_saveexec_b32 s29, s29
	v_mov_b32_e32 v113, 0x7f800001
	s_xor_b32 exec_lo, exec_lo, s29
	s_cbranch_execnz .LBB2_3408
.LBB2_2880:                             ;   in Loop: Header=BB2_2819 Depth=2
	s_or_b32 exec_lo, exec_lo, s29
	s_and_saveexec_b32 s29, s12
.LBB2_2881:                             ;   in Loop: Header=BB2_2819 Depth=2
	v_mov_b32_e32 v113, v103
.LBB2_2882:                             ;   in Loop: Header=BB2_2819 Depth=2
	s_or_b32 exec_lo, exec_lo, s29
	v_max_f32_e32 v103, v113, v113
	v_max_f32_e32 v112, v112, v112
	v_min_f32_e32 v112, v112, v103
.LBB2_2883:                             ;   in Loop: Header=BB2_2819 Depth=2
	v_and_b32_e32 v103, 0x7f800000, v112
	v_cmp_ne_u32_e32 vcc_lo, 0x7f800000, v103
	v_mov_b32_e32 v103, 0x8000
	s_and_saveexec_b32 s29, vcc_lo
	s_cbranch_execz .LBB2_2891
; %bb.2884:                             ;   in Loop: Header=BB2_2819 Depth=2
	v_mov_b32_e32 v103, 0
	s_mov_b32 s40, exec_lo
	v_cmpx_ne_u32_e32 0, v112
	s_cbranch_execz .LBB2_2890
; %bb.2885:                             ;   in Loop: Header=BB2_2819 Depth=2
	v_bfe_u32 v103, v112, 23, 8
	v_and_b32_e32 v113, 0x7fffff, v112
	v_sub_nc_u32_e32 v114, 0x70, v103
	v_cmp_gt_u32_e32 vcc_lo, 0x71, v103
	v_or_b32_e32 v115, 0x800000, v113
	v_cndmask_b32_e32 v114, 0, v114, vcc_lo
	v_cmp_eq_u32_e32 vcc_lo, 0, v103
	v_add_nc_u32_e32 v103, 0xffffff91, v103
	v_cndmask_b32_e64 v114, v114, 0x6f, vcc_lo
	v_cndmask_b32_e32 v113, v115, v113, vcc_lo
	v_cndmask_b32_e64 v103, v103, 0xffffff92, vcc_lo
	v_lshl_add_u32 v115, 0x200000, v114, -1
	v_lshrrev_b32_e32 v116, v114, v113
	v_lshlrev_b32_e64 v118, v114, 0x100000
	v_add_nc_u32_e32 v114, v114, v103
	v_and_b32_e32 v113, v115, v113
	v_bfe_u32 v117, v116, 21, 1
	v_cmp_eq_u32_e64 s12, v113, v118
	v_add_nc_u32_e32 v115, -1, v117
	v_cndmask_b32_e64 v113, 0, v115, s12
	v_lshrrev_b32_e32 v115, 23, v116
	s_mov_b32 s12, exec_lo
	v_add_nc_u32_e32 v113, v113, v116
	v_xor_b32_e32 v115, 1, v115
	v_and_b32_e32 v103, 0x1fffff, v113
	v_add_nc_u32_e32 v113, v103, v116
                                        ; implicit-def: $vgpr103
	v_cmpx_ne_u32_e64 v114, v115
	s_xor_b32 s12, exec_lo, s12
; %bb.2886:                             ;   in Loop: Header=BB2_2819 Depth=2
	v_cmp_lt_u32_e32 vcc_lo, 0xffffff, v113
	v_sub_nc_u32_e32 v103, v114, v115
	v_cndmask_b32_e64 v114, 0, 1, vcc_lo
	v_add_co_ci_u32_e64 v103, null, 0, v103, vcc_lo
	v_lshrrev_b32_e32 v113, v114, v113
; %bb.2887:                             ;   in Loop: Header=BB2_2819 Depth=2
	s_andn2_saveexec_b32 s12, s12
; %bb.2888:                             ;   in Loop: Header=BB2_2819 Depth=2
	v_bfe_u32 v103, v113, 23, 1
; %bb.2889:                             ;   in Loop: Header=BB2_2819 Depth=2
	s_or_b32 exec_lo, exec_lo, s12
	v_lshrrev_b32_e32 v113, 21, v113
	v_min_i32_e32 v114, 31, v103
	v_cmp_gt_i32_e32 vcc_lo, 32, v103
	v_and_b32_sdwa v112, v112, v85 dst_sel:DWORD dst_unused:UNUSED_PAD src0_sel:BYTE_3 src1_sel:DWORD
	v_lshlrev_b32_e32 v114, 2, v114
	v_cndmask_b32_e32 v113, 3, v113, vcc_lo
	v_and_b32_e32 v114, 0xfc, v114
	v_and_b32_e32 v115, 3, v113
	v_or_b32_e32 v103, v103, v113
	v_or3_b32 v112, v112, v114, v115
	v_cmp_ne_u32_e32 vcc_lo, 0, v103
	v_lshlrev_b32_e32 v112, 8, v112
	v_cndmask_b32_e32 v103, 0, v112, vcc_lo
.LBB2_2890:                             ;   in Loop: Header=BB2_2819 Depth=2
	s_or_b32 exec_lo, exec_lo, s40
.LBB2_2891:                             ;   in Loop: Header=BB2_2819 Depth=2
	s_or_b32 exec_lo, exec_lo, s29
	v_bfe_u32 v112, v10, 16, 2
	v_bfe_u32 v115, v10, 18, 5
	v_lshlrev_b32_e32 v116, 8, v10
	s_mov_b32 s29, -1
	v_ffbh_u32_e32 v113, v112
	v_cmp_eq_u32_e32 vcc_lo, 0, v115
	v_min_u32_e32 v113, 32, v113
	v_subrev_nc_u32_e32 v114, 29, v113
	v_sub_nc_u32_e32 v113, 30, v113
	v_lshlrev_b32_sdwa v114, v114, v10 dst_sel:DWORD dst_unused:UNUSED_PAD src0_sel:DWORD src1_sel:WORD_1
	v_cndmask_b32_e32 v113, v115, v113, vcc_lo
	v_and_b32_e32 v114, 3, v114
	v_lshl_add_u32 v115, v113, 23, 0x37800000
	v_and_b32_sdwa v113, v14, v96 dst_sel:DWORD dst_unused:UNUSED_PAD src0_sel:WORD_1 src1_sel:DWORD
	v_cndmask_b32_e32 v112, v112, v114, vcc_lo
	v_and_b32_e32 v114, 0x80000000, v116
	v_cmp_lt_i16_e64 s12, 0x7f, v113
	s_and_b32 vcc_lo, exec_lo, s28
	v_lshlrev_b32_e32 v112, 21, v112
	v_or3_b32 v112, v114, v115, v112
                                        ; implicit-def: $vgpr114
	s_cbranch_vccz .LBB2_2905
; %bb.2892:                             ;   in Loop: Header=BB2_2819 Depth=2
	s_mov_b32 s29, 0
	s_and_saveexec_b32 s40, s12
	s_xor_b32 s12, exec_lo, s40
	s_cbranch_execz .LBB2_3409
; %bb.2893:                             ;   in Loop: Header=BB2_2819 Depth=2
	s_mov_b32 s29, -1
	s_mov_b32 s40, exec_lo
	v_cmpx_eq_u16_e32 0x80, v113
; %bb.2894:                             ;   in Loop: Header=BB2_2819 Depth=2
	s_xor_b32 s29, exec_lo, -1
; %bb.2895:                             ;   in Loop: Header=BB2_2819 Depth=2
	s_or_b32 exec_lo, exec_lo, s40
	s_and_b32 s29, s29, exec_lo
	s_or_saveexec_b32 s12, s12
	v_mov_b32_e32 v114, 0x7f800001
	s_xor_b32 exec_lo, exec_lo, s12
	s_cbranch_execnz .LBB2_3410
.LBB2_2896:                             ;   in Loop: Header=BB2_2819 Depth=2
	s_or_b32 exec_lo, exec_lo, s12
	s_and_saveexec_b32 s12, s29
	s_cbranch_execz .LBB2_2898
.LBB2_2897:                             ;   in Loop: Header=BB2_2819 Depth=2
	v_bfe_u32 v114, v14, 16, 2
	v_bfe_u32 v117, v14, 18, 5
	v_lshlrev_b32_sdwa v118, v87, v14 dst_sel:DWORD dst_unused:UNUSED_PAD src0_sel:DWORD src1_sel:WORD_1
	v_ffbh_u32_e32 v115, v114
	v_cmp_eq_u32_e32 vcc_lo, 0, v117
	v_min_u32_e32 v115, 32, v115
	v_subrev_nc_u32_e32 v116, 29, v115
	v_sub_nc_u32_e32 v115, 30, v115
	v_lshlrev_b32_sdwa v116, v116, v14 dst_sel:DWORD dst_unused:UNUSED_PAD src0_sel:DWORD src1_sel:WORD_1
	v_cndmask_b32_e32 v115, v117, v115, vcc_lo
	v_and_b32_e32 v116, 3, v116
	v_lshl_add_u32 v115, v115, 23, 0x37800000
	v_cndmask_b32_e32 v114, v114, v116, vcc_lo
	v_and_b32_e32 v116, 0x80000000, v118
	v_lshlrev_b32_e32 v114, 21, v114
	v_or3_b32 v114, v116, v115, v114
.LBB2_2898:                             ;   in Loop: Header=BB2_2819 Depth=2
	s_or_b32 exec_lo, exec_lo, s12
	v_and_b32_sdwa v116, v10, v96 dst_sel:DWORD dst_unused:UNUSED_PAD src0_sel:WORD_1 src1_sel:DWORD
	s_mov_b32 s12, 0
	s_mov_b32 s29, exec_lo
	v_cmpx_lt_i16_e32 0x7f, v116
	s_xor_b32 s29, exec_lo, s29
	s_cbranch_execz .LBB2_3411
; %bb.2899:                             ;   in Loop: Header=BB2_2819 Depth=2
	s_mov_b32 s12, -1
	s_mov_b32 s40, exec_lo
	v_cmpx_eq_u16_e32 0x80, v116
; %bb.2900:                             ;   in Loop: Header=BB2_2819 Depth=2
	s_xor_b32 s12, exec_lo, -1
; %bb.2901:                             ;   in Loop: Header=BB2_2819 Depth=2
	s_or_b32 exec_lo, exec_lo, s40
	s_and_b32 s12, s12, exec_lo
                                        ; implicit-def: $vgpr116
	s_or_saveexec_b32 s29, s29
	v_mov_b32_e32 v115, 0x7f800001
	s_xor_b32 exec_lo, exec_lo, s29
	s_cbranch_execnz .LBB2_3412
.LBB2_2902:                             ;   in Loop: Header=BB2_2819 Depth=2
	s_or_b32 exec_lo, exec_lo, s29
	s_and_saveexec_b32 s29, s12
.LBB2_2903:                             ;   in Loop: Header=BB2_2819 Depth=2
	v_mov_b32_e32 v115, v112
.LBB2_2904:                             ;   in Loop: Header=BB2_2819 Depth=2
	s_or_b32 exec_lo, exec_lo, s29
	v_max_f32_e32 v115, v115, v115
	v_max_f32_e32 v114, v114, v114
	s_mov_b32 s29, 0
	v_max_f32_e32 v114, v114, v115
.LBB2_2905:                             ;   in Loop: Header=BB2_2819 Depth=2
	s_and_b32 vcc_lo, exec_lo, s29
	s_cbranch_vccz .LBB2_2919
; %bb.2906:                             ;   in Loop: Header=BB2_2819 Depth=2
	s_mov_b32 s12, 0
	s_mov_b32 s29, exec_lo
	v_cmpx_lt_i16_e32 0x7f, v113
	s_xor_b32 s29, exec_lo, s29
	s_cbranch_execz .LBB2_3413
; %bb.2907:                             ;   in Loop: Header=BB2_2819 Depth=2
	s_mov_b32 s12, -1
	s_mov_b32 s40, exec_lo
	v_cmpx_eq_u16_e32 0x80, v113
; %bb.2908:                             ;   in Loop: Header=BB2_2819 Depth=2
	s_xor_b32 s12, exec_lo, -1
; %bb.2909:                             ;   in Loop: Header=BB2_2819 Depth=2
	s_or_b32 exec_lo, exec_lo, s40
	s_and_b32 s12, s12, exec_lo
                                        ; implicit-def: $vgpr113
	s_or_saveexec_b32 s29, s29
	v_mov_b32_e32 v114, 0x7f800001
	s_xor_b32 exec_lo, exec_lo, s29
	s_cbranch_execnz .LBB2_3414
.LBB2_2910:                             ;   in Loop: Header=BB2_2819 Depth=2
	s_or_b32 exec_lo, exec_lo, s29
	s_and_saveexec_b32 s29, s12
	s_cbranch_execz .LBB2_2912
.LBB2_2911:                             ;   in Loop: Header=BB2_2819 Depth=2
	v_bfe_u32 v113, v14, 16, 2
	v_bfe_u32 v116, v14, 18, 5
	v_lshlrev_b32_sdwa v117, v87, v14 dst_sel:DWORD dst_unused:UNUSED_PAD src0_sel:DWORD src1_sel:WORD_1
	v_ffbh_u32_e32 v114, v113
	v_cmp_eq_u32_e32 vcc_lo, 0, v116
	v_min_u32_e32 v114, 32, v114
	v_subrev_nc_u32_e32 v115, 29, v114
	v_sub_nc_u32_e32 v114, 30, v114
	v_lshlrev_b32_sdwa v115, v115, v14 dst_sel:DWORD dst_unused:UNUSED_PAD src0_sel:DWORD src1_sel:WORD_1
	v_cndmask_b32_e32 v114, v116, v114, vcc_lo
	v_and_b32_e32 v115, 3, v115
	v_lshl_add_u32 v114, v114, 23, 0x37800000
	v_cndmask_b32_e32 v113, v113, v115, vcc_lo
	v_and_b32_e32 v115, 0x80000000, v117
	v_lshlrev_b32_e32 v113, 21, v113
	v_or3_b32 v114, v115, v114, v113
.LBB2_2912:                             ;   in Loop: Header=BB2_2819 Depth=2
	s_or_b32 exec_lo, exec_lo, s29
	v_and_b32_sdwa v115, v10, v96 dst_sel:DWORD dst_unused:UNUSED_PAD src0_sel:WORD_1 src1_sel:DWORD
	s_mov_b32 s12, 0
	s_mov_b32 s29, exec_lo
	v_cmpx_lt_i16_e32 0x7f, v115
	s_xor_b32 s29, exec_lo, s29
	s_cbranch_execz .LBB2_3415
; %bb.2913:                             ;   in Loop: Header=BB2_2819 Depth=2
	s_mov_b32 s12, -1
	s_mov_b32 s40, exec_lo
	v_cmpx_eq_u16_e32 0x80, v115
; %bb.2914:                             ;   in Loop: Header=BB2_2819 Depth=2
	s_xor_b32 s12, exec_lo, -1
; %bb.2915:                             ;   in Loop: Header=BB2_2819 Depth=2
	s_or_b32 exec_lo, exec_lo, s40
	s_and_b32 s12, s12, exec_lo
                                        ; implicit-def: $vgpr115
	s_or_saveexec_b32 s29, s29
	v_mov_b32_e32 v113, 0x7f800001
	s_xor_b32 exec_lo, exec_lo, s29
	s_cbranch_execnz .LBB2_3416
.LBB2_2916:                             ;   in Loop: Header=BB2_2819 Depth=2
	s_or_b32 exec_lo, exec_lo, s29
	s_and_saveexec_b32 s29, s12
.LBB2_2917:                             ;   in Loop: Header=BB2_2819 Depth=2
	v_mov_b32_e32 v113, v112
.LBB2_2918:                             ;   in Loop: Header=BB2_2819 Depth=2
	s_or_b32 exec_lo, exec_lo, s29
	v_max_f32_e32 v112, v113, v113
	v_max_f32_e32 v113, v114, v114
	v_min_f32_e32 v114, v113, v112
.LBB2_2919:                             ;   in Loop: Header=BB2_2819 Depth=2
	v_and_b32_e32 v112, 0x7f800000, v114
	v_cmp_ne_u32_e32 vcc_lo, 0x7f800000, v112
	v_mov_b32_e32 v112, 0x80
	s_and_saveexec_b32 s29, vcc_lo
	s_cbranch_execz .LBB2_2927
; %bb.2920:                             ;   in Loop: Header=BB2_2819 Depth=2
	v_mov_b32_e32 v112, 0
	s_mov_b32 s40, exec_lo
	v_cmpx_ne_u32_e32 0, v114
	s_cbranch_execz .LBB2_2926
; %bb.2921:                             ;   in Loop: Header=BB2_2819 Depth=2
	v_bfe_u32 v112, v114, 23, 8
	v_and_b32_e32 v113, 0x7fffff, v114
	v_sub_nc_u32_e32 v115, 0x70, v112
	v_cmp_gt_u32_e32 vcc_lo, 0x71, v112
	v_or_b32_e32 v116, 0x800000, v113
	v_cndmask_b32_e32 v115, 0, v115, vcc_lo
	v_cmp_eq_u32_e32 vcc_lo, 0, v112
	v_add_nc_u32_e32 v112, 0xffffff91, v112
	v_cndmask_b32_e64 v115, v115, 0x6f, vcc_lo
	v_cndmask_b32_e32 v113, v116, v113, vcc_lo
	v_cndmask_b32_e64 v112, v112, 0xffffff92, vcc_lo
	v_lshl_add_u32 v116, 0x200000, v115, -1
	v_lshrrev_b32_e32 v117, v115, v113
	v_lshlrev_b32_e64 v119, v115, 0x100000
	v_add_nc_u32_e32 v115, v115, v112
	v_and_b32_e32 v113, v116, v113
	v_bfe_u32 v118, v117, 21, 1
	v_cmp_eq_u32_e64 s12, v113, v119
	v_add_nc_u32_e32 v116, -1, v118
	v_cndmask_b32_e64 v113, 0, v116, s12
	v_lshrrev_b32_e32 v116, 23, v117
	s_mov_b32 s12, exec_lo
	v_add_nc_u32_e32 v113, v113, v117
	v_xor_b32_e32 v116, 1, v116
	v_and_b32_e32 v112, 0x1fffff, v113
	v_add_nc_u32_e32 v113, v112, v117
                                        ; implicit-def: $vgpr112
	v_cmpx_ne_u32_e64 v115, v116
	s_xor_b32 s12, exec_lo, s12
; %bb.2922:                             ;   in Loop: Header=BB2_2819 Depth=2
	v_cmp_lt_u32_e32 vcc_lo, 0xffffff, v113
	v_sub_nc_u32_e32 v112, v115, v116
	v_cndmask_b32_e64 v115, 0, 1, vcc_lo
	v_add_co_ci_u32_e64 v112, null, 0, v112, vcc_lo
	v_lshrrev_b32_e32 v113, v115, v113
; %bb.2923:                             ;   in Loop: Header=BB2_2819 Depth=2
	s_andn2_saveexec_b32 s12, s12
; %bb.2924:                             ;   in Loop: Header=BB2_2819 Depth=2
	v_bfe_u32 v112, v113, 23, 1
; %bb.2925:                             ;   in Loop: Header=BB2_2819 Depth=2
	s_or_b32 exec_lo, exec_lo, s12
	v_lshrrev_b32_e32 v113, 21, v113
	v_min_i32_e32 v115, 31, v112
	v_cmp_gt_i32_e32 vcc_lo, 32, v112
	v_and_b32_sdwa v114, v114, v85 dst_sel:DWORD dst_unused:UNUSED_PAD src0_sel:BYTE_3 src1_sel:DWORD
	v_lshlrev_b32_e32 v115, 2, v115
	v_cndmask_b32_e32 v113, 3, v113, vcc_lo
	v_and_b32_e32 v115, 0xfc, v115
	v_and_b32_e32 v116, 3, v113
	v_or_b32_e32 v112, v112, v113
	v_or3_b32 v113, v115, v114, v116
	v_cmp_ne_u32_e32 vcc_lo, 0, v112
	v_cndmask_b32_e32 v112, 0, v113, vcc_lo
.LBB2_2926:                             ;   in Loop: Header=BB2_2819 Depth=2
	s_or_b32 exec_lo, exec_lo, s40
.LBB2_2927:                             ;   in Loop: Header=BB2_2819 Depth=2
	s_or_b32 exec_lo, exec_lo, s29
	v_bfe_u32 v113, v10, 24, 2
	v_bfe_u32 v116, v10, 26, 5
	v_cmp_gt_i16_sdwa s29, v14, v84 src0_sel:BYTE_3 src1_sel:DWORD
	s_mov_b32 s12, -1
	v_ffbh_u32_e32 v114, v113
	v_cmp_eq_u32_e32 vcc_lo, 0, v116
	v_min_u32_e32 v114, 32, v114
	v_subrev_nc_u32_e32 v115, 29, v114
	v_sub_nc_u32_e32 v114, 30, v114
	v_lshlrev_b32_sdwa v115, v115, v10 dst_sel:DWORD dst_unused:UNUSED_PAD src0_sel:DWORD src1_sel:BYTE_3
	v_cndmask_b32_e32 v114, v116, v114, vcc_lo
	v_and_b32_e32 v115, 3, v115
	v_lshl_add_u32 v114, v114, 23, 0x37800000
	v_cndmask_b32_e32 v113, v113, v115, vcc_lo
	v_and_b32_e32 v115, 0x80000000, v10
	s_and_b32 vcc_lo, exec_lo, s28
	v_lshlrev_b32_e32 v113, 21, v113
	v_or3_b32 v113, v115, v114, v113
                                        ; implicit-def: $vgpr114
	s_cbranch_vccz .LBB2_2941
; %bb.2928:                             ;   in Loop: Header=BB2_2819 Depth=2
	s_mov_b32 s12, 0
	s_and_saveexec_b32 s40, s29
	s_xor_b32 s29, exec_lo, s40
	s_cbranch_execz .LBB2_3417
; %bb.2929:                             ;   in Loop: Header=BB2_2819 Depth=2
	v_cmp_eq_u16_sdwa s41, v14, v85 src0_sel:BYTE_3 src1_sel:DWORD
	s_mov_b32 s12, -1
	s_and_saveexec_b32 s40, s41
; %bb.2930:                             ;   in Loop: Header=BB2_2819 Depth=2
	s_xor_b32 s12, exec_lo, -1
; %bb.2931:                             ;   in Loop: Header=BB2_2819 Depth=2
	s_or_b32 exec_lo, exec_lo, s40
	s_and_b32 s12, s12, exec_lo
	s_or_saveexec_b32 s29, s29
	v_mov_b32_e32 v114, 0x7f800001
	s_xor_b32 exec_lo, exec_lo, s29
	s_cbranch_execnz .LBB2_3418
.LBB2_2932:                             ;   in Loop: Header=BB2_2819 Depth=2
	s_or_b32 exec_lo, exec_lo, s29
	s_and_saveexec_b32 s29, s12
	s_cbranch_execz .LBB2_2934
.LBB2_2933:                             ;   in Loop: Header=BB2_2819 Depth=2
	v_bfe_u32 v114, v14, 24, 2
	v_bfe_u32 v117, v14, 26, 5
	v_ffbh_u32_e32 v115, v114
	v_cmp_eq_u32_e32 vcc_lo, 0, v117
	v_min_u32_e32 v115, 32, v115
	v_subrev_nc_u32_e32 v116, 29, v115
	v_sub_nc_u32_e32 v115, 30, v115
	v_lshlrev_b32_sdwa v116, v116, v14 dst_sel:DWORD dst_unused:UNUSED_PAD src0_sel:DWORD src1_sel:BYTE_3
	v_cndmask_b32_e32 v115, v117, v115, vcc_lo
	v_and_b32_e32 v116, 3, v116
	v_lshl_add_u32 v115, v115, 23, 0x37800000
	v_cndmask_b32_e32 v114, v114, v116, vcc_lo
	v_and_b32_e32 v116, 0x80000000, v14
	v_lshlrev_b32_e32 v114, 21, v114
	v_or3_b32 v114, v116, v115, v114
.LBB2_2934:                             ;   in Loop: Header=BB2_2819 Depth=2
	s_or_b32 exec_lo, exec_lo, s29
	v_cmp_gt_i16_sdwa s29, v10, v84 src0_sel:BYTE_3 src1_sel:DWORD
	s_mov_b32 s12, 0
	s_and_saveexec_b32 s40, s29
	s_xor_b32 s29, exec_lo, s40
	s_cbranch_execz .LBB2_3419
; %bb.2935:                             ;   in Loop: Header=BB2_2819 Depth=2
	v_cmp_eq_u16_sdwa s41, v10, v85 src0_sel:BYTE_3 src1_sel:DWORD
	s_mov_b32 s12, -1
	s_and_saveexec_b32 s40, s41
; %bb.2936:                             ;   in Loop: Header=BB2_2819 Depth=2
	s_xor_b32 s12, exec_lo, -1
; %bb.2937:                             ;   in Loop: Header=BB2_2819 Depth=2
	s_or_b32 exec_lo, exec_lo, s40
	s_and_b32 s12, s12, exec_lo
	s_or_saveexec_b32 s29, s29
	v_mov_b32_e32 v115, 0x7f800001
	s_xor_b32 exec_lo, exec_lo, s29
	s_cbranch_execnz .LBB2_3420
.LBB2_2938:                             ;   in Loop: Header=BB2_2819 Depth=2
	s_or_b32 exec_lo, exec_lo, s29
	s_and_saveexec_b32 s29, s12
.LBB2_2939:                             ;   in Loop: Header=BB2_2819 Depth=2
	v_mov_b32_e32 v115, v113
.LBB2_2940:                             ;   in Loop: Header=BB2_2819 Depth=2
	s_or_b32 exec_lo, exec_lo, s29
	v_max_f32_e32 v115, v115, v115
	v_max_f32_e32 v114, v114, v114
	s_mov_b32 s12, 0
	v_max_f32_e32 v114, v114, v115
.LBB2_2941:                             ;   in Loop: Header=BB2_2819 Depth=2
	s_and_b32 vcc_lo, exec_lo, s12
	s_cbranch_vccz .LBB2_2955
; %bb.2942:                             ;   in Loop: Header=BB2_2819 Depth=2
	v_cmp_gt_i16_sdwa s29, v14, v84 src0_sel:BYTE_3 src1_sel:DWORD
	s_mov_b32 s12, 0
	s_and_saveexec_b32 s40, s29
	s_xor_b32 s29, exec_lo, s40
	s_cbranch_execz .LBB2_3421
; %bb.2943:                             ;   in Loop: Header=BB2_2819 Depth=2
	v_cmp_eq_u16_sdwa s41, v14, v85 src0_sel:BYTE_3 src1_sel:DWORD
	s_mov_b32 s12, -1
	s_and_saveexec_b32 s40, s41
; %bb.2944:                             ;   in Loop: Header=BB2_2819 Depth=2
	s_xor_b32 s12, exec_lo, -1
; %bb.2945:                             ;   in Loop: Header=BB2_2819 Depth=2
	s_or_b32 exec_lo, exec_lo, s40
	s_and_b32 s12, s12, exec_lo
	s_or_saveexec_b32 s29, s29
	v_mov_b32_e32 v114, 0x7f800001
	s_xor_b32 exec_lo, exec_lo, s29
	s_cbranch_execnz .LBB2_3422
.LBB2_2946:                             ;   in Loop: Header=BB2_2819 Depth=2
	s_or_b32 exec_lo, exec_lo, s29
	s_and_saveexec_b32 s29, s12
	s_cbranch_execz .LBB2_2948
.LBB2_2947:                             ;   in Loop: Header=BB2_2819 Depth=2
	v_bfe_u32 v114, v14, 24, 2
	v_bfe_u32 v117, v14, 26, 5
	v_ffbh_u32_e32 v115, v114
	v_cmp_eq_u32_e32 vcc_lo, 0, v117
	v_min_u32_e32 v115, 32, v115
	v_subrev_nc_u32_e32 v116, 29, v115
	v_sub_nc_u32_e32 v115, 30, v115
	v_lshlrev_b32_sdwa v116, v116, v14 dst_sel:DWORD dst_unused:UNUSED_PAD src0_sel:DWORD src1_sel:BYTE_3
	v_cndmask_b32_e32 v115, v117, v115, vcc_lo
	v_and_b32_e32 v14, 0x80000000, v14
	v_and_b32_e32 v116, 3, v116
	v_lshl_add_u32 v115, v115, 23, 0x37800000
	v_cndmask_b32_e32 v114, v114, v116, vcc_lo
	v_lshlrev_b32_e32 v114, 21, v114
	v_or3_b32 v114, v14, v115, v114
.LBB2_2948:                             ;   in Loop: Header=BB2_2819 Depth=2
	s_or_b32 exec_lo, exec_lo, s29
	v_cmp_gt_i16_sdwa s29, v10, v84 src0_sel:BYTE_3 src1_sel:DWORD
	s_mov_b32 s12, 0
	s_and_saveexec_b32 s40, s29
	s_xor_b32 s29, exec_lo, s40
	s_cbranch_execz .LBB2_3423
; %bb.2949:                             ;   in Loop: Header=BB2_2819 Depth=2
	v_cmp_eq_u16_sdwa s41, v10, v85 src0_sel:BYTE_3 src1_sel:DWORD
	s_mov_b32 s12, -1
	s_and_saveexec_b32 s40, s41
; %bb.2950:                             ;   in Loop: Header=BB2_2819 Depth=2
	s_xor_b32 s12, exec_lo, -1
; %bb.2951:                             ;   in Loop: Header=BB2_2819 Depth=2
	s_or_b32 exec_lo, exec_lo, s40
	s_and_b32 s12, s12, exec_lo
	s_or_saveexec_b32 s29, s29
	v_mov_b32_e32 v14, 0x7f800001
	s_xor_b32 exec_lo, exec_lo, s29
	s_cbranch_execnz .LBB2_3424
.LBB2_2952:                             ;   in Loop: Header=BB2_2819 Depth=2
	s_or_b32 exec_lo, exec_lo, s29
	s_and_saveexec_b32 s29, s12
.LBB2_2953:                             ;   in Loop: Header=BB2_2819 Depth=2
	v_mov_b32_e32 v14, v113
.LBB2_2954:                             ;   in Loop: Header=BB2_2819 Depth=2
	s_or_b32 exec_lo, exec_lo, s29
	v_max_f32_e32 v10, v14, v14
	v_max_f32_e32 v14, v114, v114
	v_min_f32_e32 v114, v14, v10
.LBB2_2955:                             ;   in Loop: Header=BB2_2819 Depth=2
	v_and_b32_e32 v10, 0x7f800000, v114
	v_mov_b32_e32 v14, 0x8000
	s_mov_b32 s29, exec_lo
	v_cmpx_ne_u32_e32 0x7f800000, v10
	s_cbranch_execz .LBB2_2963
; %bb.2956:                             ;   in Loop: Header=BB2_2819 Depth=2
	v_mov_b32_e32 v14, 0
	s_mov_b32 s40, exec_lo
	v_cmpx_ne_u32_e32 0, v114
	s_cbranch_execz .LBB2_2962
; %bb.2957:                             ;   in Loop: Header=BB2_2819 Depth=2
	v_bfe_u32 v10, v114, 23, 8
	v_and_b32_e32 v14, 0x7fffff, v114
	v_sub_nc_u32_e32 v113, 0x70, v10
	v_cmp_gt_u32_e32 vcc_lo, 0x71, v10
	v_or_b32_e32 v115, 0x800000, v14
	v_cndmask_b32_e32 v113, 0, v113, vcc_lo
	v_cmp_eq_u32_e32 vcc_lo, 0, v10
	v_add_nc_u32_e32 v10, 0xffffff91, v10
	v_cndmask_b32_e64 v113, v113, 0x6f, vcc_lo
	v_cndmask_b32_e32 v14, v115, v14, vcc_lo
	v_cndmask_b32_e64 v10, v10, 0xffffff92, vcc_lo
	v_lshl_add_u32 v115, 0x200000, v113, -1
	v_lshrrev_b32_e32 v116, v113, v14
	v_lshlrev_b32_e64 v118, v113, 0x100000
	v_add_nc_u32_e32 v113, v113, v10
	v_and_b32_e32 v14, v115, v14
	v_bfe_u32 v117, v116, 21, 1
	v_cmp_eq_u32_e64 s12, v14, v118
	v_add_nc_u32_e32 v115, -1, v117
	v_cndmask_b32_e64 v14, 0, v115, s12
	v_lshrrev_b32_e32 v115, 23, v116
	s_mov_b32 s12, exec_lo
	v_add_nc_u32_e32 v14, v14, v116
	v_xor_b32_e32 v115, 1, v115
	v_and_b32_e32 v10, 0x1fffff, v14
	v_add_nc_u32_e32 v14, v10, v116
                                        ; implicit-def: $vgpr10
	v_cmpx_ne_u32_e64 v113, v115
	s_xor_b32 s12, exec_lo, s12
; %bb.2958:                             ;   in Loop: Header=BB2_2819 Depth=2
	v_cmp_lt_u32_e32 vcc_lo, 0xffffff, v14
	v_sub_nc_u32_e32 v10, v113, v115
	v_cndmask_b32_e64 v113, 0, 1, vcc_lo
	v_add_co_ci_u32_e64 v10, null, 0, v10, vcc_lo
	v_lshrrev_b32_e32 v14, v113, v14
; %bb.2959:                             ;   in Loop: Header=BB2_2819 Depth=2
	s_andn2_saveexec_b32 s12, s12
; %bb.2960:                             ;   in Loop: Header=BB2_2819 Depth=2
	v_bfe_u32 v10, v14, 23, 1
; %bb.2961:                             ;   in Loop: Header=BB2_2819 Depth=2
	s_or_b32 exec_lo, exec_lo, s12
	v_lshrrev_b32_e32 v14, 21, v14
	v_min_i32_e32 v113, 31, v10
	v_cmp_gt_i32_e32 vcc_lo, 32, v10
	v_and_b32_sdwa v114, v114, v85 dst_sel:DWORD dst_unused:UNUSED_PAD src0_sel:BYTE_3 src1_sel:DWORD
	v_lshlrev_b32_e32 v113, 2, v113
	v_cndmask_b32_e32 v14, 3, v14, vcc_lo
	v_and_b32_e32 v113, 0xfc, v113
	v_and_b32_e32 v115, 3, v14
	v_or_b32_e32 v10, v10, v14
	v_or3_b32 v113, v114, v113, v115
	v_cmp_ne_u32_e32 vcc_lo, 0, v10
	v_lshlrev_b32_e32 v14, 8, v113
	v_cndmask_b32_e32 v14, 0, v14, vcc_lo
.LBB2_2962:                             ;   in Loop: Header=BB2_2819 Depth=2
	s_or_b32 exec_lo, exec_lo, s40
.LBB2_2963:                             ;   in Loop: Header=BB2_2819 Depth=2
	s_or_b32 exec_lo, exec_lo, s29
	v_and_b32_e32 v10, 3, v11
	v_bfe_u32 v115, v11, 2, 5
	v_lshlrev_b32_e32 v116, 24, v11
	v_cmp_gt_i16_sdwa s29, v15, v84 src0_sel:BYTE_0 src1_sel:DWORD
	s_mov_b32 s12, -1
	v_ffbh_u32_e32 v113, v10
	v_cmp_eq_u32_e32 vcc_lo, 0, v115
	v_min_u32_e32 v113, 32, v113
	v_subrev_nc_u32_e32 v114, 29, v113
	v_sub_nc_u32_e32 v113, 30, v113
	v_lshlrev_b32_e32 v114, v114, v11
	v_cndmask_b32_e32 v113, v115, v113, vcc_lo
	v_and_b32_e32 v114, 3, v114
	v_lshl_add_u32 v113, v113, 23, 0x37800000
	v_cndmask_b32_e32 v10, v10, v114, vcc_lo
	v_and_b32_e32 v114, 0x80000000, v116
	s_and_b32 vcc_lo, exec_lo, s28
	v_lshlrev_b32_e32 v10, 21, v10
	v_or3_b32 v10, v114, v113, v10
                                        ; implicit-def: $vgpr114
	s_cbranch_vccz .LBB2_2977
; %bb.2964:                             ;   in Loop: Header=BB2_2819 Depth=2
	s_mov_b32 s12, 0
	s_and_saveexec_b32 s40, s29
	s_xor_b32 s29, exec_lo, s40
	s_cbranch_execz .LBB2_3425
; %bb.2965:                             ;   in Loop: Header=BB2_2819 Depth=2
	v_cmp_eq_u16_sdwa s41, v15, v85 src0_sel:BYTE_0 src1_sel:DWORD
	s_mov_b32 s12, -1
	s_and_saveexec_b32 s40, s41
; %bb.2966:                             ;   in Loop: Header=BB2_2819 Depth=2
	s_xor_b32 s12, exec_lo, -1
; %bb.2967:                             ;   in Loop: Header=BB2_2819 Depth=2
	s_or_b32 exec_lo, exec_lo, s40
	s_and_b32 s12, s12, exec_lo
	s_or_saveexec_b32 s29, s29
	v_mov_b32_e32 v113, 0x7f800001
	s_xor_b32 exec_lo, exec_lo, s29
	s_cbranch_execnz .LBB2_3426
.LBB2_2968:                             ;   in Loop: Header=BB2_2819 Depth=2
	s_or_b32 exec_lo, exec_lo, s29
	s_and_saveexec_b32 s29, s12
	s_cbranch_execz .LBB2_2970
.LBB2_2969:                             ;   in Loop: Header=BB2_2819 Depth=2
	v_and_b32_e32 v113, 3, v15
	v_bfe_u32 v116, v15, 2, 5
	v_lshlrev_b32_e32 v117, 24, v15
	v_ffbh_u32_e32 v114, v113
	v_cmp_eq_u32_e32 vcc_lo, 0, v116
	v_min_u32_e32 v114, 32, v114
	v_subrev_nc_u32_e32 v115, 29, v114
	v_sub_nc_u32_e32 v114, 30, v114
	v_lshlrev_b32_e32 v115, v115, v15
	v_cndmask_b32_e32 v114, v116, v114, vcc_lo
	v_and_b32_e32 v115, 3, v115
	v_lshl_add_u32 v114, v114, 23, 0x37800000
	v_cndmask_b32_e32 v113, v113, v115, vcc_lo
	v_and_b32_e32 v115, 0x80000000, v117
	v_lshlrev_b32_e32 v113, 21, v113
	v_or3_b32 v113, v115, v114, v113
.LBB2_2970:                             ;   in Loop: Header=BB2_2819 Depth=2
	s_or_b32 exec_lo, exec_lo, s29
	v_cmp_gt_i16_sdwa s29, v11, v84 src0_sel:BYTE_0 src1_sel:DWORD
	s_mov_b32 s12, 0
	s_and_saveexec_b32 s40, s29
	s_xor_b32 s29, exec_lo, s40
	s_cbranch_execz .LBB2_3427
; %bb.2971:                             ;   in Loop: Header=BB2_2819 Depth=2
	v_cmp_eq_u16_sdwa s41, v11, v85 src0_sel:BYTE_0 src1_sel:DWORD
	s_mov_b32 s12, -1
	s_and_saveexec_b32 s40, s41
; %bb.2972:                             ;   in Loop: Header=BB2_2819 Depth=2
	s_xor_b32 s12, exec_lo, -1
; %bb.2973:                             ;   in Loop: Header=BB2_2819 Depth=2
	s_or_b32 exec_lo, exec_lo, s40
	s_and_b32 s12, s12, exec_lo
	s_or_saveexec_b32 s29, s29
	v_mov_b32_e32 v114, 0x7f800001
	s_xor_b32 exec_lo, exec_lo, s29
	s_cbranch_execnz .LBB2_3428
.LBB2_2974:                             ;   in Loop: Header=BB2_2819 Depth=2
	s_or_b32 exec_lo, exec_lo, s29
	s_and_saveexec_b32 s29, s12
.LBB2_2975:                             ;   in Loop: Header=BB2_2819 Depth=2
	v_mov_b32_e32 v114, v10
.LBB2_2976:                             ;   in Loop: Header=BB2_2819 Depth=2
	s_or_b32 exec_lo, exec_lo, s29
	v_max_f32_e32 v114, v114, v114
	v_max_f32_e32 v113, v113, v113
	s_mov_b32 s12, 0
	v_max_f32_e32 v114, v113, v114
.LBB2_2977:                             ;   in Loop: Header=BB2_2819 Depth=2
	s_and_b32 vcc_lo, exec_lo, s12
	s_cbranch_vccz .LBB2_2991
; %bb.2978:                             ;   in Loop: Header=BB2_2819 Depth=2
	v_cmp_gt_i16_sdwa s29, v15, v84 src0_sel:BYTE_0 src1_sel:DWORD
	s_mov_b32 s12, 0
	s_and_saveexec_b32 s40, s29
	s_xor_b32 s29, exec_lo, s40
	s_cbranch_execz .LBB2_3429
; %bb.2979:                             ;   in Loop: Header=BB2_2819 Depth=2
	v_cmp_eq_u16_sdwa s41, v15, v85 src0_sel:BYTE_0 src1_sel:DWORD
	s_mov_b32 s12, -1
	s_and_saveexec_b32 s40, s41
; %bb.2980:                             ;   in Loop: Header=BB2_2819 Depth=2
	s_xor_b32 s12, exec_lo, -1
; %bb.2981:                             ;   in Loop: Header=BB2_2819 Depth=2
	s_or_b32 exec_lo, exec_lo, s40
	s_and_b32 s12, s12, exec_lo
	s_or_saveexec_b32 s29, s29
	v_mov_b32_e32 v113, 0x7f800001
	s_xor_b32 exec_lo, exec_lo, s29
	s_cbranch_execnz .LBB2_3430
.LBB2_2982:                             ;   in Loop: Header=BB2_2819 Depth=2
	s_or_b32 exec_lo, exec_lo, s29
	s_and_saveexec_b32 s29, s12
	s_cbranch_execz .LBB2_2984
.LBB2_2983:                             ;   in Loop: Header=BB2_2819 Depth=2
	v_and_b32_e32 v113, 3, v15
	v_bfe_u32 v116, v15, 2, 5
	v_lshlrev_b32_e32 v117, 24, v15
	v_ffbh_u32_e32 v114, v113
	v_cmp_eq_u32_e32 vcc_lo, 0, v116
	v_min_u32_e32 v114, 32, v114
	v_subrev_nc_u32_e32 v115, 29, v114
	v_sub_nc_u32_e32 v114, 30, v114
	v_lshlrev_b32_e32 v115, v115, v15
	v_cndmask_b32_e32 v114, v116, v114, vcc_lo
	v_and_b32_e32 v115, 3, v115
	v_lshl_add_u32 v114, v114, 23, 0x37800000
	v_cndmask_b32_e32 v113, v113, v115, vcc_lo
	v_and_b32_e32 v115, 0x80000000, v117
	v_lshlrev_b32_e32 v113, 21, v113
	v_or3_b32 v113, v115, v114, v113
.LBB2_2984:                             ;   in Loop: Header=BB2_2819 Depth=2
	s_or_b32 exec_lo, exec_lo, s29
	v_cmp_gt_i16_sdwa s29, v11, v84 src0_sel:BYTE_0 src1_sel:DWORD
	s_mov_b32 s12, 0
	s_and_saveexec_b32 s40, s29
	s_xor_b32 s29, exec_lo, s40
	s_cbranch_execz .LBB2_3431
; %bb.2985:                             ;   in Loop: Header=BB2_2819 Depth=2
	v_cmp_eq_u16_sdwa s41, v11, v85 src0_sel:BYTE_0 src1_sel:DWORD
	s_mov_b32 s12, -1
	s_and_saveexec_b32 s40, s41
; %bb.2986:                             ;   in Loop: Header=BB2_2819 Depth=2
	s_xor_b32 s12, exec_lo, -1
; %bb.2987:                             ;   in Loop: Header=BB2_2819 Depth=2
	s_or_b32 exec_lo, exec_lo, s40
	s_and_b32 s12, s12, exec_lo
	s_or_saveexec_b32 s29, s29
	v_mov_b32_e32 v114, 0x7f800001
	s_xor_b32 exec_lo, exec_lo, s29
	s_cbranch_execnz .LBB2_3432
.LBB2_2988:                             ;   in Loop: Header=BB2_2819 Depth=2
	s_or_b32 exec_lo, exec_lo, s29
	s_and_saveexec_b32 s29, s12
.LBB2_2989:                             ;   in Loop: Header=BB2_2819 Depth=2
	v_mov_b32_e32 v114, v10
.LBB2_2990:                             ;   in Loop: Header=BB2_2819 Depth=2
	s_or_b32 exec_lo, exec_lo, s29
	v_max_f32_e32 v10, v114, v114
	v_max_f32_e32 v113, v113, v113
	v_min_f32_e32 v114, v113, v10
.LBB2_2991:                             ;   in Loop: Header=BB2_2819 Depth=2
	v_and_b32_e32 v10, 0x7f800000, v114
	v_mov_b32_e32 v113, 0x80
	s_mov_b32 s29, exec_lo
	v_cmpx_ne_u32_e32 0x7f800000, v10
	s_cbranch_execz .LBB2_2999
; %bb.2992:                             ;   in Loop: Header=BB2_2819 Depth=2
	v_mov_b32_e32 v113, 0
	s_mov_b32 s40, exec_lo
	v_cmpx_ne_u32_e32 0, v114
	s_cbranch_execz .LBB2_2998
; %bb.2993:                             ;   in Loop: Header=BB2_2819 Depth=2
	v_bfe_u32 v10, v114, 23, 8
	v_and_b32_e32 v113, 0x7fffff, v114
	v_sub_nc_u32_e32 v115, 0x70, v10
	v_cmp_gt_u32_e32 vcc_lo, 0x71, v10
	v_or_b32_e32 v116, 0x800000, v113
	v_cndmask_b32_e32 v115, 0, v115, vcc_lo
	v_cmp_eq_u32_e32 vcc_lo, 0, v10
	v_add_nc_u32_e32 v10, 0xffffff91, v10
	v_cndmask_b32_e64 v115, v115, 0x6f, vcc_lo
	v_cndmask_b32_e32 v113, v116, v113, vcc_lo
	v_cndmask_b32_e64 v10, v10, 0xffffff92, vcc_lo
	v_lshl_add_u32 v116, 0x200000, v115, -1
	v_lshrrev_b32_e32 v117, v115, v113
	v_lshlrev_b32_e64 v119, v115, 0x100000
	v_add_nc_u32_e32 v115, v115, v10
	v_and_b32_e32 v113, v116, v113
	v_bfe_u32 v118, v117, 21, 1
	v_cmp_eq_u32_e64 s12, v113, v119
	v_add_nc_u32_e32 v116, -1, v118
	v_cndmask_b32_e64 v113, 0, v116, s12
	v_lshrrev_b32_e32 v116, 23, v117
	s_mov_b32 s12, exec_lo
	v_add_nc_u32_e32 v113, v113, v117
	v_xor_b32_e32 v116, 1, v116
	v_and_b32_e32 v10, 0x1fffff, v113
	v_add_nc_u32_e32 v113, v10, v117
                                        ; implicit-def: $vgpr10
	v_cmpx_ne_u32_e64 v115, v116
	s_xor_b32 s12, exec_lo, s12
; %bb.2994:                             ;   in Loop: Header=BB2_2819 Depth=2
	v_cmp_lt_u32_e32 vcc_lo, 0xffffff, v113
	v_sub_nc_u32_e32 v10, v115, v116
	v_cndmask_b32_e64 v115, 0, 1, vcc_lo
	v_add_co_ci_u32_e64 v10, null, 0, v10, vcc_lo
	v_lshrrev_b32_e32 v113, v115, v113
; %bb.2995:                             ;   in Loop: Header=BB2_2819 Depth=2
	s_andn2_saveexec_b32 s12, s12
; %bb.2996:                             ;   in Loop: Header=BB2_2819 Depth=2
	v_bfe_u32 v10, v113, 23, 1
; %bb.2997:                             ;   in Loop: Header=BB2_2819 Depth=2
	s_or_b32 exec_lo, exec_lo, s12
	v_lshrrev_b32_e32 v113, 21, v113
	v_min_i32_e32 v115, 31, v10
	v_cmp_gt_i32_e32 vcc_lo, 32, v10
	v_and_b32_sdwa v114, v114, v85 dst_sel:DWORD dst_unused:UNUSED_PAD src0_sel:BYTE_3 src1_sel:DWORD
	v_lshlrev_b32_e32 v115, 2, v115
	v_cndmask_b32_e32 v113, 3, v113, vcc_lo
	v_and_b32_e32 v115, 0xfc, v115
	v_and_b32_e32 v116, 3, v113
	v_or_b32_e32 v10, v10, v113
	v_or3_b32 v113, v115, v114, v116
	v_cmp_ne_u32_e32 vcc_lo, 0, v10
	v_cndmask_b32_e32 v113, 0, v113, vcc_lo
.LBB2_2998:                             ;   in Loop: Header=BB2_2819 Depth=2
	s_or_b32 exec_lo, exec_lo, s40
.LBB2_2999:                             ;   in Loop: Header=BB2_2819 Depth=2
	s_or_b32 exec_lo, exec_lo, s29
	v_and_b32_sdwa v10, v86, v11 dst_sel:DWORD dst_unused:UNUSED_PAD src0_sel:DWORD src1_sel:BYTE_1
	v_cmp_gt_i16_sdwa s29, v15, v84 src0_sel:BYTE_1 src1_sel:DWORD
	s_mov_b32 s12, -1
	v_and_b32_e32 v114, 3, v10
	v_bfe_u32 v117, v10, 2, 5
	v_ffbh_u32_e32 v115, v114
	v_cmp_eq_u32_e32 vcc_lo, 0, v117
	v_min_u32_e32 v115, 32, v115
	v_subrev_nc_u32_e32 v116, 29, v115
	v_sub_nc_u32_e32 v115, 30, v115
	v_lshlrev_b32_e32 v10, v116, v10
	v_lshlrev_b32_sdwa v116, v87, v11 dst_sel:DWORD dst_unused:UNUSED_PAD src0_sel:DWORD src1_sel:BYTE_1
	v_cndmask_b32_e32 v115, v117, v115, vcc_lo
	v_and_b32_e32 v10, 3, v10
	v_lshl_add_u32 v115, v115, 23, 0x37800000
	v_cndmask_b32_e32 v10, v114, v10, vcc_lo
	v_and_b32_e32 v114, 0x80000000, v116
	s_and_b32 vcc_lo, exec_lo, s28
	v_lshlrev_b32_e32 v10, 21, v10
	v_or3_b32 v10, v114, v115, v10
                                        ; implicit-def: $vgpr115
	s_cbranch_vccz .LBB2_3013
; %bb.3000:                             ;   in Loop: Header=BB2_2819 Depth=2
	s_mov_b32 s12, 0
	s_and_saveexec_b32 s40, s29
	s_xor_b32 s29, exec_lo, s40
	s_cbranch_execz .LBB2_3433
; %bb.3001:                             ;   in Loop: Header=BB2_2819 Depth=2
	v_cmp_eq_u16_sdwa s41, v15, v85 src0_sel:BYTE_1 src1_sel:DWORD
	s_mov_b32 s12, -1
	s_and_saveexec_b32 s40, s41
; %bb.3002:                             ;   in Loop: Header=BB2_2819 Depth=2
	s_xor_b32 s12, exec_lo, -1
; %bb.3003:                             ;   in Loop: Header=BB2_2819 Depth=2
	s_or_b32 exec_lo, exec_lo, s40
	s_and_b32 s12, s12, exec_lo
	s_or_saveexec_b32 s29, s29
	v_mov_b32_e32 v114, 0x7f800001
	s_xor_b32 exec_lo, exec_lo, s29
	s_cbranch_execnz .LBB2_3434
.LBB2_3004:                             ;   in Loop: Header=BB2_2819 Depth=2
	s_or_b32 exec_lo, exec_lo, s29
	s_and_saveexec_b32 s29, s12
	s_cbranch_execz .LBB2_3006
.LBB2_3005:                             ;   in Loop: Header=BB2_2819 Depth=2
	v_and_b32_sdwa v114, v86, v15 dst_sel:DWORD dst_unused:UNUSED_PAD src0_sel:DWORD src1_sel:BYTE_1
	v_and_b32_e32 v115, 3, v114
	v_bfe_u32 v118, v114, 2, 5
	v_ffbh_u32_e32 v116, v115
	v_cmp_eq_u32_e32 vcc_lo, 0, v118
	v_min_u32_e32 v116, 32, v116
	v_subrev_nc_u32_e32 v117, 29, v116
	v_sub_nc_u32_e32 v116, 30, v116
	v_lshlrev_b32_e32 v114, v117, v114
	v_lshlrev_b32_e32 v117, 16, v15
	v_cndmask_b32_e32 v116, v118, v116, vcc_lo
	v_and_b32_e32 v114, 3, v114
	v_lshl_add_u32 v116, v116, 23, 0x37800000
	v_cndmask_b32_e32 v114, v115, v114, vcc_lo
	v_and_b32_e32 v115, 0x80000000, v117
	v_lshlrev_b32_e32 v114, 21, v114
	v_or3_b32 v114, v115, v116, v114
.LBB2_3006:                             ;   in Loop: Header=BB2_2819 Depth=2
	s_or_b32 exec_lo, exec_lo, s29
	v_cmp_gt_i16_sdwa s29, v11, v84 src0_sel:BYTE_1 src1_sel:DWORD
	s_mov_b32 s12, 0
	s_and_saveexec_b32 s40, s29
	s_xor_b32 s29, exec_lo, s40
	s_cbranch_execz .LBB2_3435
; %bb.3007:                             ;   in Loop: Header=BB2_2819 Depth=2
	v_cmp_eq_u16_sdwa s41, v11, v85 src0_sel:BYTE_1 src1_sel:DWORD
	s_mov_b32 s12, -1
	s_and_saveexec_b32 s40, s41
; %bb.3008:                             ;   in Loop: Header=BB2_2819 Depth=2
	s_xor_b32 s12, exec_lo, -1
; %bb.3009:                             ;   in Loop: Header=BB2_2819 Depth=2
	s_or_b32 exec_lo, exec_lo, s40
	s_and_b32 s12, s12, exec_lo
	s_or_saveexec_b32 s29, s29
	v_mov_b32_e32 v115, 0x7f800001
	s_xor_b32 exec_lo, exec_lo, s29
	s_cbranch_execnz .LBB2_3436
.LBB2_3010:                             ;   in Loop: Header=BB2_2819 Depth=2
	s_or_b32 exec_lo, exec_lo, s29
	s_and_saveexec_b32 s29, s12
.LBB2_3011:                             ;   in Loop: Header=BB2_2819 Depth=2
	v_mov_b32_e32 v115, v10
.LBB2_3012:                             ;   in Loop: Header=BB2_2819 Depth=2
	s_or_b32 exec_lo, exec_lo, s29
	v_max_f32_e32 v115, v115, v115
	v_max_f32_e32 v114, v114, v114
	s_mov_b32 s12, 0
	v_max_f32_e32 v115, v114, v115
.LBB2_3013:                             ;   in Loop: Header=BB2_2819 Depth=2
	s_and_b32 vcc_lo, exec_lo, s12
	s_cbranch_vccz .LBB2_3027
; %bb.3014:                             ;   in Loop: Header=BB2_2819 Depth=2
	v_cmp_gt_i16_sdwa s29, v15, v84 src0_sel:BYTE_1 src1_sel:DWORD
	s_mov_b32 s12, 0
	s_and_saveexec_b32 s40, s29
	s_xor_b32 s29, exec_lo, s40
	s_cbranch_execz .LBB2_3437
; %bb.3015:                             ;   in Loop: Header=BB2_2819 Depth=2
	v_cmp_eq_u16_sdwa s41, v15, v85 src0_sel:BYTE_1 src1_sel:DWORD
	s_mov_b32 s12, -1
	s_and_saveexec_b32 s40, s41
; %bb.3016:                             ;   in Loop: Header=BB2_2819 Depth=2
	s_xor_b32 s12, exec_lo, -1
; %bb.3017:                             ;   in Loop: Header=BB2_2819 Depth=2
	s_or_b32 exec_lo, exec_lo, s40
	s_and_b32 s12, s12, exec_lo
	s_or_saveexec_b32 s29, s29
	v_mov_b32_e32 v114, 0x7f800001
	s_xor_b32 exec_lo, exec_lo, s29
	s_cbranch_execnz .LBB2_3438
.LBB2_3018:                             ;   in Loop: Header=BB2_2819 Depth=2
	s_or_b32 exec_lo, exec_lo, s29
	s_and_saveexec_b32 s29, s12
	s_cbranch_execz .LBB2_3020
.LBB2_3019:                             ;   in Loop: Header=BB2_2819 Depth=2
	v_and_b32_sdwa v114, v86, v15 dst_sel:DWORD dst_unused:UNUSED_PAD src0_sel:DWORD src1_sel:BYTE_1
	v_and_b32_e32 v115, 3, v114
	v_bfe_u32 v118, v114, 2, 5
	v_ffbh_u32_e32 v116, v115
	v_cmp_eq_u32_e32 vcc_lo, 0, v118
	v_min_u32_e32 v116, 32, v116
	v_subrev_nc_u32_e32 v117, 29, v116
	v_sub_nc_u32_e32 v116, 30, v116
	v_lshlrev_b32_e32 v114, v117, v114
	v_lshlrev_b32_e32 v117, 16, v15
	v_cndmask_b32_e32 v116, v118, v116, vcc_lo
	v_and_b32_e32 v114, 3, v114
	v_lshl_add_u32 v116, v116, 23, 0x37800000
	v_cndmask_b32_e32 v114, v115, v114, vcc_lo
	v_and_b32_e32 v115, 0x80000000, v117
	v_lshlrev_b32_e32 v114, 21, v114
	v_or3_b32 v114, v115, v116, v114
.LBB2_3020:                             ;   in Loop: Header=BB2_2819 Depth=2
	s_or_b32 exec_lo, exec_lo, s29
	v_cmp_gt_i16_sdwa s29, v11, v84 src0_sel:BYTE_1 src1_sel:DWORD
	s_mov_b32 s12, 0
	s_and_saveexec_b32 s40, s29
	s_xor_b32 s29, exec_lo, s40
	s_cbranch_execz .LBB2_3439
; %bb.3021:                             ;   in Loop: Header=BB2_2819 Depth=2
	v_cmp_eq_u16_sdwa s41, v11, v85 src0_sel:BYTE_1 src1_sel:DWORD
	s_mov_b32 s12, -1
	s_and_saveexec_b32 s40, s41
; %bb.3022:                             ;   in Loop: Header=BB2_2819 Depth=2
	s_xor_b32 s12, exec_lo, -1
; %bb.3023:                             ;   in Loop: Header=BB2_2819 Depth=2
	s_or_b32 exec_lo, exec_lo, s40
	s_and_b32 s12, s12, exec_lo
	s_or_saveexec_b32 s29, s29
	v_mov_b32_e32 v115, 0x7f800001
	s_xor_b32 exec_lo, exec_lo, s29
	s_cbranch_execnz .LBB2_3440
.LBB2_3024:                             ;   in Loop: Header=BB2_2819 Depth=2
	s_or_b32 exec_lo, exec_lo, s29
	s_and_saveexec_b32 s29, s12
.LBB2_3025:                             ;   in Loop: Header=BB2_2819 Depth=2
	v_mov_b32_e32 v115, v10
.LBB2_3026:                             ;   in Loop: Header=BB2_2819 Depth=2
	s_or_b32 exec_lo, exec_lo, s29
	v_max_f32_e32 v10, v115, v115
	v_max_f32_e32 v114, v114, v114
	v_min_f32_e32 v115, v114, v10
.LBB2_3027:                             ;   in Loop: Header=BB2_2819 Depth=2
	v_and_b32_e32 v10, 0x7f800000, v115
	v_mov_b32_e32 v114, 0x8000
	s_mov_b32 s29, exec_lo
	v_cmpx_ne_u32_e32 0x7f800000, v10
	s_cbranch_execz .LBB2_3035
; %bb.3028:                             ;   in Loop: Header=BB2_2819 Depth=2
	v_mov_b32_e32 v114, 0
	s_mov_b32 s40, exec_lo
	v_cmpx_ne_u32_e32 0, v115
	s_cbranch_execz .LBB2_3034
; %bb.3029:                             ;   in Loop: Header=BB2_2819 Depth=2
	v_bfe_u32 v10, v115, 23, 8
	v_and_b32_e32 v114, 0x7fffff, v115
	v_sub_nc_u32_e32 v116, 0x70, v10
	v_cmp_gt_u32_e32 vcc_lo, 0x71, v10
	v_or_b32_e32 v117, 0x800000, v114
	v_cndmask_b32_e32 v116, 0, v116, vcc_lo
	v_cmp_eq_u32_e32 vcc_lo, 0, v10
	v_add_nc_u32_e32 v10, 0xffffff91, v10
	v_cndmask_b32_e64 v116, v116, 0x6f, vcc_lo
	v_cndmask_b32_e32 v114, v117, v114, vcc_lo
	v_cndmask_b32_e64 v10, v10, 0xffffff92, vcc_lo
	v_lshl_add_u32 v117, 0x200000, v116, -1
	v_lshrrev_b32_e32 v118, v116, v114
	v_lshlrev_b32_e64 v40, v116, 0x100000
	v_add_nc_u32_e32 v116, v116, v10
	v_and_b32_e32 v114, v117, v114
	v_bfe_u32 v119, v118, 21, 1
	v_cmp_eq_u32_e64 s12, v114, v40
	v_add_nc_u32_e32 v117, -1, v119
	v_cndmask_b32_e64 v114, 0, v117, s12
	v_lshrrev_b32_e32 v117, 23, v118
	s_mov_b32 s12, exec_lo
	v_add_nc_u32_e32 v114, v114, v118
	v_xor_b32_e32 v117, 1, v117
	v_and_b32_e32 v10, 0x1fffff, v114
	v_add_nc_u32_e32 v114, v10, v118
                                        ; implicit-def: $vgpr10
	v_cmpx_ne_u32_e64 v116, v117
	s_xor_b32 s12, exec_lo, s12
; %bb.3030:                             ;   in Loop: Header=BB2_2819 Depth=2
	v_cmp_lt_u32_e32 vcc_lo, 0xffffff, v114
	v_sub_nc_u32_e32 v10, v116, v117
	v_cndmask_b32_e64 v116, 0, 1, vcc_lo
	v_add_co_ci_u32_e64 v10, null, 0, v10, vcc_lo
	v_lshrrev_b32_e32 v114, v116, v114
; %bb.3031:                             ;   in Loop: Header=BB2_2819 Depth=2
	s_andn2_saveexec_b32 s12, s12
; %bb.3032:                             ;   in Loop: Header=BB2_2819 Depth=2
	v_bfe_u32 v10, v114, 23, 1
; %bb.3033:                             ;   in Loop: Header=BB2_2819 Depth=2
	s_or_b32 exec_lo, exec_lo, s12
	v_lshrrev_b32_e32 v114, 21, v114
	v_min_i32_e32 v116, 31, v10
	v_cmp_gt_i32_e32 vcc_lo, 32, v10
	v_and_b32_sdwa v115, v115, v85 dst_sel:DWORD dst_unused:UNUSED_PAD src0_sel:BYTE_3 src1_sel:DWORD
	v_lshlrev_b32_e32 v116, 2, v116
	v_cndmask_b32_e32 v114, 3, v114, vcc_lo
	v_and_b32_e32 v116, 0xfc, v116
	v_and_b32_e32 v117, 3, v114
	v_or_b32_e32 v10, v10, v114
	v_or3_b32 v115, v115, v116, v117
	v_cmp_ne_u32_e32 vcc_lo, 0, v10
	v_lshlrev_b32_e32 v114, 8, v115
	v_cndmask_b32_e32 v114, 0, v114, vcc_lo
.LBB2_3034:                             ;   in Loop: Header=BB2_2819 Depth=2
	s_or_b32 exec_lo, exec_lo, s40
.LBB2_3035:                             ;   in Loop: Header=BB2_2819 Depth=2
	s_or_b32 exec_lo, exec_lo, s29
	v_bfe_u32 v10, v11, 16, 2
	v_bfe_u32 v117, v11, 18, 5
	v_lshlrev_b32_e32 v118, 8, v11
	s_mov_b32 s29, -1
	v_ffbh_u32_e32 v115, v10
	v_cmp_eq_u32_e32 vcc_lo, 0, v117
	v_min_u32_e32 v115, 32, v115
	v_subrev_nc_u32_e32 v116, 29, v115
	v_sub_nc_u32_e32 v115, 30, v115
	v_lshlrev_b32_sdwa v116, v116, v11 dst_sel:DWORD dst_unused:UNUSED_PAD src0_sel:DWORD src1_sel:WORD_1
	v_cndmask_b32_e32 v115, v117, v115, vcc_lo
	v_and_b32_e32 v116, 3, v116
	v_lshl_add_u32 v117, v115, 23, 0x37800000
	v_and_b32_sdwa v115, v15, v96 dst_sel:DWORD dst_unused:UNUSED_PAD src0_sel:WORD_1 src1_sel:DWORD
	v_cndmask_b32_e32 v10, v10, v116, vcc_lo
	v_and_b32_e32 v116, 0x80000000, v118
	v_cmp_lt_i16_e64 s12, 0x7f, v115
	s_and_b32 vcc_lo, exec_lo, s28
	v_lshlrev_b32_e32 v10, 21, v10
	v_or3_b32 v10, v116, v117, v10
                                        ; implicit-def: $vgpr116
	s_cbranch_vccz .LBB2_3049
; %bb.3036:                             ;   in Loop: Header=BB2_2819 Depth=2
	s_mov_b32 s29, 0
	s_and_saveexec_b32 s40, s12
	s_xor_b32 s12, exec_lo, s40
	s_cbranch_execz .LBB2_3441
; %bb.3037:                             ;   in Loop: Header=BB2_2819 Depth=2
	s_mov_b32 s29, -1
	s_mov_b32 s40, exec_lo
	v_cmpx_eq_u16_e32 0x80, v115
; %bb.3038:                             ;   in Loop: Header=BB2_2819 Depth=2
	s_xor_b32 s29, exec_lo, -1
; %bb.3039:                             ;   in Loop: Header=BB2_2819 Depth=2
	s_or_b32 exec_lo, exec_lo, s40
	s_and_b32 s29, s29, exec_lo
	s_or_saveexec_b32 s12, s12
	v_mov_b32_e32 v116, 0x7f800001
	s_xor_b32 exec_lo, exec_lo, s12
	s_cbranch_execnz .LBB2_3442
.LBB2_3040:                             ;   in Loop: Header=BB2_2819 Depth=2
	s_or_b32 exec_lo, exec_lo, s12
	s_and_saveexec_b32 s12, s29
	s_cbranch_execz .LBB2_3042
.LBB2_3041:                             ;   in Loop: Header=BB2_2819 Depth=2
	v_bfe_u32 v116, v15, 16, 2
	v_bfe_u32 v119, v15, 18, 5
	v_lshlrev_b32_sdwa v40, v87, v15 dst_sel:DWORD dst_unused:UNUSED_PAD src0_sel:DWORD src1_sel:WORD_1
	v_ffbh_u32_e32 v117, v116
	v_cmp_eq_u32_e32 vcc_lo, 0, v119
	v_min_u32_e32 v117, 32, v117
	v_subrev_nc_u32_e32 v118, 29, v117
	v_sub_nc_u32_e32 v117, 30, v117
	v_lshlrev_b32_sdwa v118, v118, v15 dst_sel:DWORD dst_unused:UNUSED_PAD src0_sel:DWORD src1_sel:WORD_1
	v_cndmask_b32_e32 v117, v119, v117, vcc_lo
	v_and_b32_e32 v118, 3, v118
	v_lshl_add_u32 v117, v117, 23, 0x37800000
	v_cndmask_b32_e32 v116, v116, v118, vcc_lo
	v_and_b32_e32 v118, 0x80000000, v40
	v_lshlrev_b32_e32 v116, 21, v116
	v_or3_b32 v116, v118, v117, v116
.LBB2_3042:                             ;   in Loop: Header=BB2_2819 Depth=2
	s_or_b32 exec_lo, exec_lo, s12
	v_and_b32_sdwa v118, v11, v96 dst_sel:DWORD dst_unused:UNUSED_PAD src0_sel:WORD_1 src1_sel:DWORD
	s_mov_b32 s12, 0
	s_mov_b32 s29, exec_lo
	v_cmpx_lt_i16_e32 0x7f, v118
	s_xor_b32 s29, exec_lo, s29
	s_cbranch_execz .LBB2_3443
; %bb.3043:                             ;   in Loop: Header=BB2_2819 Depth=2
	s_mov_b32 s12, -1
	s_mov_b32 s40, exec_lo
	v_cmpx_eq_u16_e32 0x80, v118
; %bb.3044:                             ;   in Loop: Header=BB2_2819 Depth=2
	s_xor_b32 s12, exec_lo, -1
; %bb.3045:                             ;   in Loop: Header=BB2_2819 Depth=2
	s_or_b32 exec_lo, exec_lo, s40
	s_and_b32 s12, s12, exec_lo
                                        ; implicit-def: $vgpr118
	s_or_saveexec_b32 s29, s29
	v_mov_b32_e32 v117, 0x7f800001
	s_xor_b32 exec_lo, exec_lo, s29
	s_cbranch_execnz .LBB2_3444
.LBB2_3046:                             ;   in Loop: Header=BB2_2819 Depth=2
	s_or_b32 exec_lo, exec_lo, s29
	s_and_saveexec_b32 s29, s12
.LBB2_3047:                             ;   in Loop: Header=BB2_2819 Depth=2
	v_mov_b32_e32 v117, v10
.LBB2_3048:                             ;   in Loop: Header=BB2_2819 Depth=2
	s_or_b32 exec_lo, exec_lo, s29
	v_max_f32_e32 v117, v117, v117
	v_max_f32_e32 v116, v116, v116
	s_mov_b32 s29, 0
	v_max_f32_e32 v116, v116, v117
.LBB2_3049:                             ;   in Loop: Header=BB2_2819 Depth=2
	s_and_b32 vcc_lo, exec_lo, s29
	s_cbranch_vccz .LBB2_3063
; %bb.3050:                             ;   in Loop: Header=BB2_2819 Depth=2
	s_mov_b32 s12, 0
	s_mov_b32 s29, exec_lo
	v_cmpx_lt_i16_e32 0x7f, v115
	s_xor_b32 s29, exec_lo, s29
	s_cbranch_execz .LBB2_3445
; %bb.3051:                             ;   in Loop: Header=BB2_2819 Depth=2
	s_mov_b32 s12, -1
	s_mov_b32 s40, exec_lo
	v_cmpx_eq_u16_e32 0x80, v115
; %bb.3052:                             ;   in Loop: Header=BB2_2819 Depth=2
	s_xor_b32 s12, exec_lo, -1
; %bb.3053:                             ;   in Loop: Header=BB2_2819 Depth=2
	s_or_b32 exec_lo, exec_lo, s40
	s_and_b32 s12, s12, exec_lo
                                        ; implicit-def: $vgpr115
	s_or_saveexec_b32 s29, s29
	v_mov_b32_e32 v116, 0x7f800001
	s_xor_b32 exec_lo, exec_lo, s29
	s_cbranch_execnz .LBB2_3446
.LBB2_3054:                             ;   in Loop: Header=BB2_2819 Depth=2
	s_or_b32 exec_lo, exec_lo, s29
	s_and_saveexec_b32 s29, s12
	s_cbranch_execz .LBB2_3056
.LBB2_3055:                             ;   in Loop: Header=BB2_2819 Depth=2
	v_bfe_u32 v115, v15, 16, 2
	v_bfe_u32 v118, v15, 18, 5
	v_lshlrev_b32_sdwa v119, v87, v15 dst_sel:DWORD dst_unused:UNUSED_PAD src0_sel:DWORD src1_sel:WORD_1
	v_ffbh_u32_e32 v116, v115
	v_cmp_eq_u32_e32 vcc_lo, 0, v118
	v_min_u32_e32 v116, 32, v116
	v_subrev_nc_u32_e32 v117, 29, v116
	v_sub_nc_u32_e32 v116, 30, v116
	v_lshlrev_b32_sdwa v117, v117, v15 dst_sel:DWORD dst_unused:UNUSED_PAD src0_sel:DWORD src1_sel:WORD_1
	v_cndmask_b32_e32 v116, v118, v116, vcc_lo
	v_and_b32_e32 v117, 3, v117
	v_lshl_add_u32 v116, v116, 23, 0x37800000
	v_cndmask_b32_e32 v115, v115, v117, vcc_lo
	v_and_b32_e32 v117, 0x80000000, v119
	v_lshlrev_b32_e32 v115, 21, v115
	v_or3_b32 v116, v117, v116, v115
.LBB2_3056:                             ;   in Loop: Header=BB2_2819 Depth=2
	s_or_b32 exec_lo, exec_lo, s29
	v_and_b32_sdwa v117, v11, v96 dst_sel:DWORD dst_unused:UNUSED_PAD src0_sel:WORD_1 src1_sel:DWORD
	s_mov_b32 s12, 0
	s_mov_b32 s29, exec_lo
	v_cmpx_lt_i16_e32 0x7f, v117
	s_xor_b32 s29, exec_lo, s29
	s_cbranch_execz .LBB2_3447
; %bb.3057:                             ;   in Loop: Header=BB2_2819 Depth=2
	s_mov_b32 s12, -1
	s_mov_b32 s40, exec_lo
	v_cmpx_eq_u16_e32 0x80, v117
; %bb.3058:                             ;   in Loop: Header=BB2_2819 Depth=2
	s_xor_b32 s12, exec_lo, -1
; %bb.3059:                             ;   in Loop: Header=BB2_2819 Depth=2
	s_or_b32 exec_lo, exec_lo, s40
	s_and_b32 s12, s12, exec_lo
                                        ; implicit-def: $vgpr117
	s_or_saveexec_b32 s29, s29
	v_mov_b32_e32 v115, 0x7f800001
	s_xor_b32 exec_lo, exec_lo, s29
	s_cbranch_execnz .LBB2_3448
.LBB2_3060:                             ;   in Loop: Header=BB2_2819 Depth=2
	s_or_b32 exec_lo, exec_lo, s29
	s_and_saveexec_b32 s29, s12
.LBB2_3061:                             ;   in Loop: Header=BB2_2819 Depth=2
	v_mov_b32_e32 v115, v10
.LBB2_3062:                             ;   in Loop: Header=BB2_2819 Depth=2
	s_or_b32 exec_lo, exec_lo, s29
	v_max_f32_e32 v10, v115, v115
	v_max_f32_e32 v115, v116, v116
	v_min_f32_e32 v116, v115, v10
.LBB2_3063:                             ;   in Loop: Header=BB2_2819 Depth=2
	v_and_b32_e32 v10, 0x7f800000, v116
	v_mov_b32_e32 v115, 0x80
	s_mov_b32 s29, exec_lo
	v_cmpx_ne_u32_e32 0x7f800000, v10
	s_cbranch_execz .LBB2_3071
; %bb.3064:                             ;   in Loop: Header=BB2_2819 Depth=2
	v_mov_b32_e32 v115, 0
	s_mov_b32 s40, exec_lo
	v_cmpx_ne_u32_e32 0, v116
	s_cbranch_execz .LBB2_3070
; %bb.3065:                             ;   in Loop: Header=BB2_2819 Depth=2
	v_bfe_u32 v10, v116, 23, 8
	v_and_b32_e32 v115, 0x7fffff, v116
	v_sub_nc_u32_e32 v117, 0x70, v10
	v_cmp_gt_u32_e32 vcc_lo, 0x71, v10
	v_or_b32_e32 v118, 0x800000, v115
	v_cndmask_b32_e32 v117, 0, v117, vcc_lo
	v_cmp_eq_u32_e32 vcc_lo, 0, v10
	v_add_nc_u32_e32 v10, 0xffffff91, v10
	v_cndmask_b32_e64 v117, v117, 0x6f, vcc_lo
	v_cndmask_b32_e32 v115, v118, v115, vcc_lo
	v_cndmask_b32_e64 v10, v10, 0xffffff92, vcc_lo
	v_lshl_add_u32 v118, 0x200000, v117, -1
	v_lshrrev_b32_e32 v119, v117, v115
	v_lshlrev_b32_e64 v41, v117, 0x100000
	v_add_nc_u32_e32 v117, v117, v10
	v_and_b32_e32 v115, v118, v115
	v_bfe_u32 v40, v119, 21, 1
	v_cmp_eq_u32_e64 s12, v115, v41
	v_add_nc_u32_e32 v118, -1, v40
	v_cndmask_b32_e64 v115, 0, v118, s12
	v_lshrrev_b32_e32 v118, 23, v119
	s_mov_b32 s12, exec_lo
	v_add_nc_u32_e32 v115, v115, v119
	v_xor_b32_e32 v118, 1, v118
	v_and_b32_e32 v10, 0x1fffff, v115
	v_add_nc_u32_e32 v115, v10, v119
                                        ; implicit-def: $vgpr10
	v_cmpx_ne_u32_e64 v117, v118
	s_xor_b32 s12, exec_lo, s12
; %bb.3066:                             ;   in Loop: Header=BB2_2819 Depth=2
	v_cmp_lt_u32_e32 vcc_lo, 0xffffff, v115
	v_sub_nc_u32_e32 v10, v117, v118
	v_cndmask_b32_e64 v117, 0, 1, vcc_lo
	v_add_co_ci_u32_e64 v10, null, 0, v10, vcc_lo
	v_lshrrev_b32_e32 v115, v117, v115
; %bb.3067:                             ;   in Loop: Header=BB2_2819 Depth=2
	s_andn2_saveexec_b32 s12, s12
; %bb.3068:                             ;   in Loop: Header=BB2_2819 Depth=2
	v_bfe_u32 v10, v115, 23, 1
; %bb.3069:                             ;   in Loop: Header=BB2_2819 Depth=2
	s_or_b32 exec_lo, exec_lo, s12
	v_lshrrev_b32_e32 v115, 21, v115
	v_min_i32_e32 v117, 31, v10
	v_cmp_gt_i32_e32 vcc_lo, 32, v10
	v_and_b32_sdwa v116, v116, v85 dst_sel:DWORD dst_unused:UNUSED_PAD src0_sel:BYTE_3 src1_sel:DWORD
	v_lshlrev_b32_e32 v117, 2, v117
	v_cndmask_b32_e32 v115, 3, v115, vcc_lo
	v_and_b32_e32 v117, 0xfc, v117
	v_and_b32_e32 v118, 3, v115
	v_or_b32_e32 v10, v10, v115
	v_or3_b32 v115, v117, v116, v118
	v_cmp_ne_u32_e32 vcc_lo, 0, v10
	v_cndmask_b32_e32 v115, 0, v115, vcc_lo
.LBB2_3070:                             ;   in Loop: Header=BB2_2819 Depth=2
	s_or_b32 exec_lo, exec_lo, s40
.LBB2_3071:                             ;   in Loop: Header=BB2_2819 Depth=2
	s_or_b32 exec_lo, exec_lo, s29
	v_bfe_u32 v10, v11, 24, 2
	v_bfe_u32 v118, v11, 26, 5
	v_cmp_gt_i16_sdwa s29, v15, v84 src0_sel:BYTE_3 src1_sel:DWORD
	s_mov_b32 s12, -1
	v_ffbh_u32_e32 v116, v10
	v_cmp_eq_u32_e32 vcc_lo, 0, v118
	v_min_u32_e32 v116, 32, v116
	v_subrev_nc_u32_e32 v117, 29, v116
	v_sub_nc_u32_e32 v116, 30, v116
	v_lshlrev_b32_sdwa v117, v117, v11 dst_sel:DWORD dst_unused:UNUSED_PAD src0_sel:DWORD src1_sel:BYTE_3
	v_cndmask_b32_e32 v116, v118, v116, vcc_lo
	v_and_b32_e32 v117, 3, v117
	v_lshl_add_u32 v116, v116, 23, 0x37800000
	v_cndmask_b32_e32 v10, v10, v117, vcc_lo
	v_and_b32_e32 v117, 0x80000000, v11
	s_and_b32 vcc_lo, exec_lo, s28
	v_lshlrev_b32_e32 v10, 21, v10
	v_or3_b32 v10, v117, v116, v10
                                        ; implicit-def: $vgpr116
	s_cbranch_vccz .LBB2_3085
; %bb.3072:                             ;   in Loop: Header=BB2_2819 Depth=2
	s_mov_b32 s12, 0
	s_and_saveexec_b32 s40, s29
	s_xor_b32 s29, exec_lo, s40
	s_cbranch_execz .LBB2_3449
; %bb.3073:                             ;   in Loop: Header=BB2_2819 Depth=2
	v_cmp_eq_u16_sdwa s41, v15, v85 src0_sel:BYTE_3 src1_sel:DWORD
	s_mov_b32 s12, -1
	s_and_saveexec_b32 s40, s41
; %bb.3074:                             ;   in Loop: Header=BB2_2819 Depth=2
	s_xor_b32 s12, exec_lo, -1
; %bb.3075:                             ;   in Loop: Header=BB2_2819 Depth=2
	s_or_b32 exec_lo, exec_lo, s40
	s_and_b32 s12, s12, exec_lo
	s_or_saveexec_b32 s29, s29
	v_mov_b32_e32 v116, 0x7f800001
	s_xor_b32 exec_lo, exec_lo, s29
	s_cbranch_execnz .LBB2_3450
.LBB2_3076:                             ;   in Loop: Header=BB2_2819 Depth=2
	s_or_b32 exec_lo, exec_lo, s29
	s_and_saveexec_b32 s29, s12
	s_cbranch_execz .LBB2_3078
.LBB2_3077:                             ;   in Loop: Header=BB2_2819 Depth=2
	v_bfe_u32 v116, v15, 24, 2
	v_bfe_u32 v119, v15, 26, 5
	v_ffbh_u32_e32 v117, v116
	v_cmp_eq_u32_e32 vcc_lo, 0, v119
	v_min_u32_e32 v117, 32, v117
	v_subrev_nc_u32_e32 v118, 29, v117
	v_sub_nc_u32_e32 v117, 30, v117
	v_lshlrev_b32_sdwa v118, v118, v15 dst_sel:DWORD dst_unused:UNUSED_PAD src0_sel:DWORD src1_sel:BYTE_3
	v_cndmask_b32_e32 v117, v119, v117, vcc_lo
	v_and_b32_e32 v118, 3, v118
	v_lshl_add_u32 v117, v117, 23, 0x37800000
	v_cndmask_b32_e32 v116, v116, v118, vcc_lo
	v_and_b32_e32 v118, 0x80000000, v15
	v_lshlrev_b32_e32 v116, 21, v116
	v_or3_b32 v116, v118, v117, v116
.LBB2_3078:                             ;   in Loop: Header=BB2_2819 Depth=2
	s_or_b32 exec_lo, exec_lo, s29
	v_cmp_gt_i16_sdwa s29, v11, v84 src0_sel:BYTE_3 src1_sel:DWORD
	s_mov_b32 s12, 0
	s_and_saveexec_b32 s40, s29
	s_xor_b32 s29, exec_lo, s40
	s_cbranch_execz .LBB2_3451
; %bb.3079:                             ;   in Loop: Header=BB2_2819 Depth=2
	v_cmp_eq_u16_sdwa s41, v11, v85 src0_sel:BYTE_3 src1_sel:DWORD
	s_mov_b32 s12, -1
	s_and_saveexec_b32 s40, s41
; %bb.3080:                             ;   in Loop: Header=BB2_2819 Depth=2
	s_xor_b32 s12, exec_lo, -1
; %bb.3081:                             ;   in Loop: Header=BB2_2819 Depth=2
	s_or_b32 exec_lo, exec_lo, s40
	s_and_b32 s12, s12, exec_lo
	s_or_saveexec_b32 s29, s29
	v_mov_b32_e32 v117, 0x7f800001
	s_xor_b32 exec_lo, exec_lo, s29
	s_cbranch_execnz .LBB2_3452
.LBB2_3082:                             ;   in Loop: Header=BB2_2819 Depth=2
	s_or_b32 exec_lo, exec_lo, s29
	s_and_saveexec_b32 s29, s12
.LBB2_3083:                             ;   in Loop: Header=BB2_2819 Depth=2
	v_mov_b32_e32 v117, v10
.LBB2_3084:                             ;   in Loop: Header=BB2_2819 Depth=2
	s_or_b32 exec_lo, exec_lo, s29
	v_max_f32_e32 v117, v117, v117
	v_max_f32_e32 v116, v116, v116
	s_mov_b32 s12, 0
	v_max_f32_e32 v116, v116, v117
.LBB2_3085:                             ;   in Loop: Header=BB2_2819 Depth=2
	s_and_b32 vcc_lo, exec_lo, s12
	s_cbranch_vccz .LBB2_3099
; %bb.3086:                             ;   in Loop: Header=BB2_2819 Depth=2
	v_cmp_gt_i16_sdwa s29, v15, v84 src0_sel:BYTE_3 src1_sel:DWORD
	s_mov_b32 s12, 0
	s_and_saveexec_b32 s40, s29
	s_xor_b32 s29, exec_lo, s40
	s_cbranch_execz .LBB2_3453
; %bb.3087:                             ;   in Loop: Header=BB2_2819 Depth=2
	v_cmp_eq_u16_sdwa s41, v15, v85 src0_sel:BYTE_3 src1_sel:DWORD
	s_mov_b32 s12, -1
	s_and_saveexec_b32 s40, s41
; %bb.3088:                             ;   in Loop: Header=BB2_2819 Depth=2
	s_xor_b32 s12, exec_lo, -1
; %bb.3089:                             ;   in Loop: Header=BB2_2819 Depth=2
	s_or_b32 exec_lo, exec_lo, s40
	s_and_b32 s12, s12, exec_lo
	s_or_saveexec_b32 s29, s29
	v_mov_b32_e32 v116, 0x7f800001
	s_xor_b32 exec_lo, exec_lo, s29
	s_cbranch_execnz .LBB2_3454
.LBB2_3090:                             ;   in Loop: Header=BB2_2819 Depth=2
	s_or_b32 exec_lo, exec_lo, s29
	s_and_saveexec_b32 s29, s12
	s_cbranch_execz .LBB2_3092
.LBB2_3091:                             ;   in Loop: Header=BB2_2819 Depth=2
	v_bfe_u32 v116, v15, 24, 2
	v_bfe_u32 v119, v15, 26, 5
	v_ffbh_u32_e32 v117, v116
	v_cmp_eq_u32_e32 vcc_lo, 0, v119
	v_min_u32_e32 v117, 32, v117
	v_subrev_nc_u32_e32 v118, 29, v117
	v_sub_nc_u32_e32 v117, 30, v117
	v_lshlrev_b32_sdwa v118, v118, v15 dst_sel:DWORD dst_unused:UNUSED_PAD src0_sel:DWORD src1_sel:BYTE_3
	v_cndmask_b32_e32 v117, v119, v117, vcc_lo
	v_and_b32_e32 v15, 0x80000000, v15
	v_and_b32_e32 v118, 3, v118
	v_lshl_add_u32 v117, v117, 23, 0x37800000
	v_cndmask_b32_e32 v116, v116, v118, vcc_lo
	v_lshlrev_b32_e32 v116, 21, v116
	v_or3_b32 v116, v15, v117, v116
.LBB2_3092:                             ;   in Loop: Header=BB2_2819 Depth=2
	s_or_b32 exec_lo, exec_lo, s29
	v_cmp_gt_i16_sdwa s29, v11, v84 src0_sel:BYTE_3 src1_sel:DWORD
	s_mov_b32 s12, 0
	s_and_saveexec_b32 s40, s29
	s_xor_b32 s29, exec_lo, s40
	s_cbranch_execz .LBB2_3455
; %bb.3093:                             ;   in Loop: Header=BB2_2819 Depth=2
	v_cmp_eq_u16_sdwa s41, v11, v85 src0_sel:BYTE_3 src1_sel:DWORD
	s_mov_b32 s12, -1
	s_and_saveexec_b32 s40, s41
; %bb.3094:                             ;   in Loop: Header=BB2_2819 Depth=2
	s_xor_b32 s12, exec_lo, -1
; %bb.3095:                             ;   in Loop: Header=BB2_2819 Depth=2
	s_or_b32 exec_lo, exec_lo, s40
	s_and_b32 s12, s12, exec_lo
	s_or_saveexec_b32 s29, s29
	v_mov_b32_e32 v15, 0x7f800001
	s_xor_b32 exec_lo, exec_lo, s29
	s_cbranch_execnz .LBB2_3456
.LBB2_3096:                             ;   in Loop: Header=BB2_2819 Depth=2
	s_or_b32 exec_lo, exec_lo, s29
	s_and_saveexec_b32 s29, s12
.LBB2_3097:                             ;   in Loop: Header=BB2_2819 Depth=2
	v_mov_b32_e32 v15, v10
.LBB2_3098:                             ;   in Loop: Header=BB2_2819 Depth=2
	s_or_b32 exec_lo, exec_lo, s29
	v_max_f32_e32 v10, v15, v15
	v_max_f32_e32 v11, v116, v116
	v_min_f32_e32 v116, v11, v10
.LBB2_3099:                             ;   in Loop: Header=BB2_2819 Depth=2
	v_and_b32_e32 v10, 0x7f800000, v116
	v_mov_b32_e32 v15, 0x8000
	s_mov_b32 s29, exec_lo
	v_cmpx_ne_u32_e32 0x7f800000, v10
	s_cbranch_execz .LBB2_3107
; %bb.3100:                             ;   in Loop: Header=BB2_2819 Depth=2
	v_mov_b32_e32 v15, 0
	s_mov_b32 s40, exec_lo
	v_cmpx_ne_u32_e32 0, v116
	s_cbranch_execz .LBB2_3106
; %bb.3101:                             ;   in Loop: Header=BB2_2819 Depth=2
	v_bfe_u32 v10, v116, 23, 8
	v_and_b32_e32 v11, 0x7fffff, v116
	v_sub_nc_u32_e32 v15, 0x70, v10
	v_cmp_gt_u32_e32 vcc_lo, 0x71, v10
	v_or_b32_e32 v117, 0x800000, v11
	v_cndmask_b32_e32 v15, 0, v15, vcc_lo
	v_cmp_eq_u32_e32 vcc_lo, 0, v10
	v_add_nc_u32_e32 v10, 0xffffff91, v10
	v_cndmask_b32_e64 v15, v15, 0x6f, vcc_lo
	v_cndmask_b32_e32 v11, v117, v11, vcc_lo
	v_cndmask_b32_e64 v10, v10, 0xffffff92, vcc_lo
	v_lshl_add_u32 v117, 0x200000, v15, -1
	v_lshrrev_b32_e32 v118, v15, v11
	v_lshlrev_b32_e64 v40, v15, 0x100000
	v_add_nc_u32_e32 v15, v15, v10
	v_and_b32_e32 v11, v117, v11
	v_bfe_u32 v119, v118, 21, 1
	v_cmp_eq_u32_e64 s12, v11, v40
	v_add_nc_u32_e32 v117, -1, v119
	v_cndmask_b32_e64 v11, 0, v117, s12
	v_lshrrev_b32_e32 v117, 23, v118
	s_mov_b32 s12, exec_lo
	v_add_nc_u32_e32 v11, v11, v118
	v_xor_b32_e32 v117, 1, v117
	v_and_b32_e32 v10, 0x1fffff, v11
	v_add_nc_u32_e32 v11, v10, v118
                                        ; implicit-def: $vgpr10
	v_cmpx_ne_u32_e64 v15, v117
	s_xor_b32 s12, exec_lo, s12
; %bb.3102:                             ;   in Loop: Header=BB2_2819 Depth=2
	v_cmp_lt_u32_e32 vcc_lo, 0xffffff, v11
	v_sub_nc_u32_e32 v10, v15, v117
	v_cndmask_b32_e64 v15, 0, 1, vcc_lo
	v_add_co_ci_u32_e64 v10, null, 0, v10, vcc_lo
	v_lshrrev_b32_e32 v11, v15, v11
; %bb.3103:                             ;   in Loop: Header=BB2_2819 Depth=2
	s_andn2_saveexec_b32 s12, s12
; %bb.3104:                             ;   in Loop: Header=BB2_2819 Depth=2
	v_bfe_u32 v10, v11, 23, 1
; %bb.3105:                             ;   in Loop: Header=BB2_2819 Depth=2
	s_or_b32 exec_lo, exec_lo, s12
	v_lshrrev_b32_e32 v11, 21, v11
	v_min_i32_e32 v15, 31, v10
	v_cmp_gt_i32_e32 vcc_lo, 32, v10
	v_and_b32_sdwa v116, v116, v85 dst_sel:DWORD dst_unused:UNUSED_PAD src0_sel:BYTE_3 src1_sel:DWORD
	v_lshlrev_b32_e32 v15, 2, v15
	v_cndmask_b32_e32 v11, 3, v11, vcc_lo
	v_and_b32_e32 v15, 0xfc, v15
	v_and_b32_e32 v117, 3, v11
	v_or_b32_e32 v10, v10, v11
	v_or3_b32 v15, v116, v15, v117
	v_cmp_ne_u32_e32 vcc_lo, 0, v10
	v_lshlrev_b32_e32 v11, 8, v15
	v_cndmask_b32_e32 v15, 0, v11, vcc_lo
.LBB2_3106:                             ;   in Loop: Header=BB2_2819 Depth=2
	s_or_b32 exec_lo, exec_lo, s40
.LBB2_3107:                             ;   in Loop: Header=BB2_2819 Depth=2
	s_or_b32 exec_lo, exec_lo, s29
	v_and_b32_e32 v10, 3, v12
	v_bfe_u32 v117, v12, 2, 5
	v_lshlrev_b32_e32 v118, 24, v12
	v_cmp_gt_i16_sdwa s29, v16, v84 src0_sel:BYTE_0 src1_sel:DWORD
	s_mov_b32 s12, -1
	v_ffbh_u32_e32 v11, v10
	v_cmp_eq_u32_e32 vcc_lo, 0, v117
	v_min_u32_e32 v11, 32, v11
	v_subrev_nc_u32_e32 v116, 29, v11
	v_sub_nc_u32_e32 v11, 30, v11
	v_lshlrev_b32_e32 v116, v116, v12
	v_cndmask_b32_e32 v11, v117, v11, vcc_lo
	v_and_b32_e32 v116, 3, v116
	v_lshl_add_u32 v11, v11, 23, 0x37800000
	v_cndmask_b32_e32 v10, v10, v116, vcc_lo
	v_and_b32_e32 v116, 0x80000000, v118
	s_and_b32 vcc_lo, exec_lo, s28
	v_lshlrev_b32_e32 v10, 21, v10
	v_or3_b32 v10, v116, v11, v10
                                        ; implicit-def: $vgpr11
	s_cbranch_vccz .LBB2_3121
; %bb.3108:                             ;   in Loop: Header=BB2_2819 Depth=2
	s_mov_b32 s12, 0
	s_and_saveexec_b32 s40, s29
	s_xor_b32 s29, exec_lo, s40
	s_cbranch_execz .LBB2_3457
; %bb.3109:                             ;   in Loop: Header=BB2_2819 Depth=2
	v_cmp_eq_u16_sdwa s41, v16, v85 src0_sel:BYTE_0 src1_sel:DWORD
	s_mov_b32 s12, -1
	s_and_saveexec_b32 s40, s41
; %bb.3110:                             ;   in Loop: Header=BB2_2819 Depth=2
	s_xor_b32 s12, exec_lo, -1
; %bb.3111:                             ;   in Loop: Header=BB2_2819 Depth=2
	s_or_b32 exec_lo, exec_lo, s40
	s_and_b32 s12, s12, exec_lo
	s_or_saveexec_b32 s29, s29
	v_mov_b32_e32 v11, 0x7f800001
	s_xor_b32 exec_lo, exec_lo, s29
	s_cbranch_execnz .LBB2_3458
.LBB2_3112:                             ;   in Loop: Header=BB2_2819 Depth=2
	s_or_b32 exec_lo, exec_lo, s29
	s_and_saveexec_b32 s29, s12
	s_cbranch_execz .LBB2_3114
.LBB2_3113:                             ;   in Loop: Header=BB2_2819 Depth=2
	v_and_b32_e32 v11, 3, v16
	v_bfe_u32 v118, v16, 2, 5
	v_lshlrev_b32_e32 v119, 24, v16
	v_ffbh_u32_e32 v116, v11
	v_cmp_eq_u32_e32 vcc_lo, 0, v118
	v_min_u32_e32 v116, 32, v116
	v_subrev_nc_u32_e32 v117, 29, v116
	v_sub_nc_u32_e32 v116, 30, v116
	v_lshlrev_b32_e32 v117, v117, v16
	v_cndmask_b32_e32 v116, v118, v116, vcc_lo
	v_and_b32_e32 v117, 3, v117
	v_lshl_add_u32 v116, v116, 23, 0x37800000
	v_cndmask_b32_e32 v11, v11, v117, vcc_lo
	v_and_b32_e32 v117, 0x80000000, v119
	v_lshlrev_b32_e32 v11, 21, v11
	v_or3_b32 v11, v117, v116, v11
.LBB2_3114:                             ;   in Loop: Header=BB2_2819 Depth=2
	s_or_b32 exec_lo, exec_lo, s29
	v_cmp_gt_i16_sdwa s29, v12, v84 src0_sel:BYTE_0 src1_sel:DWORD
	s_mov_b32 s12, 0
	s_and_saveexec_b32 s40, s29
	s_xor_b32 s29, exec_lo, s40
	s_cbranch_execz .LBB2_3459
; %bb.3115:                             ;   in Loop: Header=BB2_2819 Depth=2
	v_cmp_eq_u16_sdwa s41, v12, v85 src0_sel:BYTE_0 src1_sel:DWORD
	s_mov_b32 s12, -1
	s_and_saveexec_b32 s40, s41
; %bb.3116:                             ;   in Loop: Header=BB2_2819 Depth=2
	s_xor_b32 s12, exec_lo, -1
; %bb.3117:                             ;   in Loop: Header=BB2_2819 Depth=2
	s_or_b32 exec_lo, exec_lo, s40
	s_and_b32 s12, s12, exec_lo
	s_or_saveexec_b32 s29, s29
	v_mov_b32_e32 v116, 0x7f800001
	s_xor_b32 exec_lo, exec_lo, s29
	s_cbranch_execnz .LBB2_3460
.LBB2_3118:                             ;   in Loop: Header=BB2_2819 Depth=2
	s_or_b32 exec_lo, exec_lo, s29
	s_and_saveexec_b32 s29, s12
.LBB2_3119:                             ;   in Loop: Header=BB2_2819 Depth=2
	v_mov_b32_e32 v116, v10
.LBB2_3120:                             ;   in Loop: Header=BB2_2819 Depth=2
	s_or_b32 exec_lo, exec_lo, s29
	v_max_f32_e32 v116, v116, v116
	v_max_f32_e32 v11, v11, v11
	s_mov_b32 s12, 0
	v_max_f32_e32 v11, v11, v116
.LBB2_3121:                             ;   in Loop: Header=BB2_2819 Depth=2
	s_and_b32 vcc_lo, exec_lo, s12
	s_cbranch_vccz .LBB2_3135
; %bb.3122:                             ;   in Loop: Header=BB2_2819 Depth=2
	v_cmp_gt_i16_sdwa s29, v16, v84 src0_sel:BYTE_0 src1_sel:DWORD
	s_mov_b32 s12, 0
	s_and_saveexec_b32 s40, s29
	s_xor_b32 s29, exec_lo, s40
	s_cbranch_execz .LBB2_3461
; %bb.3123:                             ;   in Loop: Header=BB2_2819 Depth=2
	v_cmp_eq_u16_sdwa s41, v16, v85 src0_sel:BYTE_0 src1_sel:DWORD
	s_mov_b32 s12, -1
	s_and_saveexec_b32 s40, s41
; %bb.3124:                             ;   in Loop: Header=BB2_2819 Depth=2
	s_xor_b32 s12, exec_lo, -1
; %bb.3125:                             ;   in Loop: Header=BB2_2819 Depth=2
	s_or_b32 exec_lo, exec_lo, s40
	s_and_b32 s12, s12, exec_lo
	s_or_saveexec_b32 s29, s29
	v_mov_b32_e32 v11, 0x7f800001
	s_xor_b32 exec_lo, exec_lo, s29
	s_cbranch_execnz .LBB2_3462
.LBB2_3126:                             ;   in Loop: Header=BB2_2819 Depth=2
	s_or_b32 exec_lo, exec_lo, s29
	s_and_saveexec_b32 s29, s12
	s_cbranch_execz .LBB2_3128
.LBB2_3127:                             ;   in Loop: Header=BB2_2819 Depth=2
	v_and_b32_e32 v11, 3, v16
	v_bfe_u32 v118, v16, 2, 5
	v_lshlrev_b32_e32 v119, 24, v16
	v_ffbh_u32_e32 v116, v11
	v_cmp_eq_u32_e32 vcc_lo, 0, v118
	v_min_u32_e32 v116, 32, v116
	v_subrev_nc_u32_e32 v117, 29, v116
	v_sub_nc_u32_e32 v116, 30, v116
	v_lshlrev_b32_e32 v117, v117, v16
	v_cndmask_b32_e32 v116, v118, v116, vcc_lo
	v_and_b32_e32 v117, 3, v117
	v_lshl_add_u32 v116, v116, 23, 0x37800000
	v_cndmask_b32_e32 v11, v11, v117, vcc_lo
	v_and_b32_e32 v117, 0x80000000, v119
	v_lshlrev_b32_e32 v11, 21, v11
	v_or3_b32 v11, v117, v116, v11
.LBB2_3128:                             ;   in Loop: Header=BB2_2819 Depth=2
	s_or_b32 exec_lo, exec_lo, s29
	v_cmp_gt_i16_sdwa s29, v12, v84 src0_sel:BYTE_0 src1_sel:DWORD
	s_mov_b32 s12, 0
	s_and_saveexec_b32 s40, s29
	s_xor_b32 s29, exec_lo, s40
	s_cbranch_execz .LBB2_3463
; %bb.3129:                             ;   in Loop: Header=BB2_2819 Depth=2
	v_cmp_eq_u16_sdwa s41, v12, v85 src0_sel:BYTE_0 src1_sel:DWORD
	s_mov_b32 s12, -1
	s_and_saveexec_b32 s40, s41
; %bb.3130:                             ;   in Loop: Header=BB2_2819 Depth=2
	s_xor_b32 s12, exec_lo, -1
; %bb.3131:                             ;   in Loop: Header=BB2_2819 Depth=2
	s_or_b32 exec_lo, exec_lo, s40
	s_and_b32 s12, s12, exec_lo
	s_or_saveexec_b32 s29, s29
	v_mov_b32_e32 v116, 0x7f800001
	s_xor_b32 exec_lo, exec_lo, s29
	s_cbranch_execnz .LBB2_3464
.LBB2_3132:                             ;   in Loop: Header=BB2_2819 Depth=2
	s_or_b32 exec_lo, exec_lo, s29
	s_and_saveexec_b32 s29, s12
.LBB2_3133:                             ;   in Loop: Header=BB2_2819 Depth=2
	v_mov_b32_e32 v116, v10
.LBB2_3134:                             ;   in Loop: Header=BB2_2819 Depth=2
	s_or_b32 exec_lo, exec_lo, s29
	v_max_f32_e32 v10, v116, v116
	v_max_f32_e32 v11, v11, v11
	v_min_f32_e32 v11, v11, v10
.LBB2_3135:                             ;   in Loop: Header=BB2_2819 Depth=2
	v_and_b32_e32 v10, 0x7f800000, v11
	v_mov_b32_e32 v116, 0x80
	s_mov_b32 s29, exec_lo
	v_cmpx_ne_u32_e32 0x7f800000, v10
	s_cbranch_execz .LBB2_3143
; %bb.3136:                             ;   in Loop: Header=BB2_2819 Depth=2
	v_mov_b32_e32 v116, 0
	s_mov_b32 s40, exec_lo
	v_cmpx_ne_u32_e32 0, v11
	s_cbranch_execz .LBB2_3142
; %bb.3137:                             ;   in Loop: Header=BB2_2819 Depth=2
	v_bfe_u32 v10, v11, 23, 8
	v_and_b32_e32 v116, 0x7fffff, v11
	v_sub_nc_u32_e32 v117, 0x70, v10
	v_cmp_gt_u32_e32 vcc_lo, 0x71, v10
	v_or_b32_e32 v118, 0x800000, v116
	v_cndmask_b32_e32 v117, 0, v117, vcc_lo
	v_cmp_eq_u32_e32 vcc_lo, 0, v10
	v_add_nc_u32_e32 v10, 0xffffff91, v10
	v_cndmask_b32_e64 v117, v117, 0x6f, vcc_lo
	v_cndmask_b32_e32 v116, v118, v116, vcc_lo
	v_cndmask_b32_e64 v10, v10, 0xffffff92, vcc_lo
	v_lshl_add_u32 v118, 0x200000, v117, -1
	v_lshrrev_b32_e32 v119, v117, v116
	v_lshlrev_b32_e64 v41, v117, 0x100000
	v_add_nc_u32_e32 v117, v117, v10
	v_and_b32_e32 v116, v118, v116
	v_bfe_u32 v40, v119, 21, 1
	v_cmp_eq_u32_e64 s12, v116, v41
	v_add_nc_u32_e32 v118, -1, v40
	v_cndmask_b32_e64 v116, 0, v118, s12
	v_lshrrev_b32_e32 v118, 23, v119
	s_mov_b32 s12, exec_lo
	v_add_nc_u32_e32 v116, v116, v119
	v_xor_b32_e32 v118, 1, v118
	v_and_b32_e32 v10, 0x1fffff, v116
	v_add_nc_u32_e32 v116, v10, v119
                                        ; implicit-def: $vgpr10
	v_cmpx_ne_u32_e64 v117, v118
	s_xor_b32 s12, exec_lo, s12
; %bb.3138:                             ;   in Loop: Header=BB2_2819 Depth=2
	v_cmp_lt_u32_e32 vcc_lo, 0xffffff, v116
	v_sub_nc_u32_e32 v10, v117, v118
	v_cndmask_b32_e64 v117, 0, 1, vcc_lo
	v_add_co_ci_u32_e64 v10, null, 0, v10, vcc_lo
	v_lshrrev_b32_e32 v116, v117, v116
; %bb.3139:                             ;   in Loop: Header=BB2_2819 Depth=2
	s_andn2_saveexec_b32 s12, s12
; %bb.3140:                             ;   in Loop: Header=BB2_2819 Depth=2
	v_bfe_u32 v10, v116, 23, 1
; %bb.3141:                             ;   in Loop: Header=BB2_2819 Depth=2
	s_or_b32 exec_lo, exec_lo, s12
	v_lshrrev_b32_e32 v116, 21, v116
	v_min_i32_e32 v117, 31, v10
	v_cmp_gt_i32_e32 vcc_lo, 32, v10
	v_and_b32_sdwa v11, v11, v85 dst_sel:DWORD dst_unused:UNUSED_PAD src0_sel:BYTE_3 src1_sel:DWORD
	v_lshlrev_b32_e32 v117, 2, v117
	v_cndmask_b32_e32 v116, 3, v116, vcc_lo
	v_and_b32_e32 v117, 0xfc, v117
	v_and_b32_e32 v118, 3, v116
	v_or_b32_e32 v10, v10, v116
	v_or3_b32 v11, v117, v11, v118
	v_cmp_ne_u32_e32 vcc_lo, 0, v10
	v_cndmask_b32_e32 v116, 0, v11, vcc_lo
.LBB2_3142:                             ;   in Loop: Header=BB2_2819 Depth=2
	s_or_b32 exec_lo, exec_lo, s40
.LBB2_3143:                             ;   in Loop: Header=BB2_2819 Depth=2
	s_or_b32 exec_lo, exec_lo, s29
	v_and_b32_sdwa v10, v86, v12 dst_sel:DWORD dst_unused:UNUSED_PAD src0_sel:DWORD src1_sel:BYTE_1
	v_cmp_gt_i16_sdwa s29, v16, v84 src0_sel:BYTE_1 src1_sel:DWORD
	s_mov_b32 s12, -1
	v_and_b32_e32 v11, 3, v10
	v_bfe_u32 v119, v10, 2, 5
	v_ffbh_u32_e32 v117, v11
	v_cmp_eq_u32_e32 vcc_lo, 0, v119
	v_min_u32_e32 v117, 32, v117
	v_subrev_nc_u32_e32 v118, 29, v117
	v_sub_nc_u32_e32 v117, 30, v117
	v_lshlrev_b32_e32 v10, v118, v10
	v_lshlrev_b32_sdwa v118, v87, v12 dst_sel:DWORD dst_unused:UNUSED_PAD src0_sel:DWORD src1_sel:BYTE_1
	v_cndmask_b32_e32 v117, v119, v117, vcc_lo
	v_and_b32_e32 v10, 3, v10
	v_lshl_add_u32 v117, v117, 23, 0x37800000
	v_cndmask_b32_e32 v10, v11, v10, vcc_lo
	v_and_b32_e32 v11, 0x80000000, v118
	s_and_b32 vcc_lo, exec_lo, s28
	v_lshlrev_b32_e32 v10, 21, v10
	v_or3_b32 v10, v11, v117, v10
                                        ; implicit-def: $vgpr11
	s_cbranch_vccz .LBB2_3157
; %bb.3144:                             ;   in Loop: Header=BB2_2819 Depth=2
	s_mov_b32 s12, 0
	s_and_saveexec_b32 s40, s29
	s_xor_b32 s29, exec_lo, s40
	s_cbranch_execz .LBB2_3465
; %bb.3145:                             ;   in Loop: Header=BB2_2819 Depth=2
	v_cmp_eq_u16_sdwa s41, v16, v85 src0_sel:BYTE_1 src1_sel:DWORD
	s_mov_b32 s12, -1
	s_and_saveexec_b32 s40, s41
; %bb.3146:                             ;   in Loop: Header=BB2_2819 Depth=2
	s_xor_b32 s12, exec_lo, -1
; %bb.3147:                             ;   in Loop: Header=BB2_2819 Depth=2
	s_or_b32 exec_lo, exec_lo, s40
	s_and_b32 s12, s12, exec_lo
	s_or_saveexec_b32 s29, s29
	v_mov_b32_e32 v11, 0x7f800001
	s_xor_b32 exec_lo, exec_lo, s29
	s_cbranch_execnz .LBB2_3466
.LBB2_3148:                             ;   in Loop: Header=BB2_2819 Depth=2
	s_or_b32 exec_lo, exec_lo, s29
	s_and_saveexec_b32 s29, s12
	s_cbranch_execz .LBB2_3150
.LBB2_3149:                             ;   in Loop: Header=BB2_2819 Depth=2
	v_and_b32_sdwa v11, v86, v16 dst_sel:DWORD dst_unused:UNUSED_PAD src0_sel:DWORD src1_sel:BYTE_1
	v_and_b32_e32 v117, 3, v11
	v_bfe_u32 v40, v11, 2, 5
	v_ffbh_u32_e32 v118, v117
	v_cmp_eq_u32_e32 vcc_lo, 0, v40
	v_min_u32_e32 v118, 32, v118
	v_subrev_nc_u32_e32 v119, 29, v118
	v_sub_nc_u32_e32 v118, 30, v118
	v_lshlrev_b32_e32 v11, v119, v11
	v_lshlrev_b32_e32 v119, 16, v16
	v_cndmask_b32_e32 v118, v40, v118, vcc_lo
	v_and_b32_e32 v11, 3, v11
	v_lshl_add_u32 v118, v118, 23, 0x37800000
	v_cndmask_b32_e32 v11, v117, v11, vcc_lo
	v_and_b32_e32 v117, 0x80000000, v119
	v_lshlrev_b32_e32 v11, 21, v11
	v_or3_b32 v11, v117, v118, v11
.LBB2_3150:                             ;   in Loop: Header=BB2_2819 Depth=2
	s_or_b32 exec_lo, exec_lo, s29
	v_cmp_gt_i16_sdwa s29, v12, v84 src0_sel:BYTE_1 src1_sel:DWORD
	s_mov_b32 s12, 0
	s_and_saveexec_b32 s40, s29
	s_xor_b32 s29, exec_lo, s40
	s_cbranch_execz .LBB2_3467
; %bb.3151:                             ;   in Loop: Header=BB2_2819 Depth=2
	v_cmp_eq_u16_sdwa s41, v12, v85 src0_sel:BYTE_1 src1_sel:DWORD
	s_mov_b32 s12, -1
	s_and_saveexec_b32 s40, s41
; %bb.3152:                             ;   in Loop: Header=BB2_2819 Depth=2
	s_xor_b32 s12, exec_lo, -1
; %bb.3153:                             ;   in Loop: Header=BB2_2819 Depth=2
	s_or_b32 exec_lo, exec_lo, s40
	s_and_b32 s12, s12, exec_lo
	s_or_saveexec_b32 s29, s29
	v_mov_b32_e32 v117, 0x7f800001
	s_xor_b32 exec_lo, exec_lo, s29
	s_cbranch_execnz .LBB2_3468
.LBB2_3154:                             ;   in Loop: Header=BB2_2819 Depth=2
	s_or_b32 exec_lo, exec_lo, s29
	s_and_saveexec_b32 s29, s12
.LBB2_3155:                             ;   in Loop: Header=BB2_2819 Depth=2
	v_mov_b32_e32 v117, v10
.LBB2_3156:                             ;   in Loop: Header=BB2_2819 Depth=2
	s_or_b32 exec_lo, exec_lo, s29
	v_max_f32_e32 v117, v117, v117
	v_max_f32_e32 v11, v11, v11
	s_mov_b32 s12, 0
	v_max_f32_e32 v11, v11, v117
.LBB2_3157:                             ;   in Loop: Header=BB2_2819 Depth=2
	s_and_b32 vcc_lo, exec_lo, s12
	s_cbranch_vccz .LBB2_3171
; %bb.3158:                             ;   in Loop: Header=BB2_2819 Depth=2
	v_cmp_gt_i16_sdwa s29, v16, v84 src0_sel:BYTE_1 src1_sel:DWORD
	s_mov_b32 s12, 0
	s_and_saveexec_b32 s40, s29
	s_xor_b32 s29, exec_lo, s40
	s_cbranch_execz .LBB2_3469
; %bb.3159:                             ;   in Loop: Header=BB2_2819 Depth=2
	v_cmp_eq_u16_sdwa s41, v16, v85 src0_sel:BYTE_1 src1_sel:DWORD
	s_mov_b32 s12, -1
	s_and_saveexec_b32 s40, s41
; %bb.3160:                             ;   in Loop: Header=BB2_2819 Depth=2
	s_xor_b32 s12, exec_lo, -1
; %bb.3161:                             ;   in Loop: Header=BB2_2819 Depth=2
	s_or_b32 exec_lo, exec_lo, s40
	s_and_b32 s12, s12, exec_lo
	s_or_saveexec_b32 s29, s29
	v_mov_b32_e32 v11, 0x7f800001
	s_xor_b32 exec_lo, exec_lo, s29
	s_cbranch_execnz .LBB2_3470
.LBB2_3162:                             ;   in Loop: Header=BB2_2819 Depth=2
	s_or_b32 exec_lo, exec_lo, s29
	s_and_saveexec_b32 s29, s12
	s_cbranch_execz .LBB2_3164
.LBB2_3163:                             ;   in Loop: Header=BB2_2819 Depth=2
	v_and_b32_sdwa v11, v86, v16 dst_sel:DWORD dst_unused:UNUSED_PAD src0_sel:DWORD src1_sel:BYTE_1
	v_and_b32_e32 v117, 3, v11
	v_bfe_u32 v40, v11, 2, 5
	v_ffbh_u32_e32 v118, v117
	v_cmp_eq_u32_e32 vcc_lo, 0, v40
	v_min_u32_e32 v118, 32, v118
	v_subrev_nc_u32_e32 v119, 29, v118
	v_sub_nc_u32_e32 v118, 30, v118
	v_lshlrev_b32_e32 v11, v119, v11
	v_lshlrev_b32_e32 v119, 16, v16
	v_cndmask_b32_e32 v118, v40, v118, vcc_lo
	v_and_b32_e32 v11, 3, v11
	v_lshl_add_u32 v118, v118, 23, 0x37800000
	v_cndmask_b32_e32 v11, v117, v11, vcc_lo
	v_and_b32_e32 v117, 0x80000000, v119
	v_lshlrev_b32_e32 v11, 21, v11
	v_or3_b32 v11, v117, v118, v11
.LBB2_3164:                             ;   in Loop: Header=BB2_2819 Depth=2
	s_or_b32 exec_lo, exec_lo, s29
	v_cmp_gt_i16_sdwa s29, v12, v84 src0_sel:BYTE_1 src1_sel:DWORD
	s_mov_b32 s12, 0
	s_and_saveexec_b32 s40, s29
	s_xor_b32 s29, exec_lo, s40
	s_cbranch_execz .LBB2_3471
; %bb.3165:                             ;   in Loop: Header=BB2_2819 Depth=2
	v_cmp_eq_u16_sdwa s41, v12, v85 src0_sel:BYTE_1 src1_sel:DWORD
	s_mov_b32 s12, -1
	s_and_saveexec_b32 s40, s41
; %bb.3166:                             ;   in Loop: Header=BB2_2819 Depth=2
	s_xor_b32 s12, exec_lo, -1
; %bb.3167:                             ;   in Loop: Header=BB2_2819 Depth=2
	s_or_b32 exec_lo, exec_lo, s40
	s_and_b32 s12, s12, exec_lo
	s_or_saveexec_b32 s29, s29
	v_mov_b32_e32 v117, 0x7f800001
	s_xor_b32 exec_lo, exec_lo, s29
	s_cbranch_execnz .LBB2_3472
.LBB2_3168:                             ;   in Loop: Header=BB2_2819 Depth=2
	s_or_b32 exec_lo, exec_lo, s29
	s_and_saveexec_b32 s29, s12
.LBB2_3169:                             ;   in Loop: Header=BB2_2819 Depth=2
	v_mov_b32_e32 v117, v10
.LBB2_3170:                             ;   in Loop: Header=BB2_2819 Depth=2
	s_or_b32 exec_lo, exec_lo, s29
	v_max_f32_e32 v10, v117, v117
	v_max_f32_e32 v11, v11, v11
	v_min_f32_e32 v11, v11, v10
.LBB2_3171:                             ;   in Loop: Header=BB2_2819 Depth=2
	v_and_b32_e32 v10, 0x7f800000, v11
	v_mov_b32_e32 v117, 0x8000
	s_mov_b32 s29, exec_lo
	v_cmpx_ne_u32_e32 0x7f800000, v10
	s_cbranch_execz .LBB2_3179
; %bb.3172:                             ;   in Loop: Header=BB2_2819 Depth=2
	v_mov_b32_e32 v117, 0
	s_mov_b32 s40, exec_lo
	v_cmpx_ne_u32_e32 0, v11
	s_cbranch_execz .LBB2_3178
; %bb.3173:                             ;   in Loop: Header=BB2_2819 Depth=2
	v_bfe_u32 v10, v11, 23, 8
	v_and_b32_e32 v117, 0x7fffff, v11
	v_sub_nc_u32_e32 v118, 0x70, v10
	v_cmp_gt_u32_e32 vcc_lo, 0x71, v10
	v_or_b32_e32 v119, 0x800000, v117
	v_cndmask_b32_e32 v118, 0, v118, vcc_lo
	v_cmp_eq_u32_e32 vcc_lo, 0, v10
	v_add_nc_u32_e32 v10, 0xffffff91, v10
	v_cndmask_b32_e64 v118, v118, 0x6f, vcc_lo
	v_cndmask_b32_e32 v117, v119, v117, vcc_lo
	v_cndmask_b32_e64 v10, v10, 0xffffff92, vcc_lo
	v_lshl_add_u32 v119, 0x200000, v118, -1
	v_lshrrev_b32_e32 v40, v118, v117
	v_lshlrev_b32_e64 v42, v118, 0x100000
	v_add_nc_u32_e32 v118, v118, v10
	v_and_b32_e32 v117, v119, v117
	v_bfe_u32 v41, v40, 21, 1
	v_cmp_eq_u32_e64 s12, v117, v42
	v_add_nc_u32_e32 v119, -1, v41
	v_cndmask_b32_e64 v117, 0, v119, s12
	v_lshrrev_b32_e32 v119, 23, v40
	s_mov_b32 s12, exec_lo
	v_add_nc_u32_e32 v117, v117, v40
	v_xor_b32_e32 v119, 1, v119
	v_and_b32_e32 v10, 0x1fffff, v117
	v_add_nc_u32_e32 v117, v10, v40
                                        ; implicit-def: $vgpr10
	v_cmpx_ne_u32_e64 v118, v119
	s_xor_b32 s12, exec_lo, s12
; %bb.3174:                             ;   in Loop: Header=BB2_2819 Depth=2
	v_cmp_lt_u32_e32 vcc_lo, 0xffffff, v117
	v_sub_nc_u32_e32 v10, v118, v119
	v_cndmask_b32_e64 v118, 0, 1, vcc_lo
	v_add_co_ci_u32_e64 v10, null, 0, v10, vcc_lo
	v_lshrrev_b32_e32 v117, v118, v117
; %bb.3175:                             ;   in Loop: Header=BB2_2819 Depth=2
	s_andn2_saveexec_b32 s12, s12
; %bb.3176:                             ;   in Loop: Header=BB2_2819 Depth=2
	v_bfe_u32 v10, v117, 23, 1
; %bb.3177:                             ;   in Loop: Header=BB2_2819 Depth=2
	s_or_b32 exec_lo, exec_lo, s12
	v_lshrrev_b32_e32 v117, 21, v117
	v_min_i32_e32 v118, 31, v10
	v_cmp_gt_i32_e32 vcc_lo, 32, v10
	v_and_b32_sdwa v11, v11, v85 dst_sel:DWORD dst_unused:UNUSED_PAD src0_sel:BYTE_3 src1_sel:DWORD
	v_lshlrev_b32_e32 v118, 2, v118
	v_cndmask_b32_e32 v117, 3, v117, vcc_lo
	v_and_b32_e32 v118, 0xfc, v118
	v_and_b32_e32 v119, 3, v117
	v_or_b32_e32 v10, v10, v117
	v_or3_b32 v11, v11, v118, v119
	v_cmp_ne_u32_e32 vcc_lo, 0, v10
	v_lshlrev_b32_e32 v11, 8, v11
	v_cndmask_b32_e32 v117, 0, v11, vcc_lo
.LBB2_3178:                             ;   in Loop: Header=BB2_2819 Depth=2
	s_or_b32 exec_lo, exec_lo, s40
.LBB2_3179:                             ;   in Loop: Header=BB2_2819 Depth=2
	s_or_b32 exec_lo, exec_lo, s29
	v_bfe_u32 v10, v12, 16, 2
	v_bfe_u32 v119, v12, 18, 5
	v_lshlrev_b32_e32 v40, 8, v12
	s_mov_b32 s29, -1
	v_ffbh_u32_e32 v11, v10
	v_cmp_eq_u32_e32 vcc_lo, 0, v119
	v_min_u32_e32 v11, 32, v11
	v_subrev_nc_u32_e32 v118, 29, v11
	v_sub_nc_u32_e32 v11, 30, v11
	v_lshlrev_b32_sdwa v118, v118, v12 dst_sel:DWORD dst_unused:UNUSED_PAD src0_sel:DWORD src1_sel:WORD_1
	v_cndmask_b32_e32 v11, v119, v11, vcc_lo
	v_and_b32_e32 v118, 3, v118
	v_lshl_add_u32 v119, v11, 23, 0x37800000
	v_and_b32_sdwa v11, v16, v96 dst_sel:DWORD dst_unused:UNUSED_PAD src0_sel:WORD_1 src1_sel:DWORD
	v_cndmask_b32_e32 v10, v10, v118, vcc_lo
	v_and_b32_e32 v118, 0x80000000, v40
	v_cmp_lt_i16_e64 s12, 0x7f, v11
	s_and_b32 vcc_lo, exec_lo, s28
	v_lshlrev_b32_e32 v10, 21, v10
	v_or3_b32 v10, v118, v119, v10
                                        ; implicit-def: $vgpr119
	s_cbranch_vccz .LBB2_3193
; %bb.3180:                             ;   in Loop: Header=BB2_2819 Depth=2
	s_mov_b32 s29, 0
	s_and_saveexec_b32 s40, s12
	s_xor_b32 s12, exec_lo, s40
	s_cbranch_execz .LBB2_3473
; %bb.3181:                             ;   in Loop: Header=BB2_2819 Depth=2
	s_mov_b32 s29, -1
	s_mov_b32 s40, exec_lo
	v_cmpx_eq_u16_e32 0x80, v11
; %bb.3182:                             ;   in Loop: Header=BB2_2819 Depth=2
	s_xor_b32 s29, exec_lo, -1
; %bb.3183:                             ;   in Loop: Header=BB2_2819 Depth=2
	s_or_b32 exec_lo, exec_lo, s40
	s_and_b32 s29, s29, exec_lo
	s_or_saveexec_b32 s12, s12
	v_mov_b32_e32 v118, 0x7f800001
	s_xor_b32 exec_lo, exec_lo, s12
	s_cbranch_execnz .LBB2_3474
.LBB2_3184:                             ;   in Loop: Header=BB2_2819 Depth=2
	s_or_b32 exec_lo, exec_lo, s12
	s_and_saveexec_b32 s12, s29
	s_cbranch_execz .LBB2_3186
.LBB2_3185:                             ;   in Loop: Header=BB2_2819 Depth=2
	v_bfe_u32 v118, v16, 16, 2
	v_bfe_u32 v41, v16, 18, 5
	v_lshlrev_b32_sdwa v42, v87, v16 dst_sel:DWORD dst_unused:UNUSED_PAD src0_sel:DWORD src1_sel:WORD_1
	v_ffbh_u32_e32 v119, v118
	v_cmp_eq_u32_e32 vcc_lo, 0, v41
	v_min_u32_e32 v119, 32, v119
	v_subrev_nc_u32_e32 v40, 29, v119
	v_sub_nc_u32_e32 v119, 30, v119
	v_lshlrev_b32_sdwa v40, v40, v16 dst_sel:DWORD dst_unused:UNUSED_PAD src0_sel:DWORD src1_sel:WORD_1
	v_cndmask_b32_e32 v119, v41, v119, vcc_lo
	v_and_b32_e32 v40, 3, v40
	v_lshl_add_u32 v119, v119, 23, 0x37800000
	v_cndmask_b32_e32 v118, v118, v40, vcc_lo
	v_and_b32_e32 v40, 0x80000000, v42
	v_lshlrev_b32_e32 v118, 21, v118
	v_or3_b32 v118, v40, v119, v118
.LBB2_3186:                             ;   in Loop: Header=BB2_2819 Depth=2
	s_or_b32 exec_lo, exec_lo, s12
	v_and_b32_sdwa v40, v12, v96 dst_sel:DWORD dst_unused:UNUSED_PAD src0_sel:WORD_1 src1_sel:DWORD
	s_mov_b32 s12, 0
	s_mov_b32 s29, exec_lo
	v_cmpx_lt_i16_e32 0x7f, v40
	s_xor_b32 s29, exec_lo, s29
	s_cbranch_execz .LBB2_3475
; %bb.3187:                             ;   in Loop: Header=BB2_2819 Depth=2
	s_mov_b32 s12, -1
	s_mov_b32 s40, exec_lo
	v_cmpx_eq_u16_e32 0x80, v40
; %bb.3188:                             ;   in Loop: Header=BB2_2819 Depth=2
	s_xor_b32 s12, exec_lo, -1
; %bb.3189:                             ;   in Loop: Header=BB2_2819 Depth=2
	s_or_b32 exec_lo, exec_lo, s40
	s_and_b32 s12, s12, exec_lo
                                        ; implicit-def: $vgpr40
	s_or_saveexec_b32 s29, s29
	v_mov_b32_e32 v119, 0x7f800001
	s_xor_b32 exec_lo, exec_lo, s29
	s_cbranch_execnz .LBB2_3476
.LBB2_3190:                             ;   in Loop: Header=BB2_2819 Depth=2
	s_or_b32 exec_lo, exec_lo, s29
	s_and_saveexec_b32 s29, s12
.LBB2_3191:                             ;   in Loop: Header=BB2_2819 Depth=2
	v_mov_b32_e32 v119, v10
.LBB2_3192:                             ;   in Loop: Header=BB2_2819 Depth=2
	s_or_b32 exec_lo, exec_lo, s29
	v_max_f32_e32 v119, v119, v119
	v_max_f32_e32 v118, v118, v118
	s_mov_b32 s29, 0
	v_max_f32_e32 v119, v118, v119
.LBB2_3193:                             ;   in Loop: Header=BB2_2819 Depth=2
	s_and_b32 vcc_lo, exec_lo, s29
	s_cbranch_vccz .LBB2_3207
; %bb.3194:                             ;   in Loop: Header=BB2_2819 Depth=2
	s_mov_b32 s12, 0
	s_mov_b32 s29, exec_lo
	v_cmpx_lt_i16_e32 0x7f, v11
	s_xor_b32 s29, exec_lo, s29
	s_cbranch_execz .LBB2_3477
; %bb.3195:                             ;   in Loop: Header=BB2_2819 Depth=2
	s_mov_b32 s12, -1
	s_mov_b32 s40, exec_lo
	v_cmpx_eq_u16_e32 0x80, v11
; %bb.3196:                             ;   in Loop: Header=BB2_2819 Depth=2
	s_xor_b32 s12, exec_lo, -1
; %bb.3197:                             ;   in Loop: Header=BB2_2819 Depth=2
	s_or_b32 exec_lo, exec_lo, s40
	s_and_b32 s12, s12, exec_lo
                                        ; implicit-def: $vgpr11
	s_or_saveexec_b32 s29, s29
	v_mov_b32_e32 v118, 0x7f800001
	s_xor_b32 exec_lo, exec_lo, s29
	s_cbranch_execnz .LBB2_3478
.LBB2_3198:                             ;   in Loop: Header=BB2_2819 Depth=2
	s_or_b32 exec_lo, exec_lo, s29
	s_and_saveexec_b32 s29, s12
	s_cbranch_execz .LBB2_3200
.LBB2_3199:                             ;   in Loop: Header=BB2_2819 Depth=2
	v_bfe_u32 v11, v16, 16, 2
	v_bfe_u32 v40, v16, 18, 5
	v_lshlrev_b32_sdwa v41, v87, v16 dst_sel:DWORD dst_unused:UNUSED_PAD src0_sel:DWORD src1_sel:WORD_1
	v_ffbh_u32_e32 v118, v11
	v_cmp_eq_u32_e32 vcc_lo, 0, v40
	v_min_u32_e32 v118, 32, v118
	v_subrev_nc_u32_e32 v119, 29, v118
	v_sub_nc_u32_e32 v118, 30, v118
	v_lshlrev_b32_sdwa v119, v119, v16 dst_sel:DWORD dst_unused:UNUSED_PAD src0_sel:DWORD src1_sel:WORD_1
	v_cndmask_b32_e32 v118, v40, v118, vcc_lo
	v_and_b32_e32 v119, 3, v119
	v_lshl_add_u32 v118, v118, 23, 0x37800000
	v_cndmask_b32_e32 v11, v11, v119, vcc_lo
	v_and_b32_e32 v119, 0x80000000, v41
	v_lshlrev_b32_e32 v11, 21, v11
	v_or3_b32 v118, v119, v118, v11
.LBB2_3200:                             ;   in Loop: Header=BB2_2819 Depth=2
	s_or_b32 exec_lo, exec_lo, s29
	v_and_b32_sdwa v119, v12, v96 dst_sel:DWORD dst_unused:UNUSED_PAD src0_sel:WORD_1 src1_sel:DWORD
	s_mov_b32 s12, 0
	s_mov_b32 s29, exec_lo
	v_cmpx_lt_i16_e32 0x7f, v119
	s_xor_b32 s29, exec_lo, s29
	s_cbranch_execz .LBB2_3479
; %bb.3201:                             ;   in Loop: Header=BB2_2819 Depth=2
	s_mov_b32 s12, -1
	s_mov_b32 s40, exec_lo
	v_cmpx_eq_u16_e32 0x80, v119
; %bb.3202:                             ;   in Loop: Header=BB2_2819 Depth=2
	s_xor_b32 s12, exec_lo, -1
; %bb.3203:                             ;   in Loop: Header=BB2_2819 Depth=2
	s_or_b32 exec_lo, exec_lo, s40
	s_and_b32 s12, s12, exec_lo
                                        ; implicit-def: $vgpr119
	s_or_saveexec_b32 s29, s29
	v_mov_b32_e32 v11, 0x7f800001
	s_xor_b32 exec_lo, exec_lo, s29
	s_cbranch_execnz .LBB2_3480
.LBB2_3204:                             ;   in Loop: Header=BB2_2819 Depth=2
	s_or_b32 exec_lo, exec_lo, s29
	s_and_saveexec_b32 s29, s12
.LBB2_3205:                             ;   in Loop: Header=BB2_2819 Depth=2
	v_mov_b32_e32 v11, v10
.LBB2_3206:                             ;   in Loop: Header=BB2_2819 Depth=2
	s_or_b32 exec_lo, exec_lo, s29
	v_max_f32_e32 v10, v11, v11
	v_max_f32_e32 v11, v118, v118
	v_min_f32_e32 v119, v11, v10
.LBB2_3207:                             ;   in Loop: Header=BB2_2819 Depth=2
	v_and_b32_e32 v10, 0x7f800000, v119
	v_mov_b32_e32 v118, 0x80
	s_mov_b32 s29, exec_lo
	v_cmpx_ne_u32_e32 0x7f800000, v10
	s_cbranch_execz .LBB2_3215
; %bb.3208:                             ;   in Loop: Header=BB2_2819 Depth=2
	v_mov_b32_e32 v118, 0
	s_mov_b32 s40, exec_lo
	v_cmpx_ne_u32_e32 0, v119
	s_cbranch_execz .LBB2_3214
; %bb.3209:                             ;   in Loop: Header=BB2_2819 Depth=2
	v_bfe_u32 v10, v119, 23, 8
	v_and_b32_e32 v11, 0x7fffff, v119
	v_sub_nc_u32_e32 v118, 0x70, v10
	v_cmp_gt_u32_e32 vcc_lo, 0x71, v10
	v_or_b32_e32 v40, 0x800000, v11
	v_cndmask_b32_e32 v118, 0, v118, vcc_lo
	v_cmp_eq_u32_e32 vcc_lo, 0, v10
	v_add_nc_u32_e32 v10, 0xffffff91, v10
	v_cndmask_b32_e64 v118, v118, 0x6f, vcc_lo
	v_cndmask_b32_e32 v11, v40, v11, vcc_lo
	v_cndmask_b32_e64 v10, v10, 0xffffff92, vcc_lo
	v_lshl_add_u32 v40, 0x200000, v118, -1
	v_lshrrev_b32_e32 v41, v118, v11
	v_lshlrev_b32_e64 v43, v118, 0x100000
	v_add_nc_u32_e32 v118, v118, v10
	v_and_b32_e32 v11, v40, v11
	v_bfe_u32 v42, v41, 21, 1
	v_cmp_eq_u32_e64 s12, v11, v43
	v_add_nc_u32_e32 v40, -1, v42
	v_cndmask_b32_e64 v11, 0, v40, s12
	v_lshrrev_b32_e32 v40, 23, v41
	s_mov_b32 s12, exec_lo
	v_add_nc_u32_e32 v11, v11, v41
	v_xor_b32_e32 v40, 1, v40
	v_and_b32_e32 v10, 0x1fffff, v11
	v_add_nc_u32_e32 v11, v10, v41
                                        ; implicit-def: $vgpr10
	v_cmpx_ne_u32_e64 v118, v40
	s_xor_b32 s12, exec_lo, s12
; %bb.3210:                             ;   in Loop: Header=BB2_2819 Depth=2
	v_cmp_lt_u32_e32 vcc_lo, 0xffffff, v11
	v_sub_nc_u32_e32 v10, v118, v40
	v_cndmask_b32_e64 v118, 0, 1, vcc_lo
	v_add_co_ci_u32_e64 v10, null, 0, v10, vcc_lo
	v_lshrrev_b32_e32 v11, v118, v11
; %bb.3211:                             ;   in Loop: Header=BB2_2819 Depth=2
	s_andn2_saveexec_b32 s12, s12
; %bb.3212:                             ;   in Loop: Header=BB2_2819 Depth=2
	v_bfe_u32 v10, v11, 23, 1
; %bb.3213:                             ;   in Loop: Header=BB2_2819 Depth=2
	s_or_b32 exec_lo, exec_lo, s12
	v_lshrrev_b32_e32 v11, 21, v11
	v_min_i32_e32 v118, 31, v10
	v_cmp_gt_i32_e32 vcc_lo, 32, v10
	v_and_b32_sdwa v119, v119, v85 dst_sel:DWORD dst_unused:UNUSED_PAD src0_sel:BYTE_3 src1_sel:DWORD
	v_lshlrev_b32_e32 v118, 2, v118
	v_cndmask_b32_e32 v11, 3, v11, vcc_lo
	v_and_b32_e32 v118, 0xfc, v118
	v_and_b32_e32 v40, 3, v11
	v_or_b32_e32 v10, v10, v11
	v_or3_b32 v11, v118, v119, v40
	v_cmp_ne_u32_e32 vcc_lo, 0, v10
	v_cndmask_b32_e32 v118, 0, v11, vcc_lo
.LBB2_3214:                             ;   in Loop: Header=BB2_2819 Depth=2
	s_or_b32 exec_lo, exec_lo, s40
.LBB2_3215:                             ;   in Loop: Header=BB2_2819 Depth=2
	s_or_b32 exec_lo, exec_lo, s29
	v_bfe_u32 v10, v12, 24, 2
	v_bfe_u32 v40, v12, 26, 5
	v_cmp_gt_i16_sdwa s29, v16, v84 src0_sel:BYTE_3 src1_sel:DWORD
	s_mov_b32 s12, -1
	v_ffbh_u32_e32 v11, v10
	v_cmp_eq_u32_e32 vcc_lo, 0, v40
	v_min_u32_e32 v11, 32, v11
	v_subrev_nc_u32_e32 v119, 29, v11
	v_sub_nc_u32_e32 v11, 30, v11
	v_lshlrev_b32_sdwa v119, v119, v12 dst_sel:DWORD dst_unused:UNUSED_PAD src0_sel:DWORD src1_sel:BYTE_3
	v_cndmask_b32_e32 v11, v40, v11, vcc_lo
	v_and_b32_e32 v119, 3, v119
	v_lshl_add_u32 v11, v11, 23, 0x37800000
	v_cndmask_b32_e32 v10, v10, v119, vcc_lo
	v_and_b32_e32 v119, 0x80000000, v12
	s_and_b32 vcc_lo, exec_lo, s28
	v_lshlrev_b32_e32 v10, 21, v10
	v_or3_b32 v10, v119, v11, v10
                                        ; implicit-def: $vgpr11
	s_cbranch_vccz .LBB2_3229
; %bb.3216:                             ;   in Loop: Header=BB2_2819 Depth=2
	s_mov_b32 s12, 0
	s_and_saveexec_b32 s40, s29
	s_xor_b32 s29, exec_lo, s40
	s_cbranch_execz .LBB2_3481
; %bb.3217:                             ;   in Loop: Header=BB2_2819 Depth=2
	v_cmp_eq_u16_sdwa s41, v16, v85 src0_sel:BYTE_3 src1_sel:DWORD
	s_mov_b32 s12, -1
	s_and_saveexec_b32 s40, s41
; %bb.3218:                             ;   in Loop: Header=BB2_2819 Depth=2
	s_xor_b32 s12, exec_lo, -1
; %bb.3219:                             ;   in Loop: Header=BB2_2819 Depth=2
	s_or_b32 exec_lo, exec_lo, s40
	s_and_b32 s12, s12, exec_lo
	s_or_saveexec_b32 s29, s29
	v_mov_b32_e32 v11, 0x7f800001
	s_xor_b32 exec_lo, exec_lo, s29
	s_cbranch_execnz .LBB2_3482
.LBB2_3220:                             ;   in Loop: Header=BB2_2819 Depth=2
	s_or_b32 exec_lo, exec_lo, s29
	s_and_saveexec_b32 s29, s12
	s_cbranch_execz .LBB2_3222
.LBB2_3221:                             ;   in Loop: Header=BB2_2819 Depth=2
	v_bfe_u32 v11, v16, 24, 2
	v_bfe_u32 v41, v16, 26, 5
	v_ffbh_u32_e32 v119, v11
	v_cmp_eq_u32_e32 vcc_lo, 0, v41
	v_min_u32_e32 v119, 32, v119
	v_subrev_nc_u32_e32 v40, 29, v119
	v_sub_nc_u32_e32 v119, 30, v119
	v_lshlrev_b32_sdwa v40, v40, v16 dst_sel:DWORD dst_unused:UNUSED_PAD src0_sel:DWORD src1_sel:BYTE_3
	v_cndmask_b32_e32 v119, v41, v119, vcc_lo
	v_and_b32_e32 v40, 3, v40
	v_lshl_add_u32 v119, v119, 23, 0x37800000
	v_cndmask_b32_e32 v11, v11, v40, vcc_lo
	v_and_b32_e32 v40, 0x80000000, v16
	v_lshlrev_b32_e32 v11, 21, v11
	v_or3_b32 v11, v40, v119, v11
.LBB2_3222:                             ;   in Loop: Header=BB2_2819 Depth=2
	s_or_b32 exec_lo, exec_lo, s29
	v_cmp_gt_i16_sdwa s29, v12, v84 src0_sel:BYTE_3 src1_sel:DWORD
	s_mov_b32 s12, 0
	s_and_saveexec_b32 s40, s29
	s_xor_b32 s29, exec_lo, s40
	s_cbranch_execz .LBB2_3483
; %bb.3223:                             ;   in Loop: Header=BB2_2819 Depth=2
	v_cmp_eq_u16_sdwa s41, v12, v85 src0_sel:BYTE_3 src1_sel:DWORD
	s_mov_b32 s12, -1
	s_and_saveexec_b32 s40, s41
; %bb.3224:                             ;   in Loop: Header=BB2_2819 Depth=2
	s_xor_b32 s12, exec_lo, -1
; %bb.3225:                             ;   in Loop: Header=BB2_2819 Depth=2
	s_or_b32 exec_lo, exec_lo, s40
	s_and_b32 s12, s12, exec_lo
	s_or_saveexec_b32 s29, s29
	v_mov_b32_e32 v119, 0x7f800001
	s_xor_b32 exec_lo, exec_lo, s29
	s_cbranch_execnz .LBB2_3484
.LBB2_3226:                             ;   in Loop: Header=BB2_2819 Depth=2
	s_or_b32 exec_lo, exec_lo, s29
	s_and_saveexec_b32 s29, s12
.LBB2_3227:                             ;   in Loop: Header=BB2_2819 Depth=2
	v_mov_b32_e32 v119, v10
.LBB2_3228:                             ;   in Loop: Header=BB2_2819 Depth=2
	s_or_b32 exec_lo, exec_lo, s29
	v_max_f32_e32 v119, v119, v119
	v_max_f32_e32 v11, v11, v11
	s_mov_b32 s12, 0
	v_max_f32_e32 v11, v11, v119
.LBB2_3229:                             ;   in Loop: Header=BB2_2819 Depth=2
	s_and_b32 vcc_lo, exec_lo, s12
	s_cbranch_vccz .LBB2_3243
; %bb.3230:                             ;   in Loop: Header=BB2_2819 Depth=2
	v_cmp_gt_i16_sdwa s29, v16, v84 src0_sel:BYTE_3 src1_sel:DWORD
	s_mov_b32 s12, 0
	s_and_saveexec_b32 s40, s29
	s_xor_b32 s29, exec_lo, s40
	s_cbranch_execz .LBB2_3485
; %bb.3231:                             ;   in Loop: Header=BB2_2819 Depth=2
	v_cmp_eq_u16_sdwa s41, v16, v85 src0_sel:BYTE_3 src1_sel:DWORD
	s_mov_b32 s12, -1
	s_and_saveexec_b32 s40, s41
; %bb.3232:                             ;   in Loop: Header=BB2_2819 Depth=2
	s_xor_b32 s12, exec_lo, -1
; %bb.3233:                             ;   in Loop: Header=BB2_2819 Depth=2
	s_or_b32 exec_lo, exec_lo, s40
	s_and_b32 s12, s12, exec_lo
	s_or_saveexec_b32 s29, s29
	v_mov_b32_e32 v11, 0x7f800001
	s_xor_b32 exec_lo, exec_lo, s29
	s_cbranch_execnz .LBB2_3486
.LBB2_3234:                             ;   in Loop: Header=BB2_2819 Depth=2
	s_or_b32 exec_lo, exec_lo, s29
	s_and_saveexec_b32 s29, s12
	s_cbranch_execz .LBB2_3236
.LBB2_3235:                             ;   in Loop: Header=BB2_2819 Depth=2
	v_bfe_u32 v11, v16, 24, 2
	v_bfe_u32 v41, v16, 26, 5
	v_ffbh_u32_e32 v119, v11
	v_cmp_eq_u32_e32 vcc_lo, 0, v41
	v_min_u32_e32 v119, 32, v119
	v_subrev_nc_u32_e32 v40, 29, v119
	v_sub_nc_u32_e32 v119, 30, v119
	v_lshlrev_b32_sdwa v40, v40, v16 dst_sel:DWORD dst_unused:UNUSED_PAD src0_sel:DWORD src1_sel:BYTE_3
	v_cndmask_b32_e32 v119, v41, v119, vcc_lo
	v_and_b32_e32 v16, 0x80000000, v16
	v_and_b32_e32 v40, 3, v40
	v_lshl_add_u32 v119, v119, 23, 0x37800000
	v_cndmask_b32_e32 v11, v11, v40, vcc_lo
	v_lshlrev_b32_e32 v11, 21, v11
	v_or3_b32 v11, v16, v119, v11
.LBB2_3236:                             ;   in Loop: Header=BB2_2819 Depth=2
	s_or_b32 exec_lo, exec_lo, s29
	v_cmp_gt_i16_sdwa s29, v12, v84 src0_sel:BYTE_3 src1_sel:DWORD
	s_mov_b32 s12, 0
	s_and_saveexec_b32 s40, s29
	s_xor_b32 s29, exec_lo, s40
	s_cbranch_execz .LBB2_3487
; %bb.3237:                             ;   in Loop: Header=BB2_2819 Depth=2
	v_cmp_eq_u16_sdwa s41, v12, v85 src0_sel:BYTE_3 src1_sel:DWORD
	s_mov_b32 s12, -1
	s_and_saveexec_b32 s40, s41
; %bb.3238:                             ;   in Loop: Header=BB2_2819 Depth=2
	s_xor_b32 s12, exec_lo, -1
; %bb.3239:                             ;   in Loop: Header=BB2_2819 Depth=2
	s_or_b32 exec_lo, exec_lo, s40
	s_and_b32 s12, s12, exec_lo
	s_or_saveexec_b32 s29, s29
	v_mov_b32_e32 v16, 0x7f800001
	s_xor_b32 exec_lo, exec_lo, s29
	s_cbranch_execnz .LBB2_3488
.LBB2_3240:                             ;   in Loop: Header=BB2_2819 Depth=2
	s_or_b32 exec_lo, exec_lo, s29
	s_and_saveexec_b32 s29, s12
.LBB2_3241:                             ;   in Loop: Header=BB2_2819 Depth=2
	v_mov_b32_e32 v16, v10
.LBB2_3242:                             ;   in Loop: Header=BB2_2819 Depth=2
	s_or_b32 exec_lo, exec_lo, s29
	v_max_f32_e32 v10, v16, v16
	v_max_f32_e32 v11, v11, v11
	v_min_f32_e32 v11, v11, v10
.LBB2_3243:                             ;   in Loop: Header=BB2_2819 Depth=2
	v_and_b32_e32 v10, 0x7f800000, v11
	v_mov_b32_e32 v16, 0x8000
	s_mov_b32 s29, exec_lo
	v_cmpx_ne_u32_e32 0x7f800000, v10
	s_cbranch_execz .LBB2_3251
; %bb.3244:                             ;   in Loop: Header=BB2_2819 Depth=2
	v_mov_b32_e32 v16, 0
	s_mov_b32 s40, exec_lo
	v_cmpx_ne_u32_e32 0, v11
	s_cbranch_execz .LBB2_3250
; %bb.3245:                             ;   in Loop: Header=BB2_2819 Depth=2
	v_bfe_u32 v10, v11, 23, 8
	v_and_b32_e32 v12, 0x7fffff, v11
	v_sub_nc_u32_e32 v16, 0x70, v10
	v_cmp_gt_u32_e32 vcc_lo, 0x71, v10
	v_or_b32_e32 v119, 0x800000, v12
	v_cndmask_b32_e32 v16, 0, v16, vcc_lo
	v_cmp_eq_u32_e32 vcc_lo, 0, v10
	v_add_nc_u32_e32 v10, 0xffffff91, v10
	v_cndmask_b32_e64 v16, v16, 0x6f, vcc_lo
	v_cndmask_b32_e32 v12, v119, v12, vcc_lo
	v_cndmask_b32_e64 v10, v10, 0xffffff92, vcc_lo
	v_lshl_add_u32 v119, 0x200000, v16, -1
	v_lshrrev_b32_e32 v40, v16, v12
	v_lshlrev_b32_e64 v42, v16, 0x100000
	v_add_nc_u32_e32 v16, v16, v10
	v_and_b32_e32 v12, v119, v12
	v_bfe_u32 v41, v40, 21, 1
	v_cmp_eq_u32_e64 s12, v12, v42
	v_add_nc_u32_e32 v119, -1, v41
	v_cndmask_b32_e64 v12, 0, v119, s12
	v_lshrrev_b32_e32 v119, 23, v40
	s_mov_b32 s12, exec_lo
	v_add_nc_u32_e32 v12, v12, v40
	v_xor_b32_e32 v119, 1, v119
	v_and_b32_e32 v10, 0x1fffff, v12
	v_add_nc_u32_e32 v12, v10, v40
                                        ; implicit-def: $vgpr10
	v_cmpx_ne_u32_e64 v16, v119
	s_xor_b32 s12, exec_lo, s12
; %bb.3246:                             ;   in Loop: Header=BB2_2819 Depth=2
	v_cmp_lt_u32_e32 vcc_lo, 0xffffff, v12
	v_sub_nc_u32_e32 v10, v16, v119
	v_cndmask_b32_e64 v16, 0, 1, vcc_lo
	v_add_co_ci_u32_e64 v10, null, 0, v10, vcc_lo
	v_lshrrev_b32_e32 v12, v16, v12
; %bb.3247:                             ;   in Loop: Header=BB2_2819 Depth=2
	s_andn2_saveexec_b32 s12, s12
; %bb.3248:                             ;   in Loop: Header=BB2_2819 Depth=2
	v_bfe_u32 v10, v12, 23, 1
; %bb.3249:                             ;   in Loop: Header=BB2_2819 Depth=2
	s_or_b32 exec_lo, exec_lo, s12
	v_lshrrev_b32_e32 v12, 21, v12
	v_min_i32_e32 v16, 31, v10
	v_cmp_gt_i32_e32 vcc_lo, 32, v10
	v_and_b32_sdwa v11, v11, v85 dst_sel:DWORD dst_unused:UNUSED_PAD src0_sel:BYTE_3 src1_sel:DWORD
	v_lshlrev_b32_e32 v16, 2, v16
	v_cndmask_b32_e32 v12, 3, v12, vcc_lo
	v_and_b32_e32 v16, 0xfc, v16
	v_and_b32_e32 v119, 3, v12
	v_or_b32_e32 v10, v10, v12
	v_or3_b32 v11, v11, v16, v119
	v_cmp_ne_u32_e32 vcc_lo, 0, v10
	v_lshlrev_b32_e32 v11, 8, v11
	v_cndmask_b32_e32 v16, 0, v11, vcc_lo
.LBB2_3250:                             ;   in Loop: Header=BB2_2819 Depth=2
	s_or_b32 exec_lo, exec_lo, s40
.LBB2_3251:                             ;   in Loop: Header=BB2_2819 Depth=2
	s_or_b32 exec_lo, exec_lo, s29
	v_and_b32_e32 v10, 3, v13
	v_bfe_u32 v119, v13, 2, 5
	v_lshlrev_b32_e32 v40, 24, v13
	v_cmp_gt_i16_sdwa s29, v17, v84 src0_sel:BYTE_0 src1_sel:DWORD
	s_mov_b32 s12, -1
	v_ffbh_u32_e32 v11, v10
	v_cmp_eq_u32_e32 vcc_lo, 0, v119
	v_min_u32_e32 v11, 32, v11
	v_subrev_nc_u32_e32 v12, 29, v11
	v_sub_nc_u32_e32 v11, 30, v11
	v_lshlrev_b32_e32 v12, v12, v13
	v_cndmask_b32_e32 v11, v119, v11, vcc_lo
	v_and_b32_e32 v12, 3, v12
	v_lshl_add_u32 v11, v11, 23, 0x37800000
	v_cndmask_b32_e32 v10, v10, v12, vcc_lo
	v_and_b32_e32 v12, 0x80000000, v40
	s_and_b32 vcc_lo, exec_lo, s28
	v_lshlrev_b32_e32 v10, 21, v10
	v_or3_b32 v10, v12, v11, v10
                                        ; implicit-def: $vgpr11
	s_cbranch_vccz .LBB2_3265
; %bb.3252:                             ;   in Loop: Header=BB2_2819 Depth=2
	s_mov_b32 s12, 0
	s_and_saveexec_b32 s40, s29
	s_xor_b32 s29, exec_lo, s40
	s_cbranch_execz .LBB2_3489
; %bb.3253:                             ;   in Loop: Header=BB2_2819 Depth=2
	v_cmp_eq_u16_sdwa s41, v17, v85 src0_sel:BYTE_0 src1_sel:DWORD
	s_mov_b32 s12, -1
	s_and_saveexec_b32 s40, s41
; %bb.3254:                             ;   in Loop: Header=BB2_2819 Depth=2
	s_xor_b32 s12, exec_lo, -1
; %bb.3255:                             ;   in Loop: Header=BB2_2819 Depth=2
	s_or_b32 exec_lo, exec_lo, s40
	s_and_b32 s12, s12, exec_lo
	s_or_saveexec_b32 s29, s29
	v_mov_b32_e32 v11, 0x7f800001
	s_xor_b32 exec_lo, exec_lo, s29
	s_cbranch_execnz .LBB2_3490
.LBB2_3256:                             ;   in Loop: Header=BB2_2819 Depth=2
	s_or_b32 exec_lo, exec_lo, s29
	s_and_saveexec_b32 s29, s12
	s_cbranch_execz .LBB2_3258
.LBB2_3257:                             ;   in Loop: Header=BB2_2819 Depth=2
	v_and_b32_e32 v11, 3, v17
	v_bfe_u32 v40, v17, 2, 5
	v_lshlrev_b32_e32 v41, 24, v17
	v_ffbh_u32_e32 v12, v11
	v_cmp_eq_u32_e32 vcc_lo, 0, v40
	v_min_u32_e32 v12, 32, v12
	v_subrev_nc_u32_e32 v119, 29, v12
	v_sub_nc_u32_e32 v12, 30, v12
	v_lshlrev_b32_e32 v119, v119, v17
	v_cndmask_b32_e32 v12, v40, v12, vcc_lo
	v_and_b32_e32 v119, 3, v119
	v_lshl_add_u32 v12, v12, 23, 0x37800000
	v_cndmask_b32_e32 v11, v11, v119, vcc_lo
	v_and_b32_e32 v119, 0x80000000, v41
	v_lshlrev_b32_e32 v11, 21, v11
	v_or3_b32 v11, v119, v12, v11
.LBB2_3258:                             ;   in Loop: Header=BB2_2819 Depth=2
	s_or_b32 exec_lo, exec_lo, s29
	v_cmp_gt_i16_sdwa s29, v13, v84 src0_sel:BYTE_0 src1_sel:DWORD
	s_mov_b32 s12, 0
	s_and_saveexec_b32 s40, s29
	s_xor_b32 s29, exec_lo, s40
	s_cbranch_execz .LBB2_3491
; %bb.3259:                             ;   in Loop: Header=BB2_2819 Depth=2
	v_cmp_eq_u16_sdwa s41, v13, v85 src0_sel:BYTE_0 src1_sel:DWORD
	s_mov_b32 s12, -1
	s_and_saveexec_b32 s40, s41
; %bb.3260:                             ;   in Loop: Header=BB2_2819 Depth=2
	s_xor_b32 s12, exec_lo, -1
; %bb.3261:                             ;   in Loop: Header=BB2_2819 Depth=2
	s_or_b32 exec_lo, exec_lo, s40
	s_and_b32 s12, s12, exec_lo
	s_or_saveexec_b32 s29, s29
	v_mov_b32_e32 v12, 0x7f800001
	s_xor_b32 exec_lo, exec_lo, s29
	s_cbranch_execnz .LBB2_3492
.LBB2_3262:                             ;   in Loop: Header=BB2_2819 Depth=2
	s_or_b32 exec_lo, exec_lo, s29
	s_and_saveexec_b32 s29, s12
.LBB2_3263:                             ;   in Loop: Header=BB2_2819 Depth=2
	v_mov_b32_e32 v12, v10
.LBB2_3264:                             ;   in Loop: Header=BB2_2819 Depth=2
	s_or_b32 exec_lo, exec_lo, s29
	v_max_f32_e32 v12, v12, v12
	v_max_f32_e32 v11, v11, v11
	s_mov_b32 s12, 0
	v_max_f32_e32 v11, v11, v12
.LBB2_3265:                             ;   in Loop: Header=BB2_2819 Depth=2
	s_and_b32 vcc_lo, exec_lo, s12
	s_cbranch_vccz .LBB2_3279
; %bb.3266:                             ;   in Loop: Header=BB2_2819 Depth=2
	v_cmp_gt_i16_sdwa s29, v17, v84 src0_sel:BYTE_0 src1_sel:DWORD
	s_mov_b32 s12, 0
	s_and_saveexec_b32 s40, s29
	s_xor_b32 s29, exec_lo, s40
	s_cbranch_execz .LBB2_3493
; %bb.3267:                             ;   in Loop: Header=BB2_2819 Depth=2
	v_cmp_eq_u16_sdwa s41, v17, v85 src0_sel:BYTE_0 src1_sel:DWORD
	s_mov_b32 s12, -1
	s_and_saveexec_b32 s40, s41
; %bb.3268:                             ;   in Loop: Header=BB2_2819 Depth=2
	s_xor_b32 s12, exec_lo, -1
; %bb.3269:                             ;   in Loop: Header=BB2_2819 Depth=2
	s_or_b32 exec_lo, exec_lo, s40
	s_and_b32 s12, s12, exec_lo
	s_or_saveexec_b32 s29, s29
	v_mov_b32_e32 v11, 0x7f800001
	s_xor_b32 exec_lo, exec_lo, s29
	s_cbranch_execnz .LBB2_3494
.LBB2_3270:                             ;   in Loop: Header=BB2_2819 Depth=2
	s_or_b32 exec_lo, exec_lo, s29
	s_and_saveexec_b32 s29, s12
	s_cbranch_execz .LBB2_3272
.LBB2_3271:                             ;   in Loop: Header=BB2_2819 Depth=2
	v_and_b32_e32 v11, 3, v17
	v_bfe_u32 v40, v17, 2, 5
	v_lshlrev_b32_e32 v41, 24, v17
	v_ffbh_u32_e32 v12, v11
	v_cmp_eq_u32_e32 vcc_lo, 0, v40
	v_min_u32_e32 v12, 32, v12
	v_subrev_nc_u32_e32 v119, 29, v12
	v_sub_nc_u32_e32 v12, 30, v12
	v_lshlrev_b32_e32 v119, v119, v17
	v_cndmask_b32_e32 v12, v40, v12, vcc_lo
	v_and_b32_e32 v119, 3, v119
	v_lshl_add_u32 v12, v12, 23, 0x37800000
	v_cndmask_b32_e32 v11, v11, v119, vcc_lo
	v_and_b32_e32 v119, 0x80000000, v41
	v_lshlrev_b32_e32 v11, 21, v11
	v_or3_b32 v11, v119, v12, v11
.LBB2_3272:                             ;   in Loop: Header=BB2_2819 Depth=2
	s_or_b32 exec_lo, exec_lo, s29
	v_cmp_gt_i16_sdwa s29, v13, v84 src0_sel:BYTE_0 src1_sel:DWORD
	s_mov_b32 s12, 0
	s_and_saveexec_b32 s40, s29
	s_xor_b32 s29, exec_lo, s40
	s_cbranch_execz .LBB2_3495
; %bb.3273:                             ;   in Loop: Header=BB2_2819 Depth=2
	v_cmp_eq_u16_sdwa s41, v13, v85 src0_sel:BYTE_0 src1_sel:DWORD
	s_mov_b32 s12, -1
	s_and_saveexec_b32 s40, s41
; %bb.3274:                             ;   in Loop: Header=BB2_2819 Depth=2
	s_xor_b32 s12, exec_lo, -1
; %bb.3275:                             ;   in Loop: Header=BB2_2819 Depth=2
	s_or_b32 exec_lo, exec_lo, s40
	s_and_b32 s12, s12, exec_lo
	s_or_saveexec_b32 s29, s29
	v_mov_b32_e32 v12, 0x7f800001
	s_xor_b32 exec_lo, exec_lo, s29
	s_cbranch_execnz .LBB2_3496
.LBB2_3276:                             ;   in Loop: Header=BB2_2819 Depth=2
	s_or_b32 exec_lo, exec_lo, s29
	s_and_saveexec_b32 s29, s12
.LBB2_3277:                             ;   in Loop: Header=BB2_2819 Depth=2
	v_mov_b32_e32 v12, v10
.LBB2_3278:                             ;   in Loop: Header=BB2_2819 Depth=2
	s_or_b32 exec_lo, exec_lo, s29
	v_max_f32_e32 v10, v12, v12
	v_max_f32_e32 v11, v11, v11
	v_min_f32_e32 v11, v11, v10
.LBB2_3279:                             ;   in Loop: Header=BB2_2819 Depth=2
	v_and_b32_e32 v10, 0x7f800000, v11
	v_mov_b32_e32 v119, 0x80
	s_mov_b32 s29, exec_lo
	v_cmpx_ne_u32_e32 0x7f800000, v10
	s_cbranch_execz .LBB2_3287
; %bb.3280:                             ;   in Loop: Header=BB2_2819 Depth=2
	v_mov_b32_e32 v119, 0
	s_mov_b32 s40, exec_lo
	v_cmpx_ne_u32_e32 0, v11
	s_cbranch_execz .LBB2_3286
; %bb.3281:                             ;   in Loop: Header=BB2_2819 Depth=2
	v_bfe_u32 v10, v11, 23, 8
	v_and_b32_e32 v12, 0x7fffff, v11
	v_sub_nc_u32_e32 v119, 0x70, v10
	v_cmp_gt_u32_e32 vcc_lo, 0x71, v10
	v_or_b32_e32 v40, 0x800000, v12
	v_cndmask_b32_e32 v119, 0, v119, vcc_lo
	v_cmp_eq_u32_e32 vcc_lo, 0, v10
	v_add_nc_u32_e32 v10, 0xffffff91, v10
	v_cndmask_b32_e64 v119, v119, 0x6f, vcc_lo
	v_cndmask_b32_e32 v12, v40, v12, vcc_lo
	v_cndmask_b32_e64 v10, v10, 0xffffff92, vcc_lo
	v_lshl_add_u32 v40, 0x200000, v119, -1
	v_lshrrev_b32_e32 v41, v119, v12
	v_lshlrev_b32_e64 v43, v119, 0x100000
	v_add_nc_u32_e32 v119, v119, v10
	v_and_b32_e32 v12, v40, v12
	v_bfe_u32 v42, v41, 21, 1
	v_cmp_eq_u32_e64 s12, v12, v43
	v_add_nc_u32_e32 v40, -1, v42
	v_cndmask_b32_e64 v12, 0, v40, s12
	v_lshrrev_b32_e32 v40, 23, v41
	s_mov_b32 s12, exec_lo
	v_add_nc_u32_e32 v12, v12, v41
	v_xor_b32_e32 v40, 1, v40
	v_and_b32_e32 v10, 0x1fffff, v12
	v_add_nc_u32_e32 v12, v10, v41
                                        ; implicit-def: $vgpr10
	v_cmpx_ne_u32_e64 v119, v40
	s_xor_b32 s12, exec_lo, s12
; %bb.3282:                             ;   in Loop: Header=BB2_2819 Depth=2
	v_cmp_lt_u32_e32 vcc_lo, 0xffffff, v12
	v_sub_nc_u32_e32 v10, v119, v40
	v_cndmask_b32_e64 v119, 0, 1, vcc_lo
	v_add_co_ci_u32_e64 v10, null, 0, v10, vcc_lo
	v_lshrrev_b32_e32 v12, v119, v12
; %bb.3283:                             ;   in Loop: Header=BB2_2819 Depth=2
	s_andn2_saveexec_b32 s12, s12
; %bb.3284:                             ;   in Loop: Header=BB2_2819 Depth=2
	v_bfe_u32 v10, v12, 23, 1
; %bb.3285:                             ;   in Loop: Header=BB2_2819 Depth=2
	s_or_b32 exec_lo, exec_lo, s12
	v_lshrrev_b32_e32 v12, 21, v12
	v_min_i32_e32 v119, 31, v10
	v_cmp_gt_i32_e32 vcc_lo, 32, v10
	v_and_b32_sdwa v11, v11, v85 dst_sel:DWORD dst_unused:UNUSED_PAD src0_sel:BYTE_3 src1_sel:DWORD
	v_lshlrev_b32_e32 v119, 2, v119
	v_cndmask_b32_e32 v12, 3, v12, vcc_lo
	v_and_b32_e32 v119, 0xfc, v119
	v_and_b32_e32 v40, 3, v12
	v_or_b32_e32 v10, v10, v12
	v_or3_b32 v11, v119, v11, v40
	v_cmp_ne_u32_e32 vcc_lo, 0, v10
	v_cndmask_b32_e32 v119, 0, v11, vcc_lo
.LBB2_3286:                             ;   in Loop: Header=BB2_2819 Depth=2
	s_or_b32 exec_lo, exec_lo, s40
.LBB2_3287:                             ;   in Loop: Header=BB2_2819 Depth=2
	s_or_b32 exec_lo, exec_lo, s29
	v_and_b32_sdwa v10, v86, v13 dst_sel:DWORD dst_unused:UNUSED_PAD src0_sel:DWORD src1_sel:BYTE_1
	v_cmp_gt_i16_sdwa s29, v17, v84 src0_sel:BYTE_1 src1_sel:DWORD
	s_mov_b32 s12, -1
	v_and_b32_e32 v11, 3, v10
	v_bfe_u32 v41, v10, 2, 5
	v_ffbh_u32_e32 v12, v11
	v_cmp_eq_u32_e32 vcc_lo, 0, v41
	v_min_u32_e32 v12, 32, v12
	v_subrev_nc_u32_e32 v40, 29, v12
	v_sub_nc_u32_e32 v12, 30, v12
	v_lshlrev_b32_e32 v10, v40, v10
	v_lshlrev_b32_sdwa v40, v87, v13 dst_sel:DWORD dst_unused:UNUSED_PAD src0_sel:DWORD src1_sel:BYTE_1
	v_cndmask_b32_e32 v12, v41, v12, vcc_lo
	v_and_b32_e32 v10, 3, v10
	v_lshl_add_u32 v12, v12, 23, 0x37800000
	v_cndmask_b32_e32 v10, v11, v10, vcc_lo
	v_and_b32_e32 v11, 0x80000000, v40
	s_and_b32 vcc_lo, exec_lo, s28
	v_lshlrev_b32_e32 v10, 21, v10
	v_or3_b32 v10, v11, v12, v10
                                        ; implicit-def: $vgpr11
	s_cbranch_vccz .LBB2_3301
; %bb.3288:                             ;   in Loop: Header=BB2_2819 Depth=2
	s_mov_b32 s12, 0
	s_and_saveexec_b32 s40, s29
	s_xor_b32 s29, exec_lo, s40
	s_cbranch_execz .LBB2_3497
; %bb.3289:                             ;   in Loop: Header=BB2_2819 Depth=2
	v_cmp_eq_u16_sdwa s41, v17, v85 src0_sel:BYTE_1 src1_sel:DWORD
	s_mov_b32 s12, -1
	s_and_saveexec_b32 s40, s41
; %bb.3290:                             ;   in Loop: Header=BB2_2819 Depth=2
	s_xor_b32 s12, exec_lo, -1
; %bb.3291:                             ;   in Loop: Header=BB2_2819 Depth=2
	s_or_b32 exec_lo, exec_lo, s40
	s_and_b32 s12, s12, exec_lo
	s_or_saveexec_b32 s29, s29
	v_mov_b32_e32 v11, 0x7f800001
	s_xor_b32 exec_lo, exec_lo, s29
	s_cbranch_execnz .LBB2_3498
.LBB2_3292:                             ;   in Loop: Header=BB2_2819 Depth=2
	s_or_b32 exec_lo, exec_lo, s29
	s_and_saveexec_b32 s29, s12
	s_cbranch_execz .LBB2_3294
.LBB2_3293:                             ;   in Loop: Header=BB2_2819 Depth=2
	v_and_b32_sdwa v11, v86, v17 dst_sel:DWORD dst_unused:UNUSED_PAD src0_sel:DWORD src1_sel:BYTE_1
	v_and_b32_e32 v12, 3, v11
	v_bfe_u32 v42, v11, 2, 5
	v_ffbh_u32_e32 v40, v12
	v_cmp_eq_u32_e32 vcc_lo, 0, v42
	v_min_u32_e32 v40, 32, v40
	v_subrev_nc_u32_e32 v41, 29, v40
	v_sub_nc_u32_e32 v40, 30, v40
	v_lshlrev_b32_e32 v11, v41, v11
	v_lshlrev_b32_e32 v41, 16, v17
	v_cndmask_b32_e32 v40, v42, v40, vcc_lo
	v_and_b32_e32 v11, 3, v11
	v_lshl_add_u32 v40, v40, 23, 0x37800000
	v_cndmask_b32_e32 v11, v12, v11, vcc_lo
	v_and_b32_e32 v12, 0x80000000, v41
	v_lshlrev_b32_e32 v11, 21, v11
	v_or3_b32 v11, v12, v40, v11
.LBB2_3294:                             ;   in Loop: Header=BB2_2819 Depth=2
	s_or_b32 exec_lo, exec_lo, s29
	v_cmp_gt_i16_sdwa s29, v13, v84 src0_sel:BYTE_1 src1_sel:DWORD
	s_mov_b32 s12, 0
	s_and_saveexec_b32 s40, s29
	s_xor_b32 s29, exec_lo, s40
	s_cbranch_execz .LBB2_3499
; %bb.3295:                             ;   in Loop: Header=BB2_2819 Depth=2
	v_cmp_eq_u16_sdwa s41, v13, v85 src0_sel:BYTE_1 src1_sel:DWORD
	s_mov_b32 s12, -1
	s_and_saveexec_b32 s40, s41
; %bb.3296:                             ;   in Loop: Header=BB2_2819 Depth=2
	s_xor_b32 s12, exec_lo, -1
; %bb.3297:                             ;   in Loop: Header=BB2_2819 Depth=2
	s_or_b32 exec_lo, exec_lo, s40
	s_and_b32 s12, s12, exec_lo
	s_or_saveexec_b32 s29, s29
	v_mov_b32_e32 v12, 0x7f800001
	s_xor_b32 exec_lo, exec_lo, s29
	s_cbranch_execnz .LBB2_3500
.LBB2_3298:                             ;   in Loop: Header=BB2_2819 Depth=2
	s_or_b32 exec_lo, exec_lo, s29
	s_and_saveexec_b32 s29, s12
.LBB2_3299:                             ;   in Loop: Header=BB2_2819 Depth=2
	v_mov_b32_e32 v12, v10
.LBB2_3300:                             ;   in Loop: Header=BB2_2819 Depth=2
	s_or_b32 exec_lo, exec_lo, s29
	v_max_f32_e32 v12, v12, v12
	v_max_f32_e32 v11, v11, v11
	s_mov_b32 s12, 0
	v_max_f32_e32 v11, v11, v12
.LBB2_3301:                             ;   in Loop: Header=BB2_2819 Depth=2
	s_and_b32 vcc_lo, exec_lo, s12
	s_cbranch_vccz .LBB2_3315
; %bb.3302:                             ;   in Loop: Header=BB2_2819 Depth=2
	v_cmp_gt_i16_sdwa s29, v17, v84 src0_sel:BYTE_1 src1_sel:DWORD
	s_mov_b32 s12, 0
	s_and_saveexec_b32 s40, s29
	s_xor_b32 s29, exec_lo, s40
	s_cbranch_execz .LBB2_3501
; %bb.3303:                             ;   in Loop: Header=BB2_2819 Depth=2
	v_cmp_eq_u16_sdwa s41, v17, v85 src0_sel:BYTE_1 src1_sel:DWORD
	s_mov_b32 s12, -1
	s_and_saveexec_b32 s40, s41
; %bb.3304:                             ;   in Loop: Header=BB2_2819 Depth=2
	s_xor_b32 s12, exec_lo, -1
; %bb.3305:                             ;   in Loop: Header=BB2_2819 Depth=2
	s_or_b32 exec_lo, exec_lo, s40
	s_and_b32 s12, s12, exec_lo
	s_or_saveexec_b32 s29, s29
	v_mov_b32_e32 v11, 0x7f800001
	s_xor_b32 exec_lo, exec_lo, s29
	s_cbranch_execnz .LBB2_3502
.LBB2_3306:                             ;   in Loop: Header=BB2_2819 Depth=2
	s_or_b32 exec_lo, exec_lo, s29
	s_and_saveexec_b32 s29, s12
	s_cbranch_execz .LBB2_3308
.LBB2_3307:                             ;   in Loop: Header=BB2_2819 Depth=2
	v_and_b32_sdwa v11, v86, v17 dst_sel:DWORD dst_unused:UNUSED_PAD src0_sel:DWORD src1_sel:BYTE_1
	v_and_b32_e32 v12, 3, v11
	v_bfe_u32 v42, v11, 2, 5
	v_ffbh_u32_e32 v40, v12
	v_cmp_eq_u32_e32 vcc_lo, 0, v42
	v_min_u32_e32 v40, 32, v40
	v_subrev_nc_u32_e32 v41, 29, v40
	v_sub_nc_u32_e32 v40, 30, v40
	v_lshlrev_b32_e32 v11, v41, v11
	v_lshlrev_b32_e32 v41, 16, v17
	v_cndmask_b32_e32 v40, v42, v40, vcc_lo
	v_and_b32_e32 v11, 3, v11
	v_lshl_add_u32 v40, v40, 23, 0x37800000
	v_cndmask_b32_e32 v11, v12, v11, vcc_lo
	v_and_b32_e32 v12, 0x80000000, v41
	v_lshlrev_b32_e32 v11, 21, v11
	v_or3_b32 v11, v12, v40, v11
.LBB2_3308:                             ;   in Loop: Header=BB2_2819 Depth=2
	s_or_b32 exec_lo, exec_lo, s29
	v_cmp_gt_i16_sdwa s29, v13, v84 src0_sel:BYTE_1 src1_sel:DWORD
	s_mov_b32 s12, 0
	s_and_saveexec_b32 s40, s29
	s_xor_b32 s29, exec_lo, s40
	s_cbranch_execz .LBB2_3503
; %bb.3309:                             ;   in Loop: Header=BB2_2819 Depth=2
	v_cmp_eq_u16_sdwa s41, v13, v85 src0_sel:BYTE_1 src1_sel:DWORD
	s_mov_b32 s12, -1
	s_and_saveexec_b32 s40, s41
; %bb.3310:                             ;   in Loop: Header=BB2_2819 Depth=2
	s_xor_b32 s12, exec_lo, -1
; %bb.3311:                             ;   in Loop: Header=BB2_2819 Depth=2
	s_or_b32 exec_lo, exec_lo, s40
	s_and_b32 s12, s12, exec_lo
	s_or_saveexec_b32 s29, s29
	v_mov_b32_e32 v12, 0x7f800001
	s_xor_b32 exec_lo, exec_lo, s29
	s_cbranch_execnz .LBB2_3504
.LBB2_3312:                             ;   in Loop: Header=BB2_2819 Depth=2
	s_or_b32 exec_lo, exec_lo, s29
	s_and_saveexec_b32 s29, s12
.LBB2_3313:                             ;   in Loop: Header=BB2_2819 Depth=2
	v_mov_b32_e32 v12, v10
.LBB2_3314:                             ;   in Loop: Header=BB2_2819 Depth=2
	s_or_b32 exec_lo, exec_lo, s29
	v_max_f32_e32 v10, v12, v12
	v_max_f32_e32 v11, v11, v11
	v_min_f32_e32 v11, v11, v10
.LBB2_3315:                             ;   in Loop: Header=BB2_2819 Depth=2
	v_and_b32_e32 v10, 0x7f800000, v11
	v_mov_b32_e32 v40, 0x8000
	s_mov_b32 s29, exec_lo
	v_cmpx_ne_u32_e32 0x7f800000, v10
	s_cbranch_execz .LBB2_3323
; %bb.3316:                             ;   in Loop: Header=BB2_2819 Depth=2
	v_mov_b32_e32 v40, 0
	s_mov_b32 s40, exec_lo
	v_cmpx_ne_u32_e32 0, v11
	s_cbranch_execz .LBB2_3322
; %bb.3317:                             ;   in Loop: Header=BB2_2819 Depth=2
	v_bfe_u32 v10, v11, 23, 8
	v_and_b32_e32 v12, 0x7fffff, v11
	v_sub_nc_u32_e32 v40, 0x70, v10
	v_cmp_gt_u32_e32 vcc_lo, 0x71, v10
	v_or_b32_e32 v41, 0x800000, v12
	v_cndmask_b32_e32 v40, 0, v40, vcc_lo
	v_cmp_eq_u32_e32 vcc_lo, 0, v10
	v_add_nc_u32_e32 v10, 0xffffff91, v10
	v_cndmask_b32_e64 v40, v40, 0x6f, vcc_lo
	v_cndmask_b32_e32 v12, v41, v12, vcc_lo
	v_cndmask_b32_e64 v10, v10, 0xffffff92, vcc_lo
	v_lshl_add_u32 v41, 0x200000, v40, -1
	v_lshrrev_b32_e32 v42, v40, v12
	v_lshlrev_b32_e64 v44, v40, 0x100000
	v_add_nc_u32_e32 v40, v40, v10
	v_and_b32_e32 v12, v41, v12
	v_bfe_u32 v43, v42, 21, 1
	v_cmp_eq_u32_e64 s12, v12, v44
	v_add_nc_u32_e32 v41, -1, v43
	v_cndmask_b32_e64 v12, 0, v41, s12
	v_lshrrev_b32_e32 v41, 23, v42
	s_mov_b32 s12, exec_lo
	v_add_nc_u32_e32 v12, v12, v42
	v_xor_b32_e32 v41, 1, v41
	v_and_b32_e32 v10, 0x1fffff, v12
	v_add_nc_u32_e32 v12, v10, v42
                                        ; implicit-def: $vgpr10
	v_cmpx_ne_u32_e64 v40, v41
	s_xor_b32 s12, exec_lo, s12
; %bb.3318:                             ;   in Loop: Header=BB2_2819 Depth=2
	v_cmp_lt_u32_e32 vcc_lo, 0xffffff, v12
	v_sub_nc_u32_e32 v10, v40, v41
	v_cndmask_b32_e64 v40, 0, 1, vcc_lo
	v_add_co_ci_u32_e64 v10, null, 0, v10, vcc_lo
	v_lshrrev_b32_e32 v12, v40, v12
; %bb.3319:                             ;   in Loop: Header=BB2_2819 Depth=2
	s_andn2_saveexec_b32 s12, s12
; %bb.3320:                             ;   in Loop: Header=BB2_2819 Depth=2
	v_bfe_u32 v10, v12, 23, 1
; %bb.3321:                             ;   in Loop: Header=BB2_2819 Depth=2
	s_or_b32 exec_lo, exec_lo, s12
	v_lshrrev_b32_e32 v12, 21, v12
	v_min_i32_e32 v40, 31, v10
	v_cmp_gt_i32_e32 vcc_lo, 32, v10
	v_and_b32_sdwa v11, v11, v85 dst_sel:DWORD dst_unused:UNUSED_PAD src0_sel:BYTE_3 src1_sel:DWORD
	v_lshlrev_b32_e32 v40, 2, v40
	v_cndmask_b32_e32 v12, 3, v12, vcc_lo
	v_and_b32_e32 v40, 0xfc, v40
	v_and_b32_e32 v41, 3, v12
	v_or_b32_e32 v10, v10, v12
	v_or3_b32 v11, v11, v40, v41
	v_cmp_ne_u32_e32 vcc_lo, 0, v10
	v_lshlrev_b32_e32 v11, 8, v11
	v_cndmask_b32_e32 v40, 0, v11, vcc_lo
.LBB2_3322:                             ;   in Loop: Header=BB2_2819 Depth=2
	s_or_b32 exec_lo, exec_lo, s40
.LBB2_3323:                             ;   in Loop: Header=BB2_2819 Depth=2
	s_or_b32 exec_lo, exec_lo, s29
	v_bfe_u32 v10, v13, 16, 2
	v_bfe_u32 v41, v13, 18, 5
	v_lshlrev_b32_e32 v42, 8, v13
	s_mov_b32 s29, -1
	v_ffbh_u32_e32 v11, v10
	v_cmp_eq_u32_e32 vcc_lo, 0, v41
	v_min_u32_e32 v11, 32, v11
	v_subrev_nc_u32_e32 v12, 29, v11
	v_sub_nc_u32_e32 v11, 30, v11
	v_lshlrev_b32_sdwa v12, v12, v13 dst_sel:DWORD dst_unused:UNUSED_PAD src0_sel:DWORD src1_sel:WORD_1
	v_cndmask_b32_e32 v11, v41, v11, vcc_lo
	v_and_b32_e32 v12, 3, v12
	v_lshl_add_u32 v41, v11, 23, 0x37800000
	v_and_b32_sdwa v11, v17, v96 dst_sel:DWORD dst_unused:UNUSED_PAD src0_sel:WORD_1 src1_sel:DWORD
	v_cndmask_b32_e32 v10, v10, v12, vcc_lo
	v_and_b32_e32 v12, 0x80000000, v42
	v_cmp_lt_i16_e64 s12, 0x7f, v11
	s_and_b32 vcc_lo, exec_lo, s28
	v_lshlrev_b32_e32 v10, 21, v10
	v_or3_b32 v10, v12, v41, v10
                                        ; implicit-def: $vgpr12
	s_cbranch_vccz .LBB2_3337
; %bb.3324:                             ;   in Loop: Header=BB2_2819 Depth=2
	s_mov_b32 s29, 0
	s_and_saveexec_b32 s40, s12
	s_xor_b32 s12, exec_lo, s40
	s_cbranch_execz .LBB2_3505
; %bb.3325:                             ;   in Loop: Header=BB2_2819 Depth=2
	s_mov_b32 s29, -1
	s_mov_b32 s40, exec_lo
	v_cmpx_eq_u16_e32 0x80, v11
; %bb.3326:                             ;   in Loop: Header=BB2_2819 Depth=2
	s_xor_b32 s29, exec_lo, -1
; %bb.3327:                             ;   in Loop: Header=BB2_2819 Depth=2
	s_or_b32 exec_lo, exec_lo, s40
	s_and_b32 s29, s29, exec_lo
	s_or_saveexec_b32 s12, s12
	v_mov_b32_e32 v12, 0x7f800001
	s_xor_b32 exec_lo, exec_lo, s12
	s_cbranch_execnz .LBB2_3506
.LBB2_3328:                             ;   in Loop: Header=BB2_2819 Depth=2
	s_or_b32 exec_lo, exec_lo, s12
	s_and_saveexec_b32 s12, s29
	s_cbranch_execz .LBB2_3330
.LBB2_3329:                             ;   in Loop: Header=BB2_2819 Depth=2
	v_bfe_u32 v12, v17, 16, 2
	v_bfe_u32 v43, v17, 18, 5
	v_lshlrev_b32_sdwa v44, v87, v17 dst_sel:DWORD dst_unused:UNUSED_PAD src0_sel:DWORD src1_sel:WORD_1
	v_ffbh_u32_e32 v41, v12
	v_cmp_eq_u32_e32 vcc_lo, 0, v43
	v_min_u32_e32 v41, 32, v41
	v_subrev_nc_u32_e32 v42, 29, v41
	v_sub_nc_u32_e32 v41, 30, v41
	v_lshlrev_b32_sdwa v42, v42, v17 dst_sel:DWORD dst_unused:UNUSED_PAD src0_sel:DWORD src1_sel:WORD_1
	v_cndmask_b32_e32 v41, v43, v41, vcc_lo
	v_and_b32_e32 v42, 3, v42
	v_lshl_add_u32 v41, v41, 23, 0x37800000
	v_cndmask_b32_e32 v12, v12, v42, vcc_lo
	v_and_b32_e32 v42, 0x80000000, v44
	v_lshlrev_b32_e32 v12, 21, v12
	v_or3_b32 v12, v42, v41, v12
.LBB2_3330:                             ;   in Loop: Header=BB2_2819 Depth=2
	s_or_b32 exec_lo, exec_lo, s12
	v_and_b32_sdwa v42, v13, v96 dst_sel:DWORD dst_unused:UNUSED_PAD src0_sel:WORD_1 src1_sel:DWORD
	s_mov_b32 s12, 0
	s_mov_b32 s29, exec_lo
	v_cmpx_lt_i16_e32 0x7f, v42
	s_xor_b32 s29, exec_lo, s29
	s_cbranch_execz .LBB2_3507
; %bb.3331:                             ;   in Loop: Header=BB2_2819 Depth=2
	s_mov_b32 s12, -1
	s_mov_b32 s40, exec_lo
	v_cmpx_eq_u16_e32 0x80, v42
; %bb.3332:                             ;   in Loop: Header=BB2_2819 Depth=2
	s_xor_b32 s12, exec_lo, -1
; %bb.3333:                             ;   in Loop: Header=BB2_2819 Depth=2
	s_or_b32 exec_lo, exec_lo, s40
	s_and_b32 s12, s12, exec_lo
                                        ; implicit-def: $vgpr42
	s_or_saveexec_b32 s29, s29
	v_mov_b32_e32 v41, 0x7f800001
	s_xor_b32 exec_lo, exec_lo, s29
	s_cbranch_execnz .LBB2_3508
.LBB2_3334:                             ;   in Loop: Header=BB2_2819 Depth=2
	s_or_b32 exec_lo, exec_lo, s29
	s_and_saveexec_b32 s29, s12
.LBB2_3335:                             ;   in Loop: Header=BB2_2819 Depth=2
	v_mov_b32_e32 v41, v10
.LBB2_3336:                             ;   in Loop: Header=BB2_2819 Depth=2
	s_or_b32 exec_lo, exec_lo, s29
	v_max_f32_e32 v41, v41, v41
	v_max_f32_e32 v12, v12, v12
	s_mov_b32 s29, 0
	v_max_f32_e32 v12, v12, v41
.LBB2_3337:                             ;   in Loop: Header=BB2_2819 Depth=2
	s_and_b32 vcc_lo, exec_lo, s29
	s_cbranch_vccz .LBB2_3351
; %bb.3338:                             ;   in Loop: Header=BB2_2819 Depth=2
	s_mov_b32 s12, 0
	s_mov_b32 s29, exec_lo
	v_cmpx_lt_i16_e32 0x7f, v11
	s_xor_b32 s29, exec_lo, s29
	s_cbranch_execz .LBB2_3509
; %bb.3339:                             ;   in Loop: Header=BB2_2819 Depth=2
	s_mov_b32 s12, -1
	s_mov_b32 s40, exec_lo
	v_cmpx_eq_u16_e32 0x80, v11
; %bb.3340:                             ;   in Loop: Header=BB2_2819 Depth=2
	s_xor_b32 s12, exec_lo, -1
; %bb.3341:                             ;   in Loop: Header=BB2_2819 Depth=2
	s_or_b32 exec_lo, exec_lo, s40
	s_and_b32 s12, s12, exec_lo
                                        ; implicit-def: $vgpr11
	s_or_saveexec_b32 s29, s29
	v_mov_b32_e32 v12, 0x7f800001
	s_xor_b32 exec_lo, exec_lo, s29
	s_cbranch_execnz .LBB2_3510
.LBB2_3342:                             ;   in Loop: Header=BB2_2819 Depth=2
	s_or_b32 exec_lo, exec_lo, s29
	s_and_saveexec_b32 s29, s12
	s_cbranch_execz .LBB2_3344
.LBB2_3343:                             ;   in Loop: Header=BB2_2819 Depth=2
	v_bfe_u32 v11, v17, 16, 2
	v_bfe_u32 v42, v17, 18, 5
	v_lshlrev_b32_sdwa v43, v87, v17 dst_sel:DWORD dst_unused:UNUSED_PAD src0_sel:DWORD src1_sel:WORD_1
	v_ffbh_u32_e32 v12, v11
	v_cmp_eq_u32_e32 vcc_lo, 0, v42
	v_min_u32_e32 v12, 32, v12
	v_subrev_nc_u32_e32 v41, 29, v12
	v_sub_nc_u32_e32 v12, 30, v12
	v_lshlrev_b32_sdwa v41, v41, v17 dst_sel:DWORD dst_unused:UNUSED_PAD src0_sel:DWORD src1_sel:WORD_1
	v_cndmask_b32_e32 v12, v42, v12, vcc_lo
	v_and_b32_e32 v41, 3, v41
	v_lshl_add_u32 v12, v12, 23, 0x37800000
	v_cndmask_b32_e32 v11, v11, v41, vcc_lo
	v_and_b32_e32 v41, 0x80000000, v43
	v_lshlrev_b32_e32 v11, 21, v11
	v_or3_b32 v12, v41, v12, v11
.LBB2_3344:                             ;   in Loop: Header=BB2_2819 Depth=2
	s_or_b32 exec_lo, exec_lo, s29
	v_and_b32_sdwa v41, v13, v96 dst_sel:DWORD dst_unused:UNUSED_PAD src0_sel:WORD_1 src1_sel:DWORD
	s_mov_b32 s12, 0
	s_mov_b32 s29, exec_lo
	v_cmpx_lt_i16_e32 0x7f, v41
	s_xor_b32 s29, exec_lo, s29
	s_cbranch_execz .LBB2_3511
; %bb.3345:                             ;   in Loop: Header=BB2_2819 Depth=2
	s_mov_b32 s12, -1
	s_mov_b32 s40, exec_lo
	v_cmpx_eq_u16_e32 0x80, v41
; %bb.3346:                             ;   in Loop: Header=BB2_2819 Depth=2
	s_xor_b32 s12, exec_lo, -1
; %bb.3347:                             ;   in Loop: Header=BB2_2819 Depth=2
	s_or_b32 exec_lo, exec_lo, s40
	s_and_b32 s12, s12, exec_lo
                                        ; implicit-def: $vgpr41
	s_or_saveexec_b32 s29, s29
	v_mov_b32_e32 v11, 0x7f800001
	s_xor_b32 exec_lo, exec_lo, s29
	s_cbranch_execnz .LBB2_3512
.LBB2_3348:                             ;   in Loop: Header=BB2_2819 Depth=2
	s_or_b32 exec_lo, exec_lo, s29
	s_and_saveexec_b32 s29, s12
.LBB2_3349:                             ;   in Loop: Header=BB2_2819 Depth=2
	v_mov_b32_e32 v11, v10
.LBB2_3350:                             ;   in Loop: Header=BB2_2819 Depth=2
	s_or_b32 exec_lo, exec_lo, s29
	v_max_f32_e32 v10, v11, v11
	v_max_f32_e32 v11, v12, v12
	v_min_f32_e32 v12, v11, v10
.LBB2_3351:                             ;   in Loop: Header=BB2_2819 Depth=2
	v_and_b32_e32 v10, 0x7f800000, v12
	v_mov_b32_e32 v41, 0x80
	s_mov_b32 s29, exec_lo
	v_cmpx_ne_u32_e32 0x7f800000, v10
	s_cbranch_execz .LBB2_3359
; %bb.3352:                             ;   in Loop: Header=BB2_2819 Depth=2
	v_mov_b32_e32 v41, 0
	s_mov_b32 s40, exec_lo
	v_cmpx_ne_u32_e32 0, v12
	s_cbranch_execz .LBB2_3358
; %bb.3353:                             ;   in Loop: Header=BB2_2819 Depth=2
	v_bfe_u32 v10, v12, 23, 8
	v_and_b32_e32 v11, 0x7fffff, v12
	v_sub_nc_u32_e32 v41, 0x70, v10
	v_cmp_gt_u32_e32 vcc_lo, 0x71, v10
	v_or_b32_e32 v42, 0x800000, v11
	v_cndmask_b32_e32 v41, 0, v41, vcc_lo
	v_cmp_eq_u32_e32 vcc_lo, 0, v10
	v_add_nc_u32_e32 v10, 0xffffff91, v10
	v_cndmask_b32_e64 v41, v41, 0x6f, vcc_lo
	v_cndmask_b32_e32 v11, v42, v11, vcc_lo
	v_cndmask_b32_e64 v10, v10, 0xffffff92, vcc_lo
	v_lshl_add_u32 v42, 0x200000, v41, -1
	v_lshrrev_b32_e32 v43, v41, v11
	v_lshlrev_b32_e64 v45, v41, 0x100000
	v_add_nc_u32_e32 v41, v41, v10
	v_and_b32_e32 v11, v42, v11
	v_bfe_u32 v44, v43, 21, 1
	v_cmp_eq_u32_e64 s12, v11, v45
	v_add_nc_u32_e32 v42, -1, v44
	v_cndmask_b32_e64 v11, 0, v42, s12
	v_lshrrev_b32_e32 v42, 23, v43
	s_mov_b32 s12, exec_lo
	v_add_nc_u32_e32 v11, v11, v43
	v_xor_b32_e32 v42, 1, v42
	v_and_b32_e32 v10, 0x1fffff, v11
	v_add_nc_u32_e32 v11, v10, v43
                                        ; implicit-def: $vgpr10
	v_cmpx_ne_u32_e64 v41, v42
	s_xor_b32 s12, exec_lo, s12
; %bb.3354:                             ;   in Loop: Header=BB2_2819 Depth=2
	v_cmp_lt_u32_e32 vcc_lo, 0xffffff, v11
	v_sub_nc_u32_e32 v10, v41, v42
	v_cndmask_b32_e64 v41, 0, 1, vcc_lo
	v_add_co_ci_u32_e64 v10, null, 0, v10, vcc_lo
	v_lshrrev_b32_e32 v11, v41, v11
; %bb.3355:                             ;   in Loop: Header=BB2_2819 Depth=2
	s_andn2_saveexec_b32 s12, s12
; %bb.3356:                             ;   in Loop: Header=BB2_2819 Depth=2
	v_bfe_u32 v10, v11, 23, 1
; %bb.3357:                             ;   in Loop: Header=BB2_2819 Depth=2
	s_or_b32 exec_lo, exec_lo, s12
	v_lshrrev_b32_e32 v11, 21, v11
	v_min_i32_e32 v41, 31, v10
	v_cmp_gt_i32_e32 vcc_lo, 32, v10
	v_and_b32_sdwa v12, v12, v85 dst_sel:DWORD dst_unused:UNUSED_PAD src0_sel:BYTE_3 src1_sel:DWORD
	v_lshlrev_b32_e32 v41, 2, v41
	v_cndmask_b32_e32 v11, 3, v11, vcc_lo
	v_and_b32_e32 v41, 0xfc, v41
	v_and_b32_e32 v42, 3, v11
	v_or_b32_e32 v10, v10, v11
	v_or3_b32 v11, v41, v12, v42
	v_cmp_ne_u32_e32 vcc_lo, 0, v10
	v_cndmask_b32_e32 v41, 0, v11, vcc_lo
.LBB2_3358:                             ;   in Loop: Header=BB2_2819 Depth=2
	s_or_b32 exec_lo, exec_lo, s40
.LBB2_3359:                             ;   in Loop: Header=BB2_2819 Depth=2
	s_or_b32 exec_lo, exec_lo, s29
	v_bfe_u32 v10, v13, 24, 2
	v_bfe_u32 v42, v13, 26, 5
	v_cmp_gt_i16_sdwa s29, v17, v84 src0_sel:BYTE_3 src1_sel:DWORD
	s_mov_b32 s12, -1
	v_ffbh_u32_e32 v11, v10
	v_cmp_eq_u32_e32 vcc_lo, 0, v42
	v_min_u32_e32 v11, 32, v11
	v_subrev_nc_u32_e32 v12, 29, v11
	v_sub_nc_u32_e32 v11, 30, v11
	v_lshlrev_b32_sdwa v12, v12, v13 dst_sel:DWORD dst_unused:UNUSED_PAD src0_sel:DWORD src1_sel:BYTE_3
	v_cndmask_b32_e32 v11, v42, v11, vcc_lo
	v_and_b32_e32 v12, 3, v12
	v_lshl_add_u32 v11, v11, 23, 0x37800000
	v_cndmask_b32_e32 v10, v10, v12, vcc_lo
	v_and_b32_e32 v12, 0x80000000, v13
	s_and_b32 vcc_lo, exec_lo, s28
	v_lshlrev_b32_e32 v10, 21, v10
	v_or3_b32 v42, v12, v11, v10
                                        ; implicit-def: $vgpr10
	s_cbranch_vccz .LBB2_3373
; %bb.3360:                             ;   in Loop: Header=BB2_2819 Depth=2
	s_mov_b32 s12, 0
	s_and_saveexec_b32 s40, s29
	s_xor_b32 s29, exec_lo, s40
	s_cbranch_execz .LBB2_3513
; %bb.3361:                             ;   in Loop: Header=BB2_2819 Depth=2
	v_cmp_eq_u16_sdwa s41, v17, v85 src0_sel:BYTE_3 src1_sel:DWORD
	s_mov_b32 s12, -1
	s_and_saveexec_b32 s40, s41
; %bb.3362:                             ;   in Loop: Header=BB2_2819 Depth=2
	s_xor_b32 s12, exec_lo, -1
; %bb.3363:                             ;   in Loop: Header=BB2_2819 Depth=2
	s_or_b32 exec_lo, exec_lo, s40
	s_and_b32 s12, s12, exec_lo
	s_or_saveexec_b32 s29, s29
	v_mov_b32_e32 v10, 0x7f800001
	s_xor_b32 exec_lo, exec_lo, s29
	s_cbranch_execnz .LBB2_3514
.LBB2_3364:                             ;   in Loop: Header=BB2_2819 Depth=2
	s_or_b32 exec_lo, exec_lo, s29
	s_and_saveexec_b32 s29, s12
	s_cbranch_execz .LBB2_3366
.LBB2_3365:                             ;   in Loop: Header=BB2_2819 Depth=2
	v_bfe_u32 v10, v17, 24, 2
	v_bfe_u32 v43, v17, 26, 5
	v_ffbh_u32_e32 v11, v10
	v_cmp_eq_u32_e32 vcc_lo, 0, v43
	v_min_u32_e32 v11, 32, v11
	v_subrev_nc_u32_e32 v12, 29, v11
	v_sub_nc_u32_e32 v11, 30, v11
	v_lshlrev_b32_sdwa v12, v12, v17 dst_sel:DWORD dst_unused:UNUSED_PAD src0_sel:DWORD src1_sel:BYTE_3
	v_cndmask_b32_e32 v11, v43, v11, vcc_lo
	v_and_b32_e32 v12, 3, v12
	v_lshl_add_u32 v11, v11, 23, 0x37800000
	v_cndmask_b32_e32 v10, v10, v12, vcc_lo
	v_and_b32_e32 v12, 0x80000000, v17
	v_lshlrev_b32_e32 v10, 21, v10
	v_or3_b32 v10, v12, v11, v10
.LBB2_3366:                             ;   in Loop: Header=BB2_2819 Depth=2
	s_or_b32 exec_lo, exec_lo, s29
	v_cmp_gt_i16_sdwa s29, v13, v84 src0_sel:BYTE_3 src1_sel:DWORD
	s_mov_b32 s12, 0
	s_and_saveexec_b32 s40, s29
	s_xor_b32 s29, exec_lo, s40
	s_cbranch_execz .LBB2_3515
; %bb.3367:                             ;   in Loop: Header=BB2_2819 Depth=2
	v_cmp_eq_u16_sdwa s41, v13, v85 src0_sel:BYTE_3 src1_sel:DWORD
	s_mov_b32 s12, -1
	s_and_saveexec_b32 s40, s41
; %bb.3368:                             ;   in Loop: Header=BB2_2819 Depth=2
	s_xor_b32 s12, exec_lo, -1
; %bb.3369:                             ;   in Loop: Header=BB2_2819 Depth=2
	s_or_b32 exec_lo, exec_lo, s40
	s_and_b32 s12, s12, exec_lo
	s_or_saveexec_b32 s29, s29
	v_mov_b32_e32 v11, 0x7f800001
	s_xor_b32 exec_lo, exec_lo, s29
	s_cbranch_execnz .LBB2_3516
.LBB2_3370:                             ;   in Loop: Header=BB2_2819 Depth=2
	s_or_b32 exec_lo, exec_lo, s29
	s_and_saveexec_b32 s29, s12
.LBB2_3371:                             ;   in Loop: Header=BB2_2819 Depth=2
	v_mov_b32_e32 v11, v42
.LBB2_3372:                             ;   in Loop: Header=BB2_2819 Depth=2
	s_or_b32 exec_lo, exec_lo, s29
	v_max_f32_e32 v11, v11, v11
	v_max_f32_e32 v10, v10, v10
	s_mov_b32 s12, 0
	v_max_f32_e32 v10, v10, v11
.LBB2_3373:                             ;   in Loop: Header=BB2_2819 Depth=2
	s_and_b32 vcc_lo, exec_lo, s12
	s_cbranch_vccz .LBB2_3387
; %bb.3374:                             ;   in Loop: Header=BB2_2819 Depth=2
	v_cmp_gt_i16_sdwa s29, v17, v84 src0_sel:BYTE_3 src1_sel:DWORD
	s_mov_b32 s12, 0
	s_and_saveexec_b32 s40, s29
	s_xor_b32 s29, exec_lo, s40
	s_cbranch_execz .LBB2_3517
; %bb.3375:                             ;   in Loop: Header=BB2_2819 Depth=2
	v_cmp_eq_u16_sdwa s41, v17, v85 src0_sel:BYTE_3 src1_sel:DWORD
	s_mov_b32 s12, -1
	s_and_saveexec_b32 s40, s41
; %bb.3376:                             ;   in Loop: Header=BB2_2819 Depth=2
	s_xor_b32 s12, exec_lo, -1
; %bb.3377:                             ;   in Loop: Header=BB2_2819 Depth=2
	s_or_b32 exec_lo, exec_lo, s40
	s_and_b32 s12, s12, exec_lo
	s_or_saveexec_b32 s29, s29
	v_mov_b32_e32 v43, 0x7f800001
	s_xor_b32 exec_lo, exec_lo, s29
	s_cbranch_execnz .LBB2_3518
.LBB2_3378:                             ;   in Loop: Header=BB2_2819 Depth=2
	s_or_b32 exec_lo, exec_lo, s29
	s_and_saveexec_b32 s29, s12
	s_cbranch_execz .LBB2_3380
.LBB2_3379:                             ;   in Loop: Header=BB2_2819 Depth=2
	v_bfe_u32 v10, v17, 24, 2
	v_bfe_u32 v43, v17, 26, 5
	v_ffbh_u32_e32 v11, v10
	v_cmp_eq_u32_e32 vcc_lo, 0, v43
	v_min_u32_e32 v11, 32, v11
	v_subrev_nc_u32_e32 v12, 29, v11
	v_sub_nc_u32_e32 v11, 30, v11
	v_lshlrev_b32_sdwa v12, v12, v17 dst_sel:DWORD dst_unused:UNUSED_PAD src0_sel:DWORD src1_sel:BYTE_3
	v_cndmask_b32_e32 v11, v43, v11, vcc_lo
	v_and_b32_e32 v12, 3, v12
	v_lshl_add_u32 v11, v11, 23, 0x37800000
	v_cndmask_b32_e32 v10, v10, v12, vcc_lo
	v_and_b32_e32 v12, 0x80000000, v17
	v_lshlrev_b32_e32 v10, 21, v10
	v_or3_b32 v43, v12, v11, v10
.LBB2_3380:                             ;   in Loop: Header=BB2_2819 Depth=2
	s_or_b32 exec_lo, exec_lo, s29
	v_cmp_gt_i16_sdwa s29, v13, v84 src0_sel:BYTE_3 src1_sel:DWORD
	s_mov_b32 s12, 0
	s_and_saveexec_b32 s40, s29
	s_xor_b32 s29, exec_lo, s40
	s_cbranch_execz .LBB2_3519
; %bb.3381:                             ;   in Loop: Header=BB2_2819 Depth=2
	v_cmp_eq_u16_sdwa s41, v13, v85 src0_sel:BYTE_3 src1_sel:DWORD
	s_mov_b32 s12, -1
	s_and_saveexec_b32 s40, s41
; %bb.3382:                             ;   in Loop: Header=BB2_2819 Depth=2
	s_xor_b32 s12, exec_lo, -1
; %bb.3383:                             ;   in Loop: Header=BB2_2819 Depth=2
	s_or_b32 exec_lo, exec_lo, s40
	s_and_b32 s12, s12, exec_lo
                                        ; implicit-def: $vgpr10_vgpr11_vgpr12_vgpr13
	s_or_saveexec_b32 s29, s29
	v_mov_b32_e32 v10, 0x7f800001
	s_xor_b32 exec_lo, exec_lo, s29
	s_cbranch_execnz .LBB2_3520
.LBB2_3384:                             ;   in Loop: Header=BB2_2819 Depth=2
	s_or_b32 exec_lo, exec_lo, s29
	s_and_saveexec_b32 s29, s12
.LBB2_3385:                             ;   in Loop: Header=BB2_2819 Depth=2
	v_mov_b32_e32 v10, v42
.LBB2_3386:                             ;   in Loop: Header=BB2_2819 Depth=2
	s_or_b32 exec_lo, exec_lo, s29
	v_max_f32_e32 v10, v10, v10
	v_max_f32_e32 v11, v43, v43
	v_min_f32_e32 v10, v11, v10
.LBB2_3387:                             ;   in Loop: Header=BB2_2819 Depth=2
	v_and_b32_e32 v11, 0x7f800000, v10
	v_cmp_ne_u32_e32 vcc_lo, 0x7f800000, v11
	v_mov_b32_e32 v11, 0x8000
	s_and_saveexec_b32 s29, vcc_lo
	s_cbranch_execz .LBB2_2818
; %bb.3388:                             ;   in Loop: Header=BB2_2819 Depth=2
	v_mov_b32_e32 v11, 0
	s_mov_b32 s40, exec_lo
	v_cmpx_ne_u32_e32 0, v10
	s_cbranch_execz .LBB2_2817
; %bb.3389:                             ;   in Loop: Header=BB2_2819 Depth=2
	v_bfe_u32 v11, v10, 23, 8
	v_and_b32_e32 v12, 0x7fffff, v10
	v_sub_nc_u32_e32 v13, 0x70, v11
	v_cmp_gt_u32_e32 vcc_lo, 0x71, v11
	v_or_b32_e32 v17, 0x800000, v12
	v_cndmask_b32_e32 v13, 0, v13, vcc_lo
	v_cmp_eq_u32_e32 vcc_lo, 0, v11
	v_add_nc_u32_e32 v11, 0xffffff91, v11
	v_cndmask_b32_e64 v13, v13, 0x6f, vcc_lo
	v_cndmask_b32_e32 v12, v17, v12, vcc_lo
	v_cndmask_b32_e64 v11, v11, 0xffffff92, vcc_lo
	v_lshl_add_u32 v17, 0x200000, v13, -1
	v_lshrrev_b32_e32 v42, v13, v12
	v_lshlrev_b32_e64 v44, v13, 0x100000
	v_add_nc_u32_e32 v13, v13, v11
	v_and_b32_e32 v12, v17, v12
	v_bfe_u32 v43, v42, 21, 1
	v_cmp_eq_u32_e64 s12, v12, v44
	v_add_nc_u32_e32 v17, -1, v43
	v_cndmask_b32_e64 v12, 0, v17, s12
	v_lshrrev_b32_e32 v17, 23, v42
	s_mov_b32 s12, exec_lo
	v_add_nc_u32_e32 v12, v12, v42
	v_xor_b32_e32 v17, 1, v17
	v_and_b32_e32 v11, 0x1fffff, v12
	v_add_nc_u32_e32 v12, v11, v42
                                        ; implicit-def: $vgpr11
	v_cmpx_ne_u32_e64 v13, v17
	s_xor_b32 s12, exec_lo, s12
; %bb.3390:                             ;   in Loop: Header=BB2_2819 Depth=2
	v_cmp_lt_u32_e32 vcc_lo, 0xffffff, v12
	v_sub_nc_u32_e32 v11, v13, v17
	v_cndmask_b32_e64 v13, 0, 1, vcc_lo
	v_add_co_ci_u32_e64 v11, null, 0, v11, vcc_lo
	v_lshrrev_b32_e32 v12, v13, v12
; %bb.3391:                             ;   in Loop: Header=BB2_2819 Depth=2
	s_andn2_saveexec_b32 s12, s12
	s_cbranch_execz .LBB2_2816
; %bb.3392:                             ;   in Loop: Header=BB2_2819 Depth=2
	v_bfe_u32 v11, v12, 23, 1
	s_branch .LBB2_2816
.LBB2_3393:                             ;   in Loop: Header=BB2_2819 Depth=2
	s_or_saveexec_b32 s29, s29
	v_mov_b32_e32 v103, 0x7f800001
	s_xor_b32 exec_lo, exec_lo, s29
	s_cbranch_execz .LBB2_2824
.LBB2_3394:                             ;   in Loop: Header=BB2_2819 Depth=2
	v_cmp_ne_u16_sdwa s40, v14, v35 src0_sel:BYTE_0 src1_sel:DWORD
	v_mov_b32_e32 v103, 0
	s_andn2_b32 s12, s12, exec_lo
	s_and_b32 s40, s40, exec_lo
	s_or_b32 s12, s12, s40
	s_or_b32 exec_lo, exec_lo, s29
	s_and_saveexec_b32 s29, s12
	s_cbranch_execnz .LBB2_2825
	s_branch .LBB2_2826
.LBB2_3395:                             ;   in Loop: Header=BB2_2819 Depth=2
	s_or_saveexec_b32 s29, s29
	v_mov_b32_e32 v112, 0x7f800001
	s_xor_b32 exec_lo, exec_lo, s29
	s_cbranch_execz .LBB2_2830
.LBB2_3396:                             ;   in Loop: Header=BB2_2819 Depth=2
	v_cmp_ne_u16_sdwa s40, v10, v35 src0_sel:BYTE_0 src1_sel:DWORD
	v_mov_b32_e32 v112, 0
	s_andn2_b32 s12, s12, exec_lo
	s_and_b32 s40, s40, exec_lo
	s_or_b32 s12, s12, s40
	s_or_b32 exec_lo, exec_lo, s29
	s_and_saveexec_b32 s29, s12
	s_cbranch_execnz .LBB2_2831
	s_branch .LBB2_2832
.LBB2_3397:                             ;   in Loop: Header=BB2_2819 Depth=2
	s_or_saveexec_b32 s29, s29
	v_mov_b32_e32 v103, 0x7f800001
	s_xor_b32 exec_lo, exec_lo, s29
	s_cbranch_execz .LBB2_2838
.LBB2_3398:                             ;   in Loop: Header=BB2_2819 Depth=2
	v_cmp_ne_u16_sdwa s40, v14, v35 src0_sel:BYTE_0 src1_sel:DWORD
	v_mov_b32_e32 v103, 0
	s_andn2_b32 s12, s12, exec_lo
	s_and_b32 s40, s40, exec_lo
	s_or_b32 s12, s12, s40
	s_or_b32 exec_lo, exec_lo, s29
	s_and_saveexec_b32 s29, s12
	s_cbranch_execnz .LBB2_2839
	s_branch .LBB2_2840
.LBB2_3399:                             ;   in Loop: Header=BB2_2819 Depth=2
	s_or_saveexec_b32 s29, s29
	v_mov_b32_e32 v112, 0x7f800001
	s_xor_b32 exec_lo, exec_lo, s29
	s_cbranch_execz .LBB2_2844
.LBB2_3400:                             ;   in Loop: Header=BB2_2819 Depth=2
	v_cmp_ne_u16_sdwa s40, v10, v35 src0_sel:BYTE_0 src1_sel:DWORD
	v_mov_b32_e32 v112, 0
	s_andn2_b32 s12, s12, exec_lo
	s_and_b32 s40, s40, exec_lo
	s_or_b32 s12, s12, s40
	s_or_b32 exec_lo, exec_lo, s29
	s_and_saveexec_b32 s29, s12
	s_cbranch_execnz .LBB2_2845
	s_branch .LBB2_2846
.LBB2_3401:                             ;   in Loop: Header=BB2_2819 Depth=2
	s_or_saveexec_b32 s29, s29
	v_mov_b32_e32 v112, 0x7f800001
	s_xor_b32 exec_lo, exec_lo, s29
	s_cbranch_execz .LBB2_2860
.LBB2_3402:                             ;   in Loop: Header=BB2_2819 Depth=2
	v_cmp_ne_u16_sdwa s40, v14, v35 src0_sel:BYTE_1 src1_sel:DWORD
	v_mov_b32_e32 v112, 0
	s_andn2_b32 s12, s12, exec_lo
	s_and_b32 s40, s40, exec_lo
	s_or_b32 s12, s12, s40
	s_or_b32 exec_lo, exec_lo, s29
	s_and_saveexec_b32 s29, s12
	s_cbranch_execnz .LBB2_2861
	s_branch .LBB2_2862
.LBB2_3403:                             ;   in Loop: Header=BB2_2819 Depth=2
	s_or_saveexec_b32 s29, s29
	v_mov_b32_e32 v113, 0x7f800001
	s_xor_b32 exec_lo, exec_lo, s29
	s_cbranch_execz .LBB2_2866
.LBB2_3404:                             ;   in Loop: Header=BB2_2819 Depth=2
	v_cmp_ne_u16_sdwa s40, v10, v35 src0_sel:BYTE_1 src1_sel:DWORD
	v_mov_b32_e32 v113, 0
	s_andn2_b32 s12, s12, exec_lo
	s_and_b32 s40, s40, exec_lo
	s_or_b32 s12, s12, s40
	s_or_b32 exec_lo, exec_lo, s29
	s_and_saveexec_b32 s29, s12
	s_cbranch_execnz .LBB2_2867
	s_branch .LBB2_2868
.LBB2_3405:                             ;   in Loop: Header=BB2_2819 Depth=2
	s_or_saveexec_b32 s29, s29
	v_mov_b32_e32 v112, 0x7f800001
	s_xor_b32 exec_lo, exec_lo, s29
	s_cbranch_execz .LBB2_2874
.LBB2_3406:                             ;   in Loop: Header=BB2_2819 Depth=2
	v_cmp_ne_u16_sdwa s40, v14, v35 src0_sel:BYTE_1 src1_sel:DWORD
	v_mov_b32_e32 v112, 0
	s_andn2_b32 s12, s12, exec_lo
	s_and_b32 s40, s40, exec_lo
	s_or_b32 s12, s12, s40
	s_or_b32 exec_lo, exec_lo, s29
	s_and_saveexec_b32 s29, s12
	s_cbranch_execnz .LBB2_2875
	s_branch .LBB2_2876
.LBB2_3407:                             ;   in Loop: Header=BB2_2819 Depth=2
	s_or_saveexec_b32 s29, s29
	v_mov_b32_e32 v113, 0x7f800001
	s_xor_b32 exec_lo, exec_lo, s29
	s_cbranch_execz .LBB2_2880
.LBB2_3408:                             ;   in Loop: Header=BB2_2819 Depth=2
	v_cmp_ne_u16_sdwa s40, v10, v35 src0_sel:BYTE_1 src1_sel:DWORD
	v_mov_b32_e32 v113, 0
	s_andn2_b32 s12, s12, exec_lo
	s_and_b32 s40, s40, exec_lo
	s_or_b32 s12, s12, s40
	s_or_b32 exec_lo, exec_lo, s29
	s_and_saveexec_b32 s29, s12
	s_cbranch_execnz .LBB2_2881
	s_branch .LBB2_2882
.LBB2_3409:                             ;   in Loop: Header=BB2_2819 Depth=2
	s_or_saveexec_b32 s12, s12
	v_mov_b32_e32 v114, 0x7f800001
	s_xor_b32 exec_lo, exec_lo, s12
	s_cbranch_execz .LBB2_2896
.LBB2_3410:                             ;   in Loop: Header=BB2_2819 Depth=2
	v_cmp_ne_u16_e32 vcc_lo, 0, v113
	v_mov_b32_e32 v114, 0
	s_andn2_b32 s29, s29, exec_lo
	s_and_b32 s40, vcc_lo, exec_lo
	s_or_b32 s29, s29, s40
	s_or_b32 exec_lo, exec_lo, s12
	s_and_saveexec_b32 s12, s29
	s_cbranch_execnz .LBB2_2897
	s_branch .LBB2_2898
.LBB2_3411:                             ;   in Loop: Header=BB2_2819 Depth=2
	s_or_saveexec_b32 s29, s29
	v_mov_b32_e32 v115, 0x7f800001
	s_xor_b32 exec_lo, exec_lo, s29
	s_cbranch_execz .LBB2_2902
.LBB2_3412:                             ;   in Loop: Header=BB2_2819 Depth=2
	v_cmp_ne_u16_e32 vcc_lo, 0, v116
	v_mov_b32_e32 v115, 0
	s_andn2_b32 s12, s12, exec_lo
	s_and_b32 s40, vcc_lo, exec_lo
	s_or_b32 s12, s12, s40
	s_or_b32 exec_lo, exec_lo, s29
	s_and_saveexec_b32 s29, s12
	s_cbranch_execnz .LBB2_2903
	s_branch .LBB2_2904
.LBB2_3413:                             ;   in Loop: Header=BB2_2819 Depth=2
	s_or_saveexec_b32 s29, s29
	v_mov_b32_e32 v114, 0x7f800001
	s_xor_b32 exec_lo, exec_lo, s29
	s_cbranch_execz .LBB2_2910
.LBB2_3414:                             ;   in Loop: Header=BB2_2819 Depth=2
	v_cmp_ne_u16_e32 vcc_lo, 0, v113
	v_mov_b32_e32 v114, 0
	s_andn2_b32 s12, s12, exec_lo
	s_and_b32 s40, vcc_lo, exec_lo
	s_or_b32 s12, s12, s40
	s_or_b32 exec_lo, exec_lo, s29
	s_and_saveexec_b32 s29, s12
	s_cbranch_execnz .LBB2_2911
	s_branch .LBB2_2912
.LBB2_3415:                             ;   in Loop: Header=BB2_2819 Depth=2
	s_or_saveexec_b32 s29, s29
	v_mov_b32_e32 v113, 0x7f800001
	s_xor_b32 exec_lo, exec_lo, s29
	s_cbranch_execz .LBB2_2916
.LBB2_3416:                             ;   in Loop: Header=BB2_2819 Depth=2
	v_cmp_ne_u16_e32 vcc_lo, 0, v115
	v_mov_b32_e32 v113, 0
	s_andn2_b32 s12, s12, exec_lo
	s_and_b32 s40, vcc_lo, exec_lo
	s_or_b32 s12, s12, s40
	s_or_b32 exec_lo, exec_lo, s29
	s_and_saveexec_b32 s29, s12
	s_cbranch_execnz .LBB2_2917
	s_branch .LBB2_2918
.LBB2_3417:                             ;   in Loop: Header=BB2_2819 Depth=2
	s_or_saveexec_b32 s29, s29
	v_mov_b32_e32 v114, 0x7f800001
	s_xor_b32 exec_lo, exec_lo, s29
	s_cbranch_execz .LBB2_2932
.LBB2_3418:                             ;   in Loop: Header=BB2_2819 Depth=2
	v_cmp_ne_u16_sdwa s40, v14, v35 src0_sel:BYTE_3 src1_sel:DWORD
	v_mov_b32_e32 v114, 0
	s_andn2_b32 s12, s12, exec_lo
	s_and_b32 s40, s40, exec_lo
	s_or_b32 s12, s12, s40
	s_or_b32 exec_lo, exec_lo, s29
	s_and_saveexec_b32 s29, s12
	s_cbranch_execnz .LBB2_2933
	s_branch .LBB2_2934
.LBB2_3419:                             ;   in Loop: Header=BB2_2819 Depth=2
	s_or_saveexec_b32 s29, s29
	v_mov_b32_e32 v115, 0x7f800001
	s_xor_b32 exec_lo, exec_lo, s29
	s_cbranch_execz .LBB2_2938
.LBB2_3420:                             ;   in Loop: Header=BB2_2819 Depth=2
	v_cmp_ne_u16_sdwa s40, v10, v35 src0_sel:BYTE_3 src1_sel:DWORD
	v_mov_b32_e32 v115, 0
	s_andn2_b32 s12, s12, exec_lo
	s_and_b32 s40, s40, exec_lo
	s_or_b32 s12, s12, s40
	s_or_b32 exec_lo, exec_lo, s29
	s_and_saveexec_b32 s29, s12
	s_cbranch_execnz .LBB2_2939
	s_branch .LBB2_2940
.LBB2_3421:                             ;   in Loop: Header=BB2_2819 Depth=2
	s_or_saveexec_b32 s29, s29
	v_mov_b32_e32 v114, 0x7f800001
	s_xor_b32 exec_lo, exec_lo, s29
	s_cbranch_execz .LBB2_2946
.LBB2_3422:                             ;   in Loop: Header=BB2_2819 Depth=2
	v_cmp_ne_u16_sdwa s40, v14, v35 src0_sel:BYTE_3 src1_sel:DWORD
	v_mov_b32_e32 v114, 0
	s_andn2_b32 s12, s12, exec_lo
	s_and_b32 s40, s40, exec_lo
	s_or_b32 s12, s12, s40
	s_or_b32 exec_lo, exec_lo, s29
	s_and_saveexec_b32 s29, s12
	s_cbranch_execnz .LBB2_2947
	s_branch .LBB2_2948
.LBB2_3423:                             ;   in Loop: Header=BB2_2819 Depth=2
	s_or_saveexec_b32 s29, s29
	v_mov_b32_e32 v14, 0x7f800001
	s_xor_b32 exec_lo, exec_lo, s29
	s_cbranch_execz .LBB2_2952
.LBB2_3424:                             ;   in Loop: Header=BB2_2819 Depth=2
	v_cmp_ne_u16_sdwa s40, v10, v35 src0_sel:BYTE_3 src1_sel:DWORD
	v_mov_b32_e32 v14, 0
	s_andn2_b32 s12, s12, exec_lo
	s_and_b32 s40, s40, exec_lo
	s_or_b32 s12, s12, s40
	s_or_b32 exec_lo, exec_lo, s29
	s_and_saveexec_b32 s29, s12
	s_cbranch_execnz .LBB2_2953
	s_branch .LBB2_2954
.LBB2_3425:                             ;   in Loop: Header=BB2_2819 Depth=2
	s_or_saveexec_b32 s29, s29
	v_mov_b32_e32 v113, 0x7f800001
	s_xor_b32 exec_lo, exec_lo, s29
	s_cbranch_execz .LBB2_2968
.LBB2_3426:                             ;   in Loop: Header=BB2_2819 Depth=2
	v_cmp_ne_u16_sdwa s40, v15, v35 src0_sel:BYTE_0 src1_sel:DWORD
	v_mov_b32_e32 v113, 0
	s_andn2_b32 s12, s12, exec_lo
	s_and_b32 s40, s40, exec_lo
	s_or_b32 s12, s12, s40
	s_or_b32 exec_lo, exec_lo, s29
	s_and_saveexec_b32 s29, s12
	s_cbranch_execnz .LBB2_2969
	s_branch .LBB2_2970
.LBB2_3427:                             ;   in Loop: Header=BB2_2819 Depth=2
	s_or_saveexec_b32 s29, s29
	v_mov_b32_e32 v114, 0x7f800001
	s_xor_b32 exec_lo, exec_lo, s29
	s_cbranch_execz .LBB2_2974
.LBB2_3428:                             ;   in Loop: Header=BB2_2819 Depth=2
	v_cmp_ne_u16_sdwa s40, v11, v35 src0_sel:BYTE_0 src1_sel:DWORD
	v_mov_b32_e32 v114, 0
	s_andn2_b32 s12, s12, exec_lo
	s_and_b32 s40, s40, exec_lo
	s_or_b32 s12, s12, s40
	s_or_b32 exec_lo, exec_lo, s29
	s_and_saveexec_b32 s29, s12
	s_cbranch_execnz .LBB2_2975
	s_branch .LBB2_2976
.LBB2_3429:                             ;   in Loop: Header=BB2_2819 Depth=2
	s_or_saveexec_b32 s29, s29
	v_mov_b32_e32 v113, 0x7f800001
	s_xor_b32 exec_lo, exec_lo, s29
	s_cbranch_execz .LBB2_2982
.LBB2_3430:                             ;   in Loop: Header=BB2_2819 Depth=2
	v_cmp_ne_u16_sdwa s40, v15, v35 src0_sel:BYTE_0 src1_sel:DWORD
	v_mov_b32_e32 v113, 0
	s_andn2_b32 s12, s12, exec_lo
	s_and_b32 s40, s40, exec_lo
	s_or_b32 s12, s12, s40
	s_or_b32 exec_lo, exec_lo, s29
	s_and_saveexec_b32 s29, s12
	s_cbranch_execnz .LBB2_2983
	s_branch .LBB2_2984
.LBB2_3431:                             ;   in Loop: Header=BB2_2819 Depth=2
	s_or_saveexec_b32 s29, s29
	v_mov_b32_e32 v114, 0x7f800001
	s_xor_b32 exec_lo, exec_lo, s29
	s_cbranch_execz .LBB2_2988
.LBB2_3432:                             ;   in Loop: Header=BB2_2819 Depth=2
	v_cmp_ne_u16_sdwa s40, v11, v35 src0_sel:BYTE_0 src1_sel:DWORD
	v_mov_b32_e32 v114, 0
	s_andn2_b32 s12, s12, exec_lo
	s_and_b32 s40, s40, exec_lo
	s_or_b32 s12, s12, s40
	s_or_b32 exec_lo, exec_lo, s29
	s_and_saveexec_b32 s29, s12
	s_cbranch_execnz .LBB2_2989
	s_branch .LBB2_2990
.LBB2_3433:                             ;   in Loop: Header=BB2_2819 Depth=2
	s_or_saveexec_b32 s29, s29
	v_mov_b32_e32 v114, 0x7f800001
	s_xor_b32 exec_lo, exec_lo, s29
	s_cbranch_execz .LBB2_3004
.LBB2_3434:                             ;   in Loop: Header=BB2_2819 Depth=2
	v_cmp_ne_u16_sdwa s40, v15, v35 src0_sel:BYTE_1 src1_sel:DWORD
	v_mov_b32_e32 v114, 0
	s_andn2_b32 s12, s12, exec_lo
	s_and_b32 s40, s40, exec_lo
	s_or_b32 s12, s12, s40
	s_or_b32 exec_lo, exec_lo, s29
	s_and_saveexec_b32 s29, s12
	s_cbranch_execnz .LBB2_3005
	s_branch .LBB2_3006
.LBB2_3435:                             ;   in Loop: Header=BB2_2819 Depth=2
	s_or_saveexec_b32 s29, s29
	v_mov_b32_e32 v115, 0x7f800001
	s_xor_b32 exec_lo, exec_lo, s29
	s_cbranch_execz .LBB2_3010
.LBB2_3436:                             ;   in Loop: Header=BB2_2819 Depth=2
	v_cmp_ne_u16_sdwa s40, v11, v35 src0_sel:BYTE_1 src1_sel:DWORD
	v_mov_b32_e32 v115, 0
	s_andn2_b32 s12, s12, exec_lo
	s_and_b32 s40, s40, exec_lo
	s_or_b32 s12, s12, s40
	s_or_b32 exec_lo, exec_lo, s29
	s_and_saveexec_b32 s29, s12
	s_cbranch_execnz .LBB2_3011
	s_branch .LBB2_3012
.LBB2_3437:                             ;   in Loop: Header=BB2_2819 Depth=2
	s_or_saveexec_b32 s29, s29
	v_mov_b32_e32 v114, 0x7f800001
	s_xor_b32 exec_lo, exec_lo, s29
	s_cbranch_execz .LBB2_3018
.LBB2_3438:                             ;   in Loop: Header=BB2_2819 Depth=2
	v_cmp_ne_u16_sdwa s40, v15, v35 src0_sel:BYTE_1 src1_sel:DWORD
	v_mov_b32_e32 v114, 0
	s_andn2_b32 s12, s12, exec_lo
	s_and_b32 s40, s40, exec_lo
	s_or_b32 s12, s12, s40
	s_or_b32 exec_lo, exec_lo, s29
	s_and_saveexec_b32 s29, s12
	s_cbranch_execnz .LBB2_3019
	s_branch .LBB2_3020
.LBB2_3439:                             ;   in Loop: Header=BB2_2819 Depth=2
	s_or_saveexec_b32 s29, s29
	v_mov_b32_e32 v115, 0x7f800001
	s_xor_b32 exec_lo, exec_lo, s29
	s_cbranch_execz .LBB2_3024
.LBB2_3440:                             ;   in Loop: Header=BB2_2819 Depth=2
	v_cmp_ne_u16_sdwa s40, v11, v35 src0_sel:BYTE_1 src1_sel:DWORD
	v_mov_b32_e32 v115, 0
	s_andn2_b32 s12, s12, exec_lo
	s_and_b32 s40, s40, exec_lo
	s_or_b32 s12, s12, s40
	s_or_b32 exec_lo, exec_lo, s29
	s_and_saveexec_b32 s29, s12
	s_cbranch_execnz .LBB2_3025
	s_branch .LBB2_3026
.LBB2_3441:                             ;   in Loop: Header=BB2_2819 Depth=2
	s_or_saveexec_b32 s12, s12
	v_mov_b32_e32 v116, 0x7f800001
	s_xor_b32 exec_lo, exec_lo, s12
	s_cbranch_execz .LBB2_3040
.LBB2_3442:                             ;   in Loop: Header=BB2_2819 Depth=2
	v_cmp_ne_u16_e32 vcc_lo, 0, v115
	v_mov_b32_e32 v116, 0
	s_andn2_b32 s29, s29, exec_lo
	s_and_b32 s40, vcc_lo, exec_lo
	s_or_b32 s29, s29, s40
	s_or_b32 exec_lo, exec_lo, s12
	s_and_saveexec_b32 s12, s29
	s_cbranch_execnz .LBB2_3041
	s_branch .LBB2_3042
.LBB2_3443:                             ;   in Loop: Header=BB2_2819 Depth=2
	s_or_saveexec_b32 s29, s29
	v_mov_b32_e32 v117, 0x7f800001
	s_xor_b32 exec_lo, exec_lo, s29
	s_cbranch_execz .LBB2_3046
.LBB2_3444:                             ;   in Loop: Header=BB2_2819 Depth=2
	v_cmp_ne_u16_e32 vcc_lo, 0, v118
	v_mov_b32_e32 v117, 0
	s_andn2_b32 s12, s12, exec_lo
	s_and_b32 s40, vcc_lo, exec_lo
	s_or_b32 s12, s12, s40
	s_or_b32 exec_lo, exec_lo, s29
	s_and_saveexec_b32 s29, s12
	s_cbranch_execnz .LBB2_3047
	s_branch .LBB2_3048
.LBB2_3445:                             ;   in Loop: Header=BB2_2819 Depth=2
	s_or_saveexec_b32 s29, s29
	v_mov_b32_e32 v116, 0x7f800001
	s_xor_b32 exec_lo, exec_lo, s29
	s_cbranch_execz .LBB2_3054
.LBB2_3446:                             ;   in Loop: Header=BB2_2819 Depth=2
	v_cmp_ne_u16_e32 vcc_lo, 0, v115
	v_mov_b32_e32 v116, 0
	s_andn2_b32 s12, s12, exec_lo
	s_and_b32 s40, vcc_lo, exec_lo
	s_or_b32 s12, s12, s40
	s_or_b32 exec_lo, exec_lo, s29
	s_and_saveexec_b32 s29, s12
	s_cbranch_execnz .LBB2_3055
	s_branch .LBB2_3056
.LBB2_3447:                             ;   in Loop: Header=BB2_2819 Depth=2
	s_or_saveexec_b32 s29, s29
	v_mov_b32_e32 v115, 0x7f800001
	s_xor_b32 exec_lo, exec_lo, s29
	s_cbranch_execz .LBB2_3060
.LBB2_3448:                             ;   in Loop: Header=BB2_2819 Depth=2
	v_cmp_ne_u16_e32 vcc_lo, 0, v117
	v_mov_b32_e32 v115, 0
	s_andn2_b32 s12, s12, exec_lo
	s_and_b32 s40, vcc_lo, exec_lo
	s_or_b32 s12, s12, s40
	s_or_b32 exec_lo, exec_lo, s29
	s_and_saveexec_b32 s29, s12
	s_cbranch_execnz .LBB2_3061
	s_branch .LBB2_3062
.LBB2_3449:                             ;   in Loop: Header=BB2_2819 Depth=2
	s_or_saveexec_b32 s29, s29
	v_mov_b32_e32 v116, 0x7f800001
	s_xor_b32 exec_lo, exec_lo, s29
	s_cbranch_execz .LBB2_3076
.LBB2_3450:                             ;   in Loop: Header=BB2_2819 Depth=2
	v_cmp_ne_u16_sdwa s40, v15, v35 src0_sel:BYTE_3 src1_sel:DWORD
	v_mov_b32_e32 v116, 0
	s_andn2_b32 s12, s12, exec_lo
	s_and_b32 s40, s40, exec_lo
	s_or_b32 s12, s12, s40
	s_or_b32 exec_lo, exec_lo, s29
	s_and_saveexec_b32 s29, s12
	s_cbranch_execnz .LBB2_3077
	s_branch .LBB2_3078
.LBB2_3451:                             ;   in Loop: Header=BB2_2819 Depth=2
	s_or_saveexec_b32 s29, s29
	v_mov_b32_e32 v117, 0x7f800001
	s_xor_b32 exec_lo, exec_lo, s29
	s_cbranch_execz .LBB2_3082
.LBB2_3452:                             ;   in Loop: Header=BB2_2819 Depth=2
	v_cmp_ne_u16_sdwa s40, v11, v35 src0_sel:BYTE_3 src1_sel:DWORD
	v_mov_b32_e32 v117, 0
	s_andn2_b32 s12, s12, exec_lo
	s_and_b32 s40, s40, exec_lo
	s_or_b32 s12, s12, s40
	s_or_b32 exec_lo, exec_lo, s29
	s_and_saveexec_b32 s29, s12
	s_cbranch_execnz .LBB2_3083
	s_branch .LBB2_3084
.LBB2_3453:                             ;   in Loop: Header=BB2_2819 Depth=2
	s_or_saveexec_b32 s29, s29
	v_mov_b32_e32 v116, 0x7f800001
	s_xor_b32 exec_lo, exec_lo, s29
	s_cbranch_execz .LBB2_3090
.LBB2_3454:                             ;   in Loop: Header=BB2_2819 Depth=2
	v_cmp_ne_u16_sdwa s40, v15, v35 src0_sel:BYTE_3 src1_sel:DWORD
	v_mov_b32_e32 v116, 0
	s_andn2_b32 s12, s12, exec_lo
	s_and_b32 s40, s40, exec_lo
	s_or_b32 s12, s12, s40
	s_or_b32 exec_lo, exec_lo, s29
	s_and_saveexec_b32 s29, s12
	s_cbranch_execnz .LBB2_3091
	s_branch .LBB2_3092
.LBB2_3455:                             ;   in Loop: Header=BB2_2819 Depth=2
	s_or_saveexec_b32 s29, s29
	v_mov_b32_e32 v15, 0x7f800001
	s_xor_b32 exec_lo, exec_lo, s29
	s_cbranch_execz .LBB2_3096
.LBB2_3456:                             ;   in Loop: Header=BB2_2819 Depth=2
	v_cmp_ne_u16_sdwa s40, v11, v35 src0_sel:BYTE_3 src1_sel:DWORD
	v_mov_b32_e32 v15, 0
	s_andn2_b32 s12, s12, exec_lo
	s_and_b32 s40, s40, exec_lo
	s_or_b32 s12, s12, s40
	s_or_b32 exec_lo, exec_lo, s29
	s_and_saveexec_b32 s29, s12
	s_cbranch_execnz .LBB2_3097
	s_branch .LBB2_3098
.LBB2_3457:                             ;   in Loop: Header=BB2_2819 Depth=2
	s_or_saveexec_b32 s29, s29
	v_mov_b32_e32 v11, 0x7f800001
	s_xor_b32 exec_lo, exec_lo, s29
	s_cbranch_execz .LBB2_3112
.LBB2_3458:                             ;   in Loop: Header=BB2_2819 Depth=2
	v_cmp_ne_u16_sdwa s40, v16, v35 src0_sel:BYTE_0 src1_sel:DWORD
	v_mov_b32_e32 v11, 0
	s_andn2_b32 s12, s12, exec_lo
	s_and_b32 s40, s40, exec_lo
	s_or_b32 s12, s12, s40
	s_or_b32 exec_lo, exec_lo, s29
	s_and_saveexec_b32 s29, s12
	s_cbranch_execnz .LBB2_3113
	s_branch .LBB2_3114
.LBB2_3459:                             ;   in Loop: Header=BB2_2819 Depth=2
	s_or_saveexec_b32 s29, s29
	v_mov_b32_e32 v116, 0x7f800001
	s_xor_b32 exec_lo, exec_lo, s29
	s_cbranch_execz .LBB2_3118
.LBB2_3460:                             ;   in Loop: Header=BB2_2819 Depth=2
	v_cmp_ne_u16_sdwa s40, v12, v35 src0_sel:BYTE_0 src1_sel:DWORD
	v_mov_b32_e32 v116, 0
	s_andn2_b32 s12, s12, exec_lo
	s_and_b32 s40, s40, exec_lo
	s_or_b32 s12, s12, s40
	s_or_b32 exec_lo, exec_lo, s29
	s_and_saveexec_b32 s29, s12
	s_cbranch_execnz .LBB2_3119
	s_branch .LBB2_3120
.LBB2_3461:                             ;   in Loop: Header=BB2_2819 Depth=2
	s_or_saveexec_b32 s29, s29
	v_mov_b32_e32 v11, 0x7f800001
	s_xor_b32 exec_lo, exec_lo, s29
	s_cbranch_execz .LBB2_3126
.LBB2_3462:                             ;   in Loop: Header=BB2_2819 Depth=2
	v_cmp_ne_u16_sdwa s40, v16, v35 src0_sel:BYTE_0 src1_sel:DWORD
	v_mov_b32_e32 v11, 0
	s_andn2_b32 s12, s12, exec_lo
	s_and_b32 s40, s40, exec_lo
	s_or_b32 s12, s12, s40
	s_or_b32 exec_lo, exec_lo, s29
	s_and_saveexec_b32 s29, s12
	s_cbranch_execnz .LBB2_3127
	s_branch .LBB2_3128
.LBB2_3463:                             ;   in Loop: Header=BB2_2819 Depth=2
	s_or_saveexec_b32 s29, s29
	v_mov_b32_e32 v116, 0x7f800001
	s_xor_b32 exec_lo, exec_lo, s29
	s_cbranch_execz .LBB2_3132
.LBB2_3464:                             ;   in Loop: Header=BB2_2819 Depth=2
	v_cmp_ne_u16_sdwa s40, v12, v35 src0_sel:BYTE_0 src1_sel:DWORD
	v_mov_b32_e32 v116, 0
	s_andn2_b32 s12, s12, exec_lo
	s_and_b32 s40, s40, exec_lo
	s_or_b32 s12, s12, s40
	s_or_b32 exec_lo, exec_lo, s29
	s_and_saveexec_b32 s29, s12
	s_cbranch_execnz .LBB2_3133
	s_branch .LBB2_3134
.LBB2_3465:                             ;   in Loop: Header=BB2_2819 Depth=2
	s_or_saveexec_b32 s29, s29
	v_mov_b32_e32 v11, 0x7f800001
	s_xor_b32 exec_lo, exec_lo, s29
	s_cbranch_execz .LBB2_3148
.LBB2_3466:                             ;   in Loop: Header=BB2_2819 Depth=2
	v_cmp_ne_u16_sdwa s40, v16, v35 src0_sel:BYTE_1 src1_sel:DWORD
	v_mov_b32_e32 v11, 0
	s_andn2_b32 s12, s12, exec_lo
	s_and_b32 s40, s40, exec_lo
	s_or_b32 s12, s12, s40
	s_or_b32 exec_lo, exec_lo, s29
	s_and_saveexec_b32 s29, s12
	s_cbranch_execnz .LBB2_3149
	s_branch .LBB2_3150
.LBB2_3467:                             ;   in Loop: Header=BB2_2819 Depth=2
	s_or_saveexec_b32 s29, s29
	v_mov_b32_e32 v117, 0x7f800001
	s_xor_b32 exec_lo, exec_lo, s29
	s_cbranch_execz .LBB2_3154
.LBB2_3468:                             ;   in Loop: Header=BB2_2819 Depth=2
	v_cmp_ne_u16_sdwa s40, v12, v35 src0_sel:BYTE_1 src1_sel:DWORD
	v_mov_b32_e32 v117, 0
	s_andn2_b32 s12, s12, exec_lo
	s_and_b32 s40, s40, exec_lo
	s_or_b32 s12, s12, s40
	s_or_b32 exec_lo, exec_lo, s29
	s_and_saveexec_b32 s29, s12
	s_cbranch_execnz .LBB2_3155
	s_branch .LBB2_3156
.LBB2_3469:                             ;   in Loop: Header=BB2_2819 Depth=2
	s_or_saveexec_b32 s29, s29
	v_mov_b32_e32 v11, 0x7f800001
	s_xor_b32 exec_lo, exec_lo, s29
	s_cbranch_execz .LBB2_3162
.LBB2_3470:                             ;   in Loop: Header=BB2_2819 Depth=2
	v_cmp_ne_u16_sdwa s40, v16, v35 src0_sel:BYTE_1 src1_sel:DWORD
	v_mov_b32_e32 v11, 0
	s_andn2_b32 s12, s12, exec_lo
	s_and_b32 s40, s40, exec_lo
	s_or_b32 s12, s12, s40
	s_or_b32 exec_lo, exec_lo, s29
	s_and_saveexec_b32 s29, s12
	s_cbranch_execnz .LBB2_3163
	s_branch .LBB2_3164
.LBB2_3471:                             ;   in Loop: Header=BB2_2819 Depth=2
	s_or_saveexec_b32 s29, s29
	v_mov_b32_e32 v117, 0x7f800001
	s_xor_b32 exec_lo, exec_lo, s29
	s_cbranch_execz .LBB2_3168
.LBB2_3472:                             ;   in Loop: Header=BB2_2819 Depth=2
	v_cmp_ne_u16_sdwa s40, v12, v35 src0_sel:BYTE_1 src1_sel:DWORD
	v_mov_b32_e32 v117, 0
	s_andn2_b32 s12, s12, exec_lo
	s_and_b32 s40, s40, exec_lo
	s_or_b32 s12, s12, s40
	s_or_b32 exec_lo, exec_lo, s29
	s_and_saveexec_b32 s29, s12
	s_cbranch_execnz .LBB2_3169
	s_branch .LBB2_3170
.LBB2_3473:                             ;   in Loop: Header=BB2_2819 Depth=2
	s_or_saveexec_b32 s12, s12
	v_mov_b32_e32 v118, 0x7f800001
	s_xor_b32 exec_lo, exec_lo, s12
	s_cbranch_execz .LBB2_3184
.LBB2_3474:                             ;   in Loop: Header=BB2_2819 Depth=2
	v_cmp_ne_u16_e32 vcc_lo, 0, v11
	v_mov_b32_e32 v118, 0
	s_andn2_b32 s29, s29, exec_lo
	s_and_b32 s40, vcc_lo, exec_lo
	s_or_b32 s29, s29, s40
	s_or_b32 exec_lo, exec_lo, s12
	s_and_saveexec_b32 s12, s29
	s_cbranch_execnz .LBB2_3185
	s_branch .LBB2_3186
.LBB2_3475:                             ;   in Loop: Header=BB2_2819 Depth=2
	s_or_saveexec_b32 s29, s29
	v_mov_b32_e32 v119, 0x7f800001
	s_xor_b32 exec_lo, exec_lo, s29
	s_cbranch_execz .LBB2_3190
.LBB2_3476:                             ;   in Loop: Header=BB2_2819 Depth=2
	v_cmp_ne_u16_e32 vcc_lo, 0, v40
	v_mov_b32_e32 v119, 0
	s_andn2_b32 s12, s12, exec_lo
	s_and_b32 s40, vcc_lo, exec_lo
	s_or_b32 s12, s12, s40
	s_or_b32 exec_lo, exec_lo, s29
	s_and_saveexec_b32 s29, s12
	s_cbranch_execnz .LBB2_3191
	s_branch .LBB2_3192
.LBB2_3477:                             ;   in Loop: Header=BB2_2819 Depth=2
	s_or_saveexec_b32 s29, s29
	v_mov_b32_e32 v118, 0x7f800001
	s_xor_b32 exec_lo, exec_lo, s29
	s_cbranch_execz .LBB2_3198
.LBB2_3478:                             ;   in Loop: Header=BB2_2819 Depth=2
	v_cmp_ne_u16_e32 vcc_lo, 0, v11
	v_mov_b32_e32 v118, 0
	s_andn2_b32 s12, s12, exec_lo
	s_and_b32 s40, vcc_lo, exec_lo
	s_or_b32 s12, s12, s40
	s_or_b32 exec_lo, exec_lo, s29
	s_and_saveexec_b32 s29, s12
	s_cbranch_execnz .LBB2_3199
	s_branch .LBB2_3200
.LBB2_3479:                             ;   in Loop: Header=BB2_2819 Depth=2
	s_or_saveexec_b32 s29, s29
	v_mov_b32_e32 v11, 0x7f800001
	s_xor_b32 exec_lo, exec_lo, s29
	s_cbranch_execz .LBB2_3204
.LBB2_3480:                             ;   in Loop: Header=BB2_2819 Depth=2
	v_cmp_ne_u16_e32 vcc_lo, 0, v119
	v_mov_b32_e32 v11, 0
	s_andn2_b32 s12, s12, exec_lo
	s_and_b32 s40, vcc_lo, exec_lo
	s_or_b32 s12, s12, s40
	s_or_b32 exec_lo, exec_lo, s29
	s_and_saveexec_b32 s29, s12
	s_cbranch_execnz .LBB2_3205
	s_branch .LBB2_3206
.LBB2_3481:                             ;   in Loop: Header=BB2_2819 Depth=2
	s_or_saveexec_b32 s29, s29
	v_mov_b32_e32 v11, 0x7f800001
	s_xor_b32 exec_lo, exec_lo, s29
	s_cbranch_execz .LBB2_3220
.LBB2_3482:                             ;   in Loop: Header=BB2_2819 Depth=2
	v_cmp_ne_u16_sdwa s40, v16, v35 src0_sel:BYTE_3 src1_sel:DWORD
	v_mov_b32_e32 v11, 0
	s_andn2_b32 s12, s12, exec_lo
	s_and_b32 s40, s40, exec_lo
	s_or_b32 s12, s12, s40
	s_or_b32 exec_lo, exec_lo, s29
	s_and_saveexec_b32 s29, s12
	s_cbranch_execnz .LBB2_3221
	s_branch .LBB2_3222
.LBB2_3483:                             ;   in Loop: Header=BB2_2819 Depth=2
	s_or_saveexec_b32 s29, s29
	v_mov_b32_e32 v119, 0x7f800001
	s_xor_b32 exec_lo, exec_lo, s29
	s_cbranch_execz .LBB2_3226
.LBB2_3484:                             ;   in Loop: Header=BB2_2819 Depth=2
	v_cmp_ne_u16_sdwa s40, v12, v35 src0_sel:BYTE_3 src1_sel:DWORD
	v_mov_b32_e32 v119, 0
	s_andn2_b32 s12, s12, exec_lo
	s_and_b32 s40, s40, exec_lo
	s_or_b32 s12, s12, s40
	s_or_b32 exec_lo, exec_lo, s29
	s_and_saveexec_b32 s29, s12
	s_cbranch_execnz .LBB2_3227
	s_branch .LBB2_3228
.LBB2_3485:                             ;   in Loop: Header=BB2_2819 Depth=2
	s_or_saveexec_b32 s29, s29
	v_mov_b32_e32 v11, 0x7f800001
	s_xor_b32 exec_lo, exec_lo, s29
	s_cbranch_execz .LBB2_3234
.LBB2_3486:                             ;   in Loop: Header=BB2_2819 Depth=2
	v_cmp_ne_u16_sdwa s40, v16, v35 src0_sel:BYTE_3 src1_sel:DWORD
	v_mov_b32_e32 v11, 0
	s_andn2_b32 s12, s12, exec_lo
	s_and_b32 s40, s40, exec_lo
	s_or_b32 s12, s12, s40
	s_or_b32 exec_lo, exec_lo, s29
	s_and_saveexec_b32 s29, s12
	s_cbranch_execnz .LBB2_3235
	s_branch .LBB2_3236
.LBB2_3487:                             ;   in Loop: Header=BB2_2819 Depth=2
	s_or_saveexec_b32 s29, s29
	v_mov_b32_e32 v16, 0x7f800001
	s_xor_b32 exec_lo, exec_lo, s29
	s_cbranch_execz .LBB2_3240
.LBB2_3488:                             ;   in Loop: Header=BB2_2819 Depth=2
	v_cmp_ne_u16_sdwa s40, v12, v35 src0_sel:BYTE_3 src1_sel:DWORD
	v_mov_b32_e32 v16, 0
	s_andn2_b32 s12, s12, exec_lo
	s_and_b32 s40, s40, exec_lo
	s_or_b32 s12, s12, s40
	s_or_b32 exec_lo, exec_lo, s29
	s_and_saveexec_b32 s29, s12
	s_cbranch_execnz .LBB2_3241
	s_branch .LBB2_3242
.LBB2_3489:                             ;   in Loop: Header=BB2_2819 Depth=2
	s_or_saveexec_b32 s29, s29
	v_mov_b32_e32 v11, 0x7f800001
	s_xor_b32 exec_lo, exec_lo, s29
	s_cbranch_execz .LBB2_3256
.LBB2_3490:                             ;   in Loop: Header=BB2_2819 Depth=2
	v_cmp_ne_u16_sdwa s40, v17, v35 src0_sel:BYTE_0 src1_sel:DWORD
	v_mov_b32_e32 v11, 0
	s_andn2_b32 s12, s12, exec_lo
	s_and_b32 s40, s40, exec_lo
	s_or_b32 s12, s12, s40
	s_or_b32 exec_lo, exec_lo, s29
	s_and_saveexec_b32 s29, s12
	s_cbranch_execnz .LBB2_3257
	s_branch .LBB2_3258
.LBB2_3491:                             ;   in Loop: Header=BB2_2819 Depth=2
	s_or_saveexec_b32 s29, s29
	v_mov_b32_e32 v12, 0x7f800001
	s_xor_b32 exec_lo, exec_lo, s29
	s_cbranch_execz .LBB2_3262
.LBB2_3492:                             ;   in Loop: Header=BB2_2819 Depth=2
	v_cmp_ne_u16_sdwa s40, v13, v35 src0_sel:BYTE_0 src1_sel:DWORD
	v_mov_b32_e32 v12, 0
	s_andn2_b32 s12, s12, exec_lo
	s_and_b32 s40, s40, exec_lo
	s_or_b32 s12, s12, s40
	s_or_b32 exec_lo, exec_lo, s29
	s_and_saveexec_b32 s29, s12
	s_cbranch_execnz .LBB2_3263
	s_branch .LBB2_3264
.LBB2_3493:                             ;   in Loop: Header=BB2_2819 Depth=2
	s_or_saveexec_b32 s29, s29
	v_mov_b32_e32 v11, 0x7f800001
	s_xor_b32 exec_lo, exec_lo, s29
	s_cbranch_execz .LBB2_3270
.LBB2_3494:                             ;   in Loop: Header=BB2_2819 Depth=2
	v_cmp_ne_u16_sdwa s40, v17, v35 src0_sel:BYTE_0 src1_sel:DWORD
	v_mov_b32_e32 v11, 0
	s_andn2_b32 s12, s12, exec_lo
	s_and_b32 s40, s40, exec_lo
	s_or_b32 s12, s12, s40
	s_or_b32 exec_lo, exec_lo, s29
	s_and_saveexec_b32 s29, s12
	s_cbranch_execnz .LBB2_3271
	s_branch .LBB2_3272
.LBB2_3495:                             ;   in Loop: Header=BB2_2819 Depth=2
	s_or_saveexec_b32 s29, s29
	v_mov_b32_e32 v12, 0x7f800001
	s_xor_b32 exec_lo, exec_lo, s29
	s_cbranch_execz .LBB2_3276
.LBB2_3496:                             ;   in Loop: Header=BB2_2819 Depth=2
	v_cmp_ne_u16_sdwa s40, v13, v35 src0_sel:BYTE_0 src1_sel:DWORD
	v_mov_b32_e32 v12, 0
	s_andn2_b32 s12, s12, exec_lo
	s_and_b32 s40, s40, exec_lo
	s_or_b32 s12, s12, s40
	s_or_b32 exec_lo, exec_lo, s29
	s_and_saveexec_b32 s29, s12
	s_cbranch_execnz .LBB2_3277
	s_branch .LBB2_3278
.LBB2_3497:                             ;   in Loop: Header=BB2_2819 Depth=2
	s_or_saveexec_b32 s29, s29
	v_mov_b32_e32 v11, 0x7f800001
	s_xor_b32 exec_lo, exec_lo, s29
	s_cbranch_execz .LBB2_3292
.LBB2_3498:                             ;   in Loop: Header=BB2_2819 Depth=2
	v_cmp_ne_u16_sdwa s40, v17, v35 src0_sel:BYTE_1 src1_sel:DWORD
	v_mov_b32_e32 v11, 0
	s_andn2_b32 s12, s12, exec_lo
	s_and_b32 s40, s40, exec_lo
	s_or_b32 s12, s12, s40
	s_or_b32 exec_lo, exec_lo, s29
	s_and_saveexec_b32 s29, s12
	s_cbranch_execnz .LBB2_3293
	s_branch .LBB2_3294
.LBB2_3499:                             ;   in Loop: Header=BB2_2819 Depth=2
	s_or_saveexec_b32 s29, s29
	v_mov_b32_e32 v12, 0x7f800001
	s_xor_b32 exec_lo, exec_lo, s29
	s_cbranch_execz .LBB2_3298
.LBB2_3500:                             ;   in Loop: Header=BB2_2819 Depth=2
	v_cmp_ne_u16_sdwa s40, v13, v35 src0_sel:BYTE_1 src1_sel:DWORD
	v_mov_b32_e32 v12, 0
	s_andn2_b32 s12, s12, exec_lo
	s_and_b32 s40, s40, exec_lo
	s_or_b32 s12, s12, s40
	s_or_b32 exec_lo, exec_lo, s29
	s_and_saveexec_b32 s29, s12
	s_cbranch_execnz .LBB2_3299
	s_branch .LBB2_3300
.LBB2_3501:                             ;   in Loop: Header=BB2_2819 Depth=2
	s_or_saveexec_b32 s29, s29
	v_mov_b32_e32 v11, 0x7f800001
	s_xor_b32 exec_lo, exec_lo, s29
	s_cbranch_execz .LBB2_3306
.LBB2_3502:                             ;   in Loop: Header=BB2_2819 Depth=2
	v_cmp_ne_u16_sdwa s40, v17, v35 src0_sel:BYTE_1 src1_sel:DWORD
	v_mov_b32_e32 v11, 0
	s_andn2_b32 s12, s12, exec_lo
	s_and_b32 s40, s40, exec_lo
	s_or_b32 s12, s12, s40
	s_or_b32 exec_lo, exec_lo, s29
	s_and_saveexec_b32 s29, s12
	s_cbranch_execnz .LBB2_3307
	s_branch .LBB2_3308
.LBB2_3503:                             ;   in Loop: Header=BB2_2819 Depth=2
	s_or_saveexec_b32 s29, s29
	v_mov_b32_e32 v12, 0x7f800001
	s_xor_b32 exec_lo, exec_lo, s29
	s_cbranch_execz .LBB2_3312
.LBB2_3504:                             ;   in Loop: Header=BB2_2819 Depth=2
	v_cmp_ne_u16_sdwa s40, v13, v35 src0_sel:BYTE_1 src1_sel:DWORD
	v_mov_b32_e32 v12, 0
	s_andn2_b32 s12, s12, exec_lo
	s_and_b32 s40, s40, exec_lo
	s_or_b32 s12, s12, s40
	s_or_b32 exec_lo, exec_lo, s29
	s_and_saveexec_b32 s29, s12
	s_cbranch_execnz .LBB2_3313
	s_branch .LBB2_3314
.LBB2_3505:                             ;   in Loop: Header=BB2_2819 Depth=2
	s_or_saveexec_b32 s12, s12
	v_mov_b32_e32 v12, 0x7f800001
	s_xor_b32 exec_lo, exec_lo, s12
	s_cbranch_execz .LBB2_3328
.LBB2_3506:                             ;   in Loop: Header=BB2_2819 Depth=2
	v_cmp_ne_u16_e32 vcc_lo, 0, v11
	v_mov_b32_e32 v12, 0
	s_andn2_b32 s29, s29, exec_lo
	s_and_b32 s40, vcc_lo, exec_lo
	s_or_b32 s29, s29, s40
	s_or_b32 exec_lo, exec_lo, s12
	s_and_saveexec_b32 s12, s29
	s_cbranch_execnz .LBB2_3329
	s_branch .LBB2_3330
.LBB2_3507:                             ;   in Loop: Header=BB2_2819 Depth=2
	s_or_saveexec_b32 s29, s29
	v_mov_b32_e32 v41, 0x7f800001
	s_xor_b32 exec_lo, exec_lo, s29
	s_cbranch_execz .LBB2_3334
.LBB2_3508:                             ;   in Loop: Header=BB2_2819 Depth=2
	v_cmp_ne_u16_e32 vcc_lo, 0, v42
	v_mov_b32_e32 v41, 0
	s_andn2_b32 s12, s12, exec_lo
	s_and_b32 s40, vcc_lo, exec_lo
	s_or_b32 s12, s12, s40
	s_or_b32 exec_lo, exec_lo, s29
	s_and_saveexec_b32 s29, s12
	s_cbranch_execnz .LBB2_3335
	s_branch .LBB2_3336
.LBB2_3509:                             ;   in Loop: Header=BB2_2819 Depth=2
	s_or_saveexec_b32 s29, s29
	v_mov_b32_e32 v12, 0x7f800001
	s_xor_b32 exec_lo, exec_lo, s29
	s_cbranch_execz .LBB2_3342
.LBB2_3510:                             ;   in Loop: Header=BB2_2819 Depth=2
	v_cmp_ne_u16_e32 vcc_lo, 0, v11
	v_mov_b32_e32 v12, 0
	s_andn2_b32 s12, s12, exec_lo
	s_and_b32 s40, vcc_lo, exec_lo
	s_or_b32 s12, s12, s40
	s_or_b32 exec_lo, exec_lo, s29
	s_and_saveexec_b32 s29, s12
	s_cbranch_execnz .LBB2_3343
	s_branch .LBB2_3344
.LBB2_3511:                             ;   in Loop: Header=BB2_2819 Depth=2
	s_or_saveexec_b32 s29, s29
	v_mov_b32_e32 v11, 0x7f800001
	s_xor_b32 exec_lo, exec_lo, s29
	s_cbranch_execz .LBB2_3348
.LBB2_3512:                             ;   in Loop: Header=BB2_2819 Depth=2
	v_cmp_ne_u16_e32 vcc_lo, 0, v41
	v_mov_b32_e32 v11, 0
	s_andn2_b32 s12, s12, exec_lo
	s_and_b32 s40, vcc_lo, exec_lo
	s_or_b32 s12, s12, s40
	s_or_b32 exec_lo, exec_lo, s29
	s_and_saveexec_b32 s29, s12
	s_cbranch_execnz .LBB2_3349
	s_branch .LBB2_3350
.LBB2_3513:                             ;   in Loop: Header=BB2_2819 Depth=2
	s_or_saveexec_b32 s29, s29
	v_mov_b32_e32 v10, 0x7f800001
	s_xor_b32 exec_lo, exec_lo, s29
	s_cbranch_execz .LBB2_3364
.LBB2_3514:                             ;   in Loop: Header=BB2_2819 Depth=2
	v_cmp_ne_u16_sdwa s40, v17, v35 src0_sel:BYTE_3 src1_sel:DWORD
	v_mov_b32_e32 v10, 0
	s_andn2_b32 s12, s12, exec_lo
	s_and_b32 s40, s40, exec_lo
	s_or_b32 s12, s12, s40
	s_or_b32 exec_lo, exec_lo, s29
	s_and_saveexec_b32 s29, s12
	s_cbranch_execnz .LBB2_3365
	s_branch .LBB2_3366
.LBB2_3515:                             ;   in Loop: Header=BB2_2819 Depth=2
	s_or_saveexec_b32 s29, s29
	v_mov_b32_e32 v11, 0x7f800001
	s_xor_b32 exec_lo, exec_lo, s29
	s_cbranch_execz .LBB2_3370
.LBB2_3516:                             ;   in Loop: Header=BB2_2819 Depth=2
	v_cmp_ne_u16_sdwa s40, v13, v35 src0_sel:BYTE_3 src1_sel:DWORD
	v_mov_b32_e32 v11, 0
	s_andn2_b32 s12, s12, exec_lo
	s_and_b32 s40, s40, exec_lo
	s_or_b32 s12, s12, s40
	s_or_b32 exec_lo, exec_lo, s29
	s_and_saveexec_b32 s29, s12
	s_cbranch_execnz .LBB2_3371
	s_branch .LBB2_3372
.LBB2_3517:                             ;   in Loop: Header=BB2_2819 Depth=2
	s_or_saveexec_b32 s29, s29
	v_mov_b32_e32 v43, 0x7f800001
	s_xor_b32 exec_lo, exec_lo, s29
	s_cbranch_execz .LBB2_3378
.LBB2_3518:                             ;   in Loop: Header=BB2_2819 Depth=2
	v_cmp_ne_u16_sdwa s40, v17, v35 src0_sel:BYTE_3 src1_sel:DWORD
	v_mov_b32_e32 v43, 0
	s_andn2_b32 s12, s12, exec_lo
	s_and_b32 s40, s40, exec_lo
	s_or_b32 s12, s12, s40
	s_or_b32 exec_lo, exec_lo, s29
	s_and_saveexec_b32 s29, s12
	s_cbranch_execnz .LBB2_3379
	s_branch .LBB2_3380
.LBB2_3519:                             ;   in Loop: Header=BB2_2819 Depth=2
	s_or_saveexec_b32 s29, s29
	v_mov_b32_e32 v10, 0x7f800001
	s_xor_b32 exec_lo, exec_lo, s29
	s_cbranch_execz .LBB2_3384
.LBB2_3520:                             ;   in Loop: Header=BB2_2819 Depth=2
	v_cmp_ne_u16_sdwa s40, v13, v35 src0_sel:BYTE_3 src1_sel:DWORD
	v_mov_b32_e32 v10, 0
	s_andn2_b32 s12, s12, exec_lo
	s_and_b32 s40, s40, exec_lo
	s_or_b32 s12, s12, s40
	s_or_b32 exec_lo, exec_lo, s29
	s_and_saveexec_b32 s29, s12
	s_cbranch_execnz .LBB2_3385
	s_branch .LBB2_3386
.LBB2_3521:                             ;   in Loop: Header=BB2_2033 Depth=1
	s_or_b32 exec_lo, exec_lo, s27
.LBB2_3522:                             ;   in Loop: Header=BB2_2033 Depth=1
	s_or_b32 exec_lo, exec_lo, s26
	v_cmp_lt_i32_e32 vcc_lo, 0, v100
	s_mov_b32 s26, exec_lo
	v_cndmask_b32_e32 v10, 0, v67, vcc_lo
	v_sub_nc_u32_e32 v10, v10, v100
	v_lshl_add_u32 v16, v10, 5, v99
.LBB2_3523:                             ;   in Loop: Header=BB2_2033 Depth=1
	s_or_b32 exec_lo, exec_lo, s13
	s_and_saveexec_b32 s13, s26
	s_cbranch_execz .LBB2_3928
.LBB2_3524:                             ;   in Loop: Header=BB2_2033 Depth=1
	v_ashrrev_i32_e32 v10, 31, v16
	v_lshrrev_b32_e32 v11, 8, v98
	s_mov_b32 s26, exec_lo
	v_lshrrev_b32_e32 v10, 27, v10
	v_add_nc_u32_e32 v10, v16, v10
	v_ashrrev_i32_e32 v17, 5, v10
	v_sub_nc_u32_e32 v52, v11, v17
	v_cmpx_lt_i32_e32 0, v52
	s_cbranch_execz .LBB2_3880
; %bb.3525:                             ;   in Loop: Header=BB2_2033 Depth=1
	v_and_b32_e32 v10, 0xffffffe0, v10
	s_trap 2
	ds_read_b64 v[12:13], v0
	v_lshlrev_b32_e32 v11, 8, v17
	v_add_co_u32 v50, vcc_lo, 0xe0, v50
	v_sub_nc_u32_e32 v10, v16, v10
	v_add_co_ci_u32_e64 v51, null, 0, v51, vcc_lo
	s_bitcmp1_b32 s25, 0
	s_mov_b32 s28, 0
	v_add3_u32 v14, v97, v10, v11
	s_cselect_b32 s27, -1, 0
	v_ashrrev_i32_e32 v15, 31, v14
	v_add_co_u32 v10, vcc_lo, v14, v48
	v_add_co_ci_u32_e64 v11, null, v15, v49, vcc_lo
	s_waitcnt lgkmcnt(0)
	v_add_co_u32 v12, vcc_lo, v12, v14
	v_add_co_ci_u32_e64 v13, null, v13, v15, vcc_lo
	v_add_co_u32 v14, vcc_lo, v50, v14
	v_add_co_ci_u32_e64 v15, null, v51, v15, vcc_lo
	s_branch .LBB2_3529
.LBB2_3526:                             ;   in Loop: Header=BB2_3529 Depth=2
	s_or_b32 exec_lo, exec_lo, s12
	v_lshrrev_b32_e32 v49, 21, v49
	v_cmp_gt_i32_e32 vcc_lo, 32, v48
	v_min_i32_e32 v64, 31, v48
	v_and_b32_sdwa v53, v53, v85 dst_sel:DWORD dst_unused:UNUSED_PAD src0_sel:BYTE_3 src1_sel:DWORD
	v_cndmask_b32_e32 v49, 3, v49, vcc_lo
	v_lshlrev_b32_e32 v64, 2, v64
	v_and_b32_e32 v100, 3, v49
	v_or_b32_e32 v48, v48, v49
	v_or3_b32 v49, v64, v53, v100
	v_cmp_ne_u32_e32 vcc_lo, 0, v48
	v_cndmask_b32_e32 v48, 0, v49, vcc_lo
.LBB2_3527:                             ;   in Loop: Header=BB2_3529 Depth=2
	s_or_b32 exec_lo, exec_lo, s40
.LBB2_3528:                             ;   in Loop: Header=BB2_3529 Depth=2
	s_or_b32 exec_lo, exec_lo, s29
	v_add_co_u32 v102, vcc_lo, 0xffffff20, v14
	v_add_co_ci_u32_e64 v103, null, -1, v15, vcc_lo
	v_add_co_u32 v112, vcc_lo, 0xffffff40, v14
	v_add_co_ci_u32_e64 v113, null, -1, v15, vcc_lo
	v_add_co_u32 v49, vcc_lo, 0xffffff60, v14
	flat_store_byte v[102:103], v50 glc slc
	flat_store_byte v[112:113], v54 glc slc
	v_add_co_ci_u32_e64 v50, null, -1, v15, vcc_lo
	v_add_co_u32 v53, vcc_lo, 0xffffff80, v14
	v_add_co_ci_u32_e64 v54, null, -1, v15, vcc_lo
	v_add_co_u32 v102, vcc_lo, 0xffffffa0, v14
	;; [unrolled: 2-line block ×4, first 2 shown]
	v_sub_nc_u32_e32 v52, v52, v67
	v_add_co_ci_u32_e64 v115, null, -1, v15, vcc_lo
	v_add_co_u32 v10, vcc_lo, v10, v81
	v_add_co_ci_u32_e64 v11, null, 0, v11, vcc_lo
	v_add_co_u32 v12, vcc_lo, v12, v81
	flat_store_byte v[49:50], v65 glc slc
	flat_store_byte v[53:54], v101 glc slc
	;; [unrolled: 1-line block ×6, first 2 shown]
	v_add_co_ci_u32_e64 v13, null, 0, v13, vcc_lo
	v_cmp_gt_i32_e32 vcc_lo, 1, v52
	v_add_co_u32 v14, s12, v14, v81
	v_add_co_ci_u32_e64 v15, null, 0, v15, s12
	s_or_b32 s28, vcc_lo, s28
	s_andn2_b32 exec_lo, exec_lo, s28
	s_cbranch_execz .LBB2_3879
.LBB2_3529:                             ;   Parent Loop BB2_2033 Depth=1
                                        ; =>  This Inner Loop Header: Depth=2
	s_clause 0x7
	flat_load_ubyte v113, v[10:11] slc
	flat_load_ubyte v112, v[10:11] offset:32 slc
	flat_load_ubyte v103, v[10:11] offset:64 slc
	;; [unrolled: 1-line block ×7, first 2 shown]
	s_clause 0x7
	flat_load_ubyte v50, v[12:13] slc
	flat_load_ubyte v54, v[12:13] offset:32 slc
	flat_load_ubyte v65, v[12:13] offset:64 slc
	;; [unrolled: 1-line block ×7, first 2 shown]
	s_and_b32 vcc_lo, exec_lo, s27
	s_mov_b32 s12, -1
                                        ; implicit-def: $vgpr114
	s_waitcnt vmcnt(15) lgkmcnt(15)
	v_cmp_gt_i16_sdwa s29, v113, v84 src0_sel:BYTE_0 src1_sel:DWORD
	s_cbranch_vccz .LBB2_3543
; %bb.3530:                             ;   in Loop: Header=BB2_3529 Depth=2
	s_mov_b32 s12, 0
	s_and_saveexec_b32 s40, s29
	s_xor_b32 s29, exec_lo, s40
	s_cbranch_execz .LBB2_3815
; %bb.3531:                             ;   in Loop: Header=BB2_3529 Depth=2
	v_cmp_eq_u16_sdwa s41, v113, v85 src0_sel:BYTE_0 src1_sel:DWORD
	s_mov_b32 s12, -1
	s_and_saveexec_b32 s40, s41
; %bb.3532:                             ;   in Loop: Header=BB2_3529 Depth=2
	s_xor_b32 s12, exec_lo, -1
; %bb.3533:                             ;   in Loop: Header=BB2_3529 Depth=2
	s_or_b32 exec_lo, exec_lo, s40
	s_and_b32 s12, s12, exec_lo
	s_or_saveexec_b32 s29, s29
	v_mov_b32_e32 v114, 0x7f800001
	s_xor_b32 exec_lo, exec_lo, s29
	s_cbranch_execnz .LBB2_3816
.LBB2_3534:                             ;   in Loop: Header=BB2_3529 Depth=2
	s_or_b32 exec_lo, exec_lo, s29
	s_and_saveexec_b32 s29, s12
	s_cbranch_execz .LBB2_3536
.LBB2_3535:                             ;   in Loop: Header=BB2_3529 Depth=2
	v_and_b32_e32 v114, 3, v113
	v_lshrrev_b16 v116, 2, v113
	v_lshlrev_b32_e32 v118, 24, v113
	v_ffbh_u32_e32 v115, v114
	v_and_b32_e32 v116, 31, v116
	v_min_u32_e32 v115, 32, v115
	v_cmp_eq_u32_e32 vcc_lo, 0, v116
	v_subrev_nc_u32_e32 v117, 29, v115
	v_sub_nc_u32_e32 v115, 30, v115
	v_lshlrev_b32_e32 v117, v117, v113
	v_cndmask_b32_e32 v115, v116, v115, vcc_lo
	v_and_b32_e32 v116, 0x80000000, v118
	v_and_b32_e32 v117, 3, v117
	v_lshl_add_u32 v115, v115, 23, 0x37800000
	v_cndmask_b32_e32 v114, v114, v117, vcc_lo
	v_lshlrev_b32_e32 v114, 21, v114
	v_or3_b32 v114, v116, v115, v114
.LBB2_3536:                             ;   in Loop: Header=BB2_3529 Depth=2
	s_or_b32 exec_lo, exec_lo, s29
	s_waitcnt vmcnt(7) lgkmcnt(7)
	v_cmp_gt_i16_sdwa s29, v50, v84 src0_sel:BYTE_0 src1_sel:DWORD
	s_mov_b32 s12, 0
	s_and_saveexec_b32 s40, s29
	s_xor_b32 s29, exec_lo, s40
	s_cbranch_execz .LBB2_3817
; %bb.3537:                             ;   in Loop: Header=BB2_3529 Depth=2
	v_cmp_eq_u16_sdwa s41, v50, v85 src0_sel:BYTE_0 src1_sel:DWORD
	s_mov_b32 s12, -1
	s_and_saveexec_b32 s40, s41
; %bb.3538:                             ;   in Loop: Header=BB2_3529 Depth=2
	s_xor_b32 s12, exec_lo, -1
; %bb.3539:                             ;   in Loop: Header=BB2_3529 Depth=2
	s_or_b32 exec_lo, exec_lo, s40
	s_and_b32 s12, s12, exec_lo
	s_or_saveexec_b32 s29, s29
	v_mov_b32_e32 v115, 0x7f800001
	s_xor_b32 exec_lo, exec_lo, s29
	s_cbranch_execnz .LBB2_3818
.LBB2_3540:                             ;   in Loop: Header=BB2_3529 Depth=2
	s_or_b32 exec_lo, exec_lo, s29
	s_and_saveexec_b32 s29, s12
	s_cbranch_execz .LBB2_3542
.LBB2_3541:                             ;   in Loop: Header=BB2_3529 Depth=2
	v_and_b32_e32 v115, 3, v50
	v_lshrrev_b16 v117, 2, v50
	v_lshlrev_b32_e32 v119, 24, v50
	v_ffbh_u32_e32 v116, v115
	v_and_b32_e32 v117, 31, v117
	v_min_u32_e32 v116, 32, v116
	v_cmp_eq_u32_e32 vcc_lo, 0, v117
	v_subrev_nc_u32_e32 v118, 29, v116
	v_sub_nc_u32_e32 v116, 30, v116
	v_lshlrev_b32_e32 v118, v118, v50
	v_cndmask_b32_e32 v116, v117, v116, vcc_lo
	v_and_b32_e32 v117, 0x80000000, v119
	v_and_b32_e32 v118, 3, v118
	v_lshl_add_u32 v116, v116, 23, 0x37800000
	v_cndmask_b32_e32 v115, v115, v118, vcc_lo
	v_lshlrev_b32_e32 v115, 21, v115
	v_or3_b32 v115, v117, v116, v115
.LBB2_3542:                             ;   in Loop: Header=BB2_3529 Depth=2
	s_or_b32 exec_lo, exec_lo, s29
	v_max_f32_e32 v115, v115, v115
	v_max_f32_e32 v114, v114, v114
	s_mov_b32 s12, 0
	v_max_f32_e32 v114, v114, v115
.LBB2_3543:                             ;   in Loop: Header=BB2_3529 Depth=2
	s_and_b32 vcc_lo, exec_lo, s12
	s_cbranch_vccz .LBB2_3557
; %bb.3544:                             ;   in Loop: Header=BB2_3529 Depth=2
	v_cmp_gt_i16_sdwa s29, v113, v84 src0_sel:BYTE_0 src1_sel:DWORD
	s_mov_b32 s12, 0
	s_and_saveexec_b32 s40, s29
	s_xor_b32 s29, exec_lo, s40
	s_cbranch_execz .LBB2_3819
; %bb.3545:                             ;   in Loop: Header=BB2_3529 Depth=2
	v_cmp_eq_u16_sdwa s41, v113, v85 src0_sel:BYTE_0 src1_sel:DWORD
	s_mov_b32 s12, -1
	s_and_saveexec_b32 s40, s41
; %bb.3546:                             ;   in Loop: Header=BB2_3529 Depth=2
	s_xor_b32 s12, exec_lo, -1
; %bb.3547:                             ;   in Loop: Header=BB2_3529 Depth=2
	s_or_b32 exec_lo, exec_lo, s40
	s_and_b32 s12, s12, exec_lo
	s_or_saveexec_b32 s29, s29
	v_mov_b32_e32 v114, 0x7f800001
	s_xor_b32 exec_lo, exec_lo, s29
	s_cbranch_execnz .LBB2_3820
.LBB2_3548:                             ;   in Loop: Header=BB2_3529 Depth=2
	s_or_b32 exec_lo, exec_lo, s29
	s_and_saveexec_b32 s29, s12
	s_cbranch_execz .LBB2_3550
.LBB2_3549:                             ;   in Loop: Header=BB2_3529 Depth=2
	v_and_b32_e32 v114, 3, v113
	v_lshrrev_b16 v116, 2, v113
	v_ffbh_u32_e32 v115, v114
	v_and_b32_e32 v116, 31, v116
	v_min_u32_e32 v115, 32, v115
	v_cmp_eq_u32_e32 vcc_lo, 0, v116
	v_subrev_nc_u32_e32 v117, 29, v115
	v_sub_nc_u32_e32 v115, 30, v115
	v_lshlrev_b32_e32 v117, v117, v113
	v_lshlrev_b32_e32 v113, 24, v113
	v_cndmask_b32_e32 v115, v116, v115, vcc_lo
	v_and_b32_e32 v117, 3, v117
	v_and_b32_e32 v113, 0x80000000, v113
	v_lshl_add_u32 v115, v115, 23, 0x37800000
	v_cndmask_b32_e32 v114, v114, v117, vcc_lo
	v_lshlrev_b32_e32 v114, 21, v114
	v_or3_b32 v114, v113, v115, v114
.LBB2_3550:                             ;   in Loop: Header=BB2_3529 Depth=2
	s_or_b32 exec_lo, exec_lo, s29
	s_waitcnt vmcnt(7) lgkmcnt(7)
	v_cmp_gt_i16_sdwa s29, v50, v84 src0_sel:BYTE_0 src1_sel:DWORD
	s_mov_b32 s12, 0
	s_and_saveexec_b32 s40, s29
	s_xor_b32 s29, exec_lo, s40
	s_cbranch_execz .LBB2_3821
; %bb.3551:                             ;   in Loop: Header=BB2_3529 Depth=2
	v_cmp_eq_u16_sdwa s41, v50, v85 src0_sel:BYTE_0 src1_sel:DWORD
	s_mov_b32 s12, -1
	s_and_saveexec_b32 s40, s41
; %bb.3552:                             ;   in Loop: Header=BB2_3529 Depth=2
	s_xor_b32 s12, exec_lo, -1
; %bb.3553:                             ;   in Loop: Header=BB2_3529 Depth=2
	s_or_b32 exec_lo, exec_lo, s40
	s_and_b32 s12, s12, exec_lo
	s_or_saveexec_b32 s29, s29
	v_mov_b32_e32 v113, 0x7f800001
	s_xor_b32 exec_lo, exec_lo, s29
	s_cbranch_execnz .LBB2_3822
.LBB2_3554:                             ;   in Loop: Header=BB2_3529 Depth=2
	s_or_b32 exec_lo, exec_lo, s29
	s_and_saveexec_b32 s29, s12
	s_cbranch_execz .LBB2_3556
.LBB2_3555:                             ;   in Loop: Header=BB2_3529 Depth=2
	v_and_b32_e32 v113, 3, v50
	v_lshrrev_b16 v116, 2, v50
	v_ffbh_u32_e32 v115, v113
	v_and_b32_e32 v116, 31, v116
	v_min_u32_e32 v115, 32, v115
	v_cmp_eq_u32_e32 vcc_lo, 0, v116
	v_subrev_nc_u32_e32 v117, 29, v115
	v_sub_nc_u32_e32 v115, 30, v115
	v_lshlrev_b32_e32 v117, v117, v50
	v_lshlrev_b32_e32 v50, 24, v50
	v_cndmask_b32_e32 v115, v116, v115, vcc_lo
	v_and_b32_e32 v117, 3, v117
	v_and_b32_e32 v50, 0x80000000, v50
	v_lshl_add_u32 v115, v115, 23, 0x37800000
	v_cndmask_b32_e32 v113, v113, v117, vcc_lo
	v_lshlrev_b32_e32 v113, 21, v113
	v_or3_b32 v113, v50, v115, v113
.LBB2_3556:                             ;   in Loop: Header=BB2_3529 Depth=2
	s_or_b32 exec_lo, exec_lo, s29
	v_max_f32_e32 v50, v113, v113
	v_max_f32_e32 v113, v114, v114
	v_min_f32_e32 v114, v113, v50
.LBB2_3557:                             ;   in Loop: Header=BB2_3529 Depth=2
	s_waitcnt vmcnt(7) lgkmcnt(7)
	v_and_b32_e32 v50, 0x7f800000, v114
	v_cmp_ne_u32_e32 vcc_lo, 0x7f800000, v50
	v_mov_b32_e32 v50, 0x80
	s_and_saveexec_b32 s29, vcc_lo
	s_cbranch_execz .LBB2_3565
; %bb.3558:                             ;   in Loop: Header=BB2_3529 Depth=2
	v_mov_b32_e32 v50, 0
	s_mov_b32 s40, exec_lo
	v_cmpx_ne_u32_e32 0, v114
	s_cbranch_execz .LBB2_3564
; %bb.3559:                             ;   in Loop: Header=BB2_3529 Depth=2
	v_bfe_u32 v50, v114, 23, 8
	v_and_b32_e32 v113, 0x7fffff, v114
	v_sub_nc_u32_e32 v115, 0x70, v50
	v_cmp_gt_u32_e32 vcc_lo, 0x71, v50
	v_or_b32_e32 v116, 0x800000, v113
	v_cndmask_b32_e32 v115, 0, v115, vcc_lo
	v_cmp_eq_u32_e32 vcc_lo, 0, v50
	v_add_nc_u32_e32 v50, 0xffffff91, v50
	v_cndmask_b32_e64 v115, v115, 0x6f, vcc_lo
	v_cndmask_b32_e32 v113, v116, v113, vcc_lo
	v_cndmask_b32_e64 v50, v50, 0xffffff92, vcc_lo
	v_lshl_add_u32 v116, 0x200000, v115, -1
	v_lshrrev_b32_e32 v117, v115, v113
	v_lshlrev_b32_e64 v119, v115, 0x100000
	v_add_nc_u32_e32 v115, v115, v50
	v_and_b32_e32 v113, v116, v113
	v_bfe_u32 v118, v117, 21, 1
	v_cmp_eq_u32_e64 s12, v113, v119
	v_add_nc_u32_e32 v116, -1, v118
	v_cndmask_b32_e64 v113, 0, v116, s12
	v_lshrrev_b32_e32 v116, 23, v117
	s_mov_b32 s12, exec_lo
	v_add_nc_u32_e32 v113, v113, v117
	v_xor_b32_e32 v116, 1, v116
	v_and_b32_e32 v50, 0x1fffff, v113
	v_add_nc_u32_e32 v113, v50, v117
                                        ; implicit-def: $vgpr50
	v_cmpx_ne_u32_e64 v115, v116
	s_xor_b32 s12, exec_lo, s12
; %bb.3560:                             ;   in Loop: Header=BB2_3529 Depth=2
	v_cmp_lt_u32_e32 vcc_lo, 0xffffff, v113
	v_sub_nc_u32_e32 v50, v115, v116
	v_cndmask_b32_e64 v115, 0, 1, vcc_lo
	v_add_co_ci_u32_e64 v50, null, 0, v50, vcc_lo
	v_lshrrev_b32_e32 v113, v115, v113
; %bb.3561:                             ;   in Loop: Header=BB2_3529 Depth=2
	s_andn2_saveexec_b32 s12, s12
; %bb.3562:                             ;   in Loop: Header=BB2_3529 Depth=2
	v_bfe_u32 v50, v113, 23, 1
; %bb.3563:                             ;   in Loop: Header=BB2_3529 Depth=2
	s_or_b32 exec_lo, exec_lo, s12
	v_lshrrev_b32_e32 v113, 21, v113
	v_cmp_gt_i32_e32 vcc_lo, 32, v50
	v_min_i32_e32 v115, 31, v50
	v_and_b32_sdwa v114, v114, v85 dst_sel:DWORD dst_unused:UNUSED_PAD src0_sel:BYTE_3 src1_sel:DWORD
	v_cndmask_b32_e32 v113, 3, v113, vcc_lo
	v_lshlrev_b32_e32 v115, 2, v115
	v_and_b32_e32 v116, 3, v113
	v_or_b32_e32 v50, v50, v113
	v_or3_b32 v113, v115, v114, v116
	v_cmp_ne_u32_e32 vcc_lo, 0, v50
	v_cndmask_b32_e32 v50, 0, v113, vcc_lo
.LBB2_3564:                             ;   in Loop: Header=BB2_3529 Depth=2
	s_or_b32 exec_lo, exec_lo, s40
.LBB2_3565:                             ;   in Loop: Header=BB2_3529 Depth=2
	s_or_b32 exec_lo, exec_lo, s29
	v_cmp_gt_i16_sdwa s29, v112, v84 src0_sel:BYTE_0 src1_sel:DWORD
	s_andn2_b32 vcc_lo, exec_lo, s27
	s_mov_b32 s12, -1
                                        ; implicit-def: $vgpr113
	s_cbranch_vccnz .LBB2_3579
; %bb.3566:                             ;   in Loop: Header=BB2_3529 Depth=2
	s_mov_b32 s12, 0
	s_and_saveexec_b32 s40, s29
	s_xor_b32 s29, exec_lo, s40
	s_cbranch_execz .LBB2_3823
; %bb.3567:                             ;   in Loop: Header=BB2_3529 Depth=2
	v_cmp_eq_u16_sdwa s41, v112, v85 src0_sel:BYTE_0 src1_sel:DWORD
	s_mov_b32 s12, -1
	s_and_saveexec_b32 s40, s41
; %bb.3568:                             ;   in Loop: Header=BB2_3529 Depth=2
	s_xor_b32 s12, exec_lo, -1
; %bb.3569:                             ;   in Loop: Header=BB2_3529 Depth=2
	s_or_b32 exec_lo, exec_lo, s40
	s_and_b32 s12, s12, exec_lo
	s_or_saveexec_b32 s29, s29
	v_mov_b32_e32 v113, 0x7f800001
	s_xor_b32 exec_lo, exec_lo, s29
	s_cbranch_execnz .LBB2_3824
.LBB2_3570:                             ;   in Loop: Header=BB2_3529 Depth=2
	s_or_b32 exec_lo, exec_lo, s29
	s_and_saveexec_b32 s29, s12
	s_cbranch_execz .LBB2_3572
.LBB2_3571:                             ;   in Loop: Header=BB2_3529 Depth=2
	v_and_b32_e32 v113, 3, v112
	v_lshrrev_b16 v115, 2, v112
	v_lshlrev_b32_e32 v117, 24, v112
	v_ffbh_u32_e32 v114, v113
	v_and_b32_e32 v115, 31, v115
	v_min_u32_e32 v114, 32, v114
	v_cmp_eq_u32_e32 vcc_lo, 0, v115
	v_subrev_nc_u32_e32 v116, 29, v114
	v_sub_nc_u32_e32 v114, 30, v114
	v_lshlrev_b32_e32 v116, v116, v112
	v_cndmask_b32_e32 v114, v115, v114, vcc_lo
	v_and_b32_e32 v115, 0x80000000, v117
	v_and_b32_e32 v116, 3, v116
	v_lshl_add_u32 v114, v114, 23, 0x37800000
	v_cndmask_b32_e32 v113, v113, v116, vcc_lo
	v_lshlrev_b32_e32 v113, 21, v113
	v_or3_b32 v113, v115, v114, v113
.LBB2_3572:                             ;   in Loop: Header=BB2_3529 Depth=2
	s_or_b32 exec_lo, exec_lo, s29
	s_waitcnt vmcnt(6) lgkmcnt(6)
	v_cmp_gt_i16_sdwa s29, v54, v84 src0_sel:BYTE_0 src1_sel:DWORD
	s_mov_b32 s12, 0
	s_and_saveexec_b32 s40, s29
	s_xor_b32 s29, exec_lo, s40
	s_cbranch_execz .LBB2_3825
; %bb.3573:                             ;   in Loop: Header=BB2_3529 Depth=2
	v_cmp_eq_u16_sdwa s41, v54, v85 src0_sel:BYTE_0 src1_sel:DWORD
	s_mov_b32 s12, -1
	s_and_saveexec_b32 s40, s41
; %bb.3574:                             ;   in Loop: Header=BB2_3529 Depth=2
	s_xor_b32 s12, exec_lo, -1
; %bb.3575:                             ;   in Loop: Header=BB2_3529 Depth=2
	s_or_b32 exec_lo, exec_lo, s40
	s_and_b32 s12, s12, exec_lo
	s_or_saveexec_b32 s29, s29
	v_mov_b32_e32 v114, 0x7f800001
	s_xor_b32 exec_lo, exec_lo, s29
	s_cbranch_execnz .LBB2_3826
.LBB2_3576:                             ;   in Loop: Header=BB2_3529 Depth=2
	s_or_b32 exec_lo, exec_lo, s29
	s_and_saveexec_b32 s29, s12
	s_cbranch_execz .LBB2_3578
.LBB2_3577:                             ;   in Loop: Header=BB2_3529 Depth=2
	v_and_b32_e32 v114, 3, v54
	v_lshrrev_b16 v116, 2, v54
	v_lshlrev_b32_e32 v118, 24, v54
	v_ffbh_u32_e32 v115, v114
	v_and_b32_e32 v116, 31, v116
	v_min_u32_e32 v115, 32, v115
	v_cmp_eq_u32_e32 vcc_lo, 0, v116
	v_subrev_nc_u32_e32 v117, 29, v115
	v_sub_nc_u32_e32 v115, 30, v115
	v_lshlrev_b32_e32 v117, v117, v54
	v_cndmask_b32_e32 v115, v116, v115, vcc_lo
	v_and_b32_e32 v116, 0x80000000, v118
	v_and_b32_e32 v117, 3, v117
	v_lshl_add_u32 v115, v115, 23, 0x37800000
	v_cndmask_b32_e32 v114, v114, v117, vcc_lo
	v_lshlrev_b32_e32 v114, 21, v114
	v_or3_b32 v114, v116, v115, v114
.LBB2_3578:                             ;   in Loop: Header=BB2_3529 Depth=2
	s_or_b32 exec_lo, exec_lo, s29
	v_max_f32_e32 v114, v114, v114
	v_max_f32_e32 v113, v113, v113
	s_mov_b32 s12, 0
	v_max_f32_e32 v113, v113, v114
.LBB2_3579:                             ;   in Loop: Header=BB2_3529 Depth=2
	s_and_b32 vcc_lo, exec_lo, s12
	s_cbranch_vccz .LBB2_3593
; %bb.3580:                             ;   in Loop: Header=BB2_3529 Depth=2
	v_cmp_gt_i16_sdwa s29, v112, v84 src0_sel:BYTE_0 src1_sel:DWORD
	s_mov_b32 s12, 0
	s_and_saveexec_b32 s40, s29
	s_xor_b32 s29, exec_lo, s40
	s_cbranch_execz .LBB2_3827
; %bb.3581:                             ;   in Loop: Header=BB2_3529 Depth=2
	v_cmp_eq_u16_sdwa s41, v112, v85 src0_sel:BYTE_0 src1_sel:DWORD
	s_mov_b32 s12, -1
	s_and_saveexec_b32 s40, s41
; %bb.3582:                             ;   in Loop: Header=BB2_3529 Depth=2
	s_xor_b32 s12, exec_lo, -1
; %bb.3583:                             ;   in Loop: Header=BB2_3529 Depth=2
	s_or_b32 exec_lo, exec_lo, s40
	s_and_b32 s12, s12, exec_lo
	s_or_saveexec_b32 s29, s29
	v_mov_b32_e32 v113, 0x7f800001
	s_xor_b32 exec_lo, exec_lo, s29
	s_cbranch_execnz .LBB2_3828
.LBB2_3584:                             ;   in Loop: Header=BB2_3529 Depth=2
	s_or_b32 exec_lo, exec_lo, s29
	s_and_saveexec_b32 s29, s12
	s_cbranch_execz .LBB2_3586
.LBB2_3585:                             ;   in Loop: Header=BB2_3529 Depth=2
	v_and_b32_e32 v113, 3, v112
	v_lshrrev_b16 v115, 2, v112
	v_ffbh_u32_e32 v114, v113
	v_and_b32_e32 v115, 31, v115
	v_min_u32_e32 v114, 32, v114
	v_cmp_eq_u32_e32 vcc_lo, 0, v115
	v_subrev_nc_u32_e32 v116, 29, v114
	v_sub_nc_u32_e32 v114, 30, v114
	v_lshlrev_b32_e32 v116, v116, v112
	v_lshlrev_b32_e32 v112, 24, v112
	v_cndmask_b32_e32 v114, v115, v114, vcc_lo
	v_and_b32_e32 v116, 3, v116
	v_and_b32_e32 v112, 0x80000000, v112
	v_lshl_add_u32 v114, v114, 23, 0x37800000
	v_cndmask_b32_e32 v113, v113, v116, vcc_lo
	v_lshlrev_b32_e32 v113, 21, v113
	v_or3_b32 v113, v112, v114, v113
.LBB2_3586:                             ;   in Loop: Header=BB2_3529 Depth=2
	s_or_b32 exec_lo, exec_lo, s29
	s_waitcnt vmcnt(6) lgkmcnt(6)
	v_cmp_gt_i16_sdwa s29, v54, v84 src0_sel:BYTE_0 src1_sel:DWORD
	s_mov_b32 s12, 0
	s_and_saveexec_b32 s40, s29
	s_xor_b32 s29, exec_lo, s40
	s_cbranch_execz .LBB2_3829
; %bb.3587:                             ;   in Loop: Header=BB2_3529 Depth=2
	v_cmp_eq_u16_sdwa s41, v54, v85 src0_sel:BYTE_0 src1_sel:DWORD
	s_mov_b32 s12, -1
	s_and_saveexec_b32 s40, s41
; %bb.3588:                             ;   in Loop: Header=BB2_3529 Depth=2
	s_xor_b32 s12, exec_lo, -1
; %bb.3589:                             ;   in Loop: Header=BB2_3529 Depth=2
	s_or_b32 exec_lo, exec_lo, s40
	s_and_b32 s12, s12, exec_lo
	s_or_saveexec_b32 s29, s29
	v_mov_b32_e32 v112, 0x7f800001
	s_xor_b32 exec_lo, exec_lo, s29
	s_cbranch_execnz .LBB2_3830
.LBB2_3590:                             ;   in Loop: Header=BB2_3529 Depth=2
	s_or_b32 exec_lo, exec_lo, s29
	s_and_saveexec_b32 s29, s12
	s_cbranch_execz .LBB2_3592
.LBB2_3591:                             ;   in Loop: Header=BB2_3529 Depth=2
	v_and_b32_e32 v112, 3, v54
	v_lshrrev_b16 v115, 2, v54
	v_ffbh_u32_e32 v114, v112
	v_and_b32_e32 v115, 31, v115
	v_min_u32_e32 v114, 32, v114
	v_cmp_eq_u32_e32 vcc_lo, 0, v115
	v_subrev_nc_u32_e32 v116, 29, v114
	v_sub_nc_u32_e32 v114, 30, v114
	v_lshlrev_b32_e32 v116, v116, v54
	v_lshlrev_b32_e32 v54, 24, v54
	v_cndmask_b32_e32 v114, v115, v114, vcc_lo
	v_and_b32_e32 v116, 3, v116
	v_and_b32_e32 v54, 0x80000000, v54
	v_lshl_add_u32 v114, v114, 23, 0x37800000
	v_cndmask_b32_e32 v112, v112, v116, vcc_lo
	v_lshlrev_b32_e32 v112, 21, v112
	v_or3_b32 v112, v54, v114, v112
.LBB2_3592:                             ;   in Loop: Header=BB2_3529 Depth=2
	s_or_b32 exec_lo, exec_lo, s29
	v_max_f32_e32 v54, v112, v112
	v_max_f32_e32 v112, v113, v113
	v_min_f32_e32 v113, v112, v54
.LBB2_3593:                             ;   in Loop: Header=BB2_3529 Depth=2
	s_waitcnt vmcnt(6) lgkmcnt(6)
	v_and_b32_e32 v54, 0x7f800000, v113
	v_cmp_ne_u32_e32 vcc_lo, 0x7f800000, v54
	v_mov_b32_e32 v54, 0x80
	s_and_saveexec_b32 s29, vcc_lo
	s_cbranch_execz .LBB2_3601
; %bb.3594:                             ;   in Loop: Header=BB2_3529 Depth=2
	v_mov_b32_e32 v54, 0
	s_mov_b32 s40, exec_lo
	v_cmpx_ne_u32_e32 0, v113
	s_cbranch_execz .LBB2_3600
; %bb.3595:                             ;   in Loop: Header=BB2_3529 Depth=2
	v_bfe_u32 v54, v113, 23, 8
	v_and_b32_e32 v112, 0x7fffff, v113
	v_sub_nc_u32_e32 v114, 0x70, v54
	v_cmp_gt_u32_e32 vcc_lo, 0x71, v54
	v_or_b32_e32 v115, 0x800000, v112
	v_cndmask_b32_e32 v114, 0, v114, vcc_lo
	v_cmp_eq_u32_e32 vcc_lo, 0, v54
	v_add_nc_u32_e32 v54, 0xffffff91, v54
	v_cndmask_b32_e64 v114, v114, 0x6f, vcc_lo
	v_cndmask_b32_e32 v112, v115, v112, vcc_lo
	v_cndmask_b32_e64 v54, v54, 0xffffff92, vcc_lo
	v_lshl_add_u32 v115, 0x200000, v114, -1
	v_lshrrev_b32_e32 v116, v114, v112
	v_lshlrev_b32_e64 v118, v114, 0x100000
	v_add_nc_u32_e32 v114, v114, v54
	v_and_b32_e32 v112, v115, v112
	v_bfe_u32 v117, v116, 21, 1
	v_cmp_eq_u32_e64 s12, v112, v118
	v_add_nc_u32_e32 v115, -1, v117
	v_cndmask_b32_e64 v112, 0, v115, s12
	v_lshrrev_b32_e32 v115, 23, v116
	s_mov_b32 s12, exec_lo
	v_add_nc_u32_e32 v112, v112, v116
	v_xor_b32_e32 v115, 1, v115
	v_and_b32_e32 v54, 0x1fffff, v112
	v_add_nc_u32_e32 v112, v54, v116
                                        ; implicit-def: $vgpr54
	v_cmpx_ne_u32_e64 v114, v115
	s_xor_b32 s12, exec_lo, s12
; %bb.3596:                             ;   in Loop: Header=BB2_3529 Depth=2
	v_cmp_lt_u32_e32 vcc_lo, 0xffffff, v112
	v_sub_nc_u32_e32 v54, v114, v115
	v_cndmask_b32_e64 v114, 0, 1, vcc_lo
	v_add_co_ci_u32_e64 v54, null, 0, v54, vcc_lo
	v_lshrrev_b32_e32 v112, v114, v112
; %bb.3597:                             ;   in Loop: Header=BB2_3529 Depth=2
	s_andn2_saveexec_b32 s12, s12
; %bb.3598:                             ;   in Loop: Header=BB2_3529 Depth=2
	v_bfe_u32 v54, v112, 23, 1
; %bb.3599:                             ;   in Loop: Header=BB2_3529 Depth=2
	s_or_b32 exec_lo, exec_lo, s12
	v_lshrrev_b32_e32 v112, 21, v112
	v_cmp_gt_i32_e32 vcc_lo, 32, v54
	v_min_i32_e32 v114, 31, v54
	v_and_b32_sdwa v113, v113, v85 dst_sel:DWORD dst_unused:UNUSED_PAD src0_sel:BYTE_3 src1_sel:DWORD
	v_cndmask_b32_e32 v112, 3, v112, vcc_lo
	v_lshlrev_b32_e32 v114, 2, v114
	v_and_b32_e32 v115, 3, v112
	v_or_b32_e32 v54, v54, v112
	v_or3_b32 v112, v114, v113, v115
	v_cmp_ne_u32_e32 vcc_lo, 0, v54
	v_cndmask_b32_e32 v54, 0, v112, vcc_lo
.LBB2_3600:                             ;   in Loop: Header=BB2_3529 Depth=2
	s_or_b32 exec_lo, exec_lo, s40
.LBB2_3601:                             ;   in Loop: Header=BB2_3529 Depth=2
	s_or_b32 exec_lo, exec_lo, s29
	v_cmp_gt_i16_sdwa s29, v103, v84 src0_sel:BYTE_0 src1_sel:DWORD
	s_andn2_b32 vcc_lo, exec_lo, s27
	s_mov_b32 s12, -1
                                        ; implicit-def: $vgpr112
	s_cbranch_vccnz .LBB2_3615
; %bb.3602:                             ;   in Loop: Header=BB2_3529 Depth=2
	s_mov_b32 s12, 0
	s_and_saveexec_b32 s40, s29
	s_xor_b32 s29, exec_lo, s40
	s_cbranch_execz .LBB2_3831
; %bb.3603:                             ;   in Loop: Header=BB2_3529 Depth=2
	v_cmp_eq_u16_sdwa s41, v103, v85 src0_sel:BYTE_0 src1_sel:DWORD
	s_mov_b32 s12, -1
	s_and_saveexec_b32 s40, s41
; %bb.3604:                             ;   in Loop: Header=BB2_3529 Depth=2
	s_xor_b32 s12, exec_lo, -1
; %bb.3605:                             ;   in Loop: Header=BB2_3529 Depth=2
	s_or_b32 exec_lo, exec_lo, s40
	s_and_b32 s12, s12, exec_lo
	s_or_saveexec_b32 s29, s29
	v_mov_b32_e32 v112, 0x7f800001
	s_xor_b32 exec_lo, exec_lo, s29
	s_cbranch_execnz .LBB2_3832
.LBB2_3606:                             ;   in Loop: Header=BB2_3529 Depth=2
	s_or_b32 exec_lo, exec_lo, s29
	s_and_saveexec_b32 s29, s12
	s_cbranch_execz .LBB2_3608
.LBB2_3607:                             ;   in Loop: Header=BB2_3529 Depth=2
	v_and_b32_e32 v112, 3, v103
	v_lshrrev_b16 v114, 2, v103
	v_lshlrev_b32_e32 v116, 24, v103
	v_ffbh_u32_e32 v113, v112
	v_and_b32_e32 v114, 31, v114
	v_min_u32_e32 v113, 32, v113
	v_cmp_eq_u32_e32 vcc_lo, 0, v114
	v_subrev_nc_u32_e32 v115, 29, v113
	v_sub_nc_u32_e32 v113, 30, v113
	v_lshlrev_b32_e32 v115, v115, v103
	v_cndmask_b32_e32 v113, v114, v113, vcc_lo
	v_and_b32_e32 v114, 0x80000000, v116
	v_and_b32_e32 v115, 3, v115
	v_lshl_add_u32 v113, v113, 23, 0x37800000
	v_cndmask_b32_e32 v112, v112, v115, vcc_lo
	v_lshlrev_b32_e32 v112, 21, v112
	v_or3_b32 v112, v114, v113, v112
.LBB2_3608:                             ;   in Loop: Header=BB2_3529 Depth=2
	s_or_b32 exec_lo, exec_lo, s29
	s_waitcnt vmcnt(5) lgkmcnt(5)
	v_cmp_gt_i16_sdwa s29, v65, v84 src0_sel:BYTE_0 src1_sel:DWORD
	s_mov_b32 s12, 0
	s_and_saveexec_b32 s40, s29
	s_xor_b32 s29, exec_lo, s40
	s_cbranch_execz .LBB2_3833
; %bb.3609:                             ;   in Loop: Header=BB2_3529 Depth=2
	v_cmp_eq_u16_sdwa s41, v65, v85 src0_sel:BYTE_0 src1_sel:DWORD
	s_mov_b32 s12, -1
	s_and_saveexec_b32 s40, s41
; %bb.3610:                             ;   in Loop: Header=BB2_3529 Depth=2
	s_xor_b32 s12, exec_lo, -1
; %bb.3611:                             ;   in Loop: Header=BB2_3529 Depth=2
	s_or_b32 exec_lo, exec_lo, s40
	s_and_b32 s12, s12, exec_lo
	s_or_saveexec_b32 s29, s29
	v_mov_b32_e32 v113, 0x7f800001
	s_xor_b32 exec_lo, exec_lo, s29
	s_cbranch_execnz .LBB2_3834
.LBB2_3612:                             ;   in Loop: Header=BB2_3529 Depth=2
	s_or_b32 exec_lo, exec_lo, s29
	s_and_saveexec_b32 s29, s12
	s_cbranch_execz .LBB2_3614
.LBB2_3613:                             ;   in Loop: Header=BB2_3529 Depth=2
	v_and_b32_e32 v113, 3, v65
	v_lshrrev_b16 v115, 2, v65
	v_lshlrev_b32_e32 v117, 24, v65
	v_ffbh_u32_e32 v114, v113
	v_and_b32_e32 v115, 31, v115
	v_min_u32_e32 v114, 32, v114
	v_cmp_eq_u32_e32 vcc_lo, 0, v115
	v_subrev_nc_u32_e32 v116, 29, v114
	v_sub_nc_u32_e32 v114, 30, v114
	v_lshlrev_b32_e32 v116, v116, v65
	v_cndmask_b32_e32 v114, v115, v114, vcc_lo
	v_and_b32_e32 v115, 0x80000000, v117
	v_and_b32_e32 v116, 3, v116
	v_lshl_add_u32 v114, v114, 23, 0x37800000
	v_cndmask_b32_e32 v113, v113, v116, vcc_lo
	v_lshlrev_b32_e32 v113, 21, v113
	v_or3_b32 v113, v115, v114, v113
.LBB2_3614:                             ;   in Loop: Header=BB2_3529 Depth=2
	s_or_b32 exec_lo, exec_lo, s29
	v_max_f32_e32 v113, v113, v113
	v_max_f32_e32 v112, v112, v112
	s_mov_b32 s12, 0
	v_max_f32_e32 v112, v112, v113
.LBB2_3615:                             ;   in Loop: Header=BB2_3529 Depth=2
	s_and_b32 vcc_lo, exec_lo, s12
	s_cbranch_vccz .LBB2_3629
; %bb.3616:                             ;   in Loop: Header=BB2_3529 Depth=2
	v_cmp_gt_i16_sdwa s29, v103, v84 src0_sel:BYTE_0 src1_sel:DWORD
	s_mov_b32 s12, 0
	s_and_saveexec_b32 s40, s29
	s_xor_b32 s29, exec_lo, s40
	s_cbranch_execz .LBB2_3835
; %bb.3617:                             ;   in Loop: Header=BB2_3529 Depth=2
	v_cmp_eq_u16_sdwa s41, v103, v85 src0_sel:BYTE_0 src1_sel:DWORD
	s_mov_b32 s12, -1
	s_and_saveexec_b32 s40, s41
; %bb.3618:                             ;   in Loop: Header=BB2_3529 Depth=2
	s_xor_b32 s12, exec_lo, -1
; %bb.3619:                             ;   in Loop: Header=BB2_3529 Depth=2
	s_or_b32 exec_lo, exec_lo, s40
	s_and_b32 s12, s12, exec_lo
	s_or_saveexec_b32 s29, s29
	v_mov_b32_e32 v112, 0x7f800001
	s_xor_b32 exec_lo, exec_lo, s29
	s_cbranch_execnz .LBB2_3836
.LBB2_3620:                             ;   in Loop: Header=BB2_3529 Depth=2
	s_or_b32 exec_lo, exec_lo, s29
	s_and_saveexec_b32 s29, s12
	s_cbranch_execz .LBB2_3622
.LBB2_3621:                             ;   in Loop: Header=BB2_3529 Depth=2
	v_and_b32_e32 v112, 3, v103
	v_lshrrev_b16 v114, 2, v103
	v_ffbh_u32_e32 v113, v112
	v_and_b32_e32 v114, 31, v114
	v_min_u32_e32 v113, 32, v113
	v_cmp_eq_u32_e32 vcc_lo, 0, v114
	v_subrev_nc_u32_e32 v115, 29, v113
	v_sub_nc_u32_e32 v113, 30, v113
	v_lshlrev_b32_e32 v115, v115, v103
	v_lshlrev_b32_e32 v103, 24, v103
	v_cndmask_b32_e32 v113, v114, v113, vcc_lo
	v_and_b32_e32 v115, 3, v115
	v_and_b32_e32 v103, 0x80000000, v103
	v_lshl_add_u32 v113, v113, 23, 0x37800000
	v_cndmask_b32_e32 v112, v112, v115, vcc_lo
	v_lshlrev_b32_e32 v112, 21, v112
	v_or3_b32 v112, v103, v113, v112
.LBB2_3622:                             ;   in Loop: Header=BB2_3529 Depth=2
	s_or_b32 exec_lo, exec_lo, s29
	s_waitcnt vmcnt(5) lgkmcnt(5)
	v_cmp_gt_i16_sdwa s29, v65, v84 src0_sel:BYTE_0 src1_sel:DWORD
	s_mov_b32 s12, 0
	s_and_saveexec_b32 s40, s29
	s_xor_b32 s29, exec_lo, s40
	s_cbranch_execz .LBB2_3837
; %bb.3623:                             ;   in Loop: Header=BB2_3529 Depth=2
	v_cmp_eq_u16_sdwa s41, v65, v85 src0_sel:BYTE_0 src1_sel:DWORD
	s_mov_b32 s12, -1
	s_and_saveexec_b32 s40, s41
; %bb.3624:                             ;   in Loop: Header=BB2_3529 Depth=2
	s_xor_b32 s12, exec_lo, -1
; %bb.3625:                             ;   in Loop: Header=BB2_3529 Depth=2
	s_or_b32 exec_lo, exec_lo, s40
	s_and_b32 s12, s12, exec_lo
	s_or_saveexec_b32 s29, s29
	v_mov_b32_e32 v103, 0x7f800001
	s_xor_b32 exec_lo, exec_lo, s29
	s_cbranch_execnz .LBB2_3838
.LBB2_3626:                             ;   in Loop: Header=BB2_3529 Depth=2
	s_or_b32 exec_lo, exec_lo, s29
	s_and_saveexec_b32 s29, s12
	s_cbranch_execz .LBB2_3628
.LBB2_3627:                             ;   in Loop: Header=BB2_3529 Depth=2
	v_and_b32_e32 v103, 3, v65
	v_lshrrev_b16 v114, 2, v65
	v_ffbh_u32_e32 v113, v103
	v_and_b32_e32 v114, 31, v114
	v_min_u32_e32 v113, 32, v113
	v_cmp_eq_u32_e32 vcc_lo, 0, v114
	v_subrev_nc_u32_e32 v115, 29, v113
	v_sub_nc_u32_e32 v113, 30, v113
	v_lshlrev_b32_e32 v115, v115, v65
	v_lshlrev_b32_e32 v65, 24, v65
	v_cndmask_b32_e32 v113, v114, v113, vcc_lo
	v_and_b32_e32 v115, 3, v115
	v_and_b32_e32 v65, 0x80000000, v65
	v_lshl_add_u32 v113, v113, 23, 0x37800000
	v_cndmask_b32_e32 v103, v103, v115, vcc_lo
	v_lshlrev_b32_e32 v103, 21, v103
	v_or3_b32 v103, v65, v113, v103
.LBB2_3628:                             ;   in Loop: Header=BB2_3529 Depth=2
	s_or_b32 exec_lo, exec_lo, s29
	v_max_f32_e32 v65, v103, v103
	v_max_f32_e32 v103, v112, v112
	v_min_f32_e32 v112, v103, v65
.LBB2_3629:                             ;   in Loop: Header=BB2_3529 Depth=2
	s_waitcnt vmcnt(5) lgkmcnt(5)
	v_and_b32_e32 v65, 0x7f800000, v112
	v_cmp_ne_u32_e32 vcc_lo, 0x7f800000, v65
	v_mov_b32_e32 v65, 0x80
	s_and_saveexec_b32 s29, vcc_lo
	s_cbranch_execz .LBB2_3637
; %bb.3630:                             ;   in Loop: Header=BB2_3529 Depth=2
	v_mov_b32_e32 v65, 0
	s_mov_b32 s40, exec_lo
	v_cmpx_ne_u32_e32 0, v112
	s_cbranch_execz .LBB2_3636
; %bb.3631:                             ;   in Loop: Header=BB2_3529 Depth=2
	v_bfe_u32 v65, v112, 23, 8
	v_and_b32_e32 v103, 0x7fffff, v112
	v_sub_nc_u32_e32 v113, 0x70, v65
	v_cmp_gt_u32_e32 vcc_lo, 0x71, v65
	v_or_b32_e32 v114, 0x800000, v103
	v_cndmask_b32_e32 v113, 0, v113, vcc_lo
	v_cmp_eq_u32_e32 vcc_lo, 0, v65
	v_add_nc_u32_e32 v65, 0xffffff91, v65
	v_cndmask_b32_e64 v113, v113, 0x6f, vcc_lo
	v_cndmask_b32_e32 v103, v114, v103, vcc_lo
	v_cndmask_b32_e64 v65, v65, 0xffffff92, vcc_lo
	v_lshl_add_u32 v114, 0x200000, v113, -1
	v_lshrrev_b32_e32 v115, v113, v103
	v_lshlrev_b32_e64 v117, v113, 0x100000
	v_add_nc_u32_e32 v113, v113, v65
	v_and_b32_e32 v103, v114, v103
	v_bfe_u32 v116, v115, 21, 1
	v_cmp_eq_u32_e64 s12, v103, v117
	v_add_nc_u32_e32 v114, -1, v116
	v_cndmask_b32_e64 v103, 0, v114, s12
	v_lshrrev_b32_e32 v114, 23, v115
	s_mov_b32 s12, exec_lo
	v_add_nc_u32_e32 v103, v103, v115
	v_xor_b32_e32 v114, 1, v114
	v_and_b32_e32 v65, 0x1fffff, v103
	v_add_nc_u32_e32 v103, v65, v115
                                        ; implicit-def: $vgpr65
	v_cmpx_ne_u32_e64 v113, v114
	s_xor_b32 s12, exec_lo, s12
; %bb.3632:                             ;   in Loop: Header=BB2_3529 Depth=2
	v_cmp_lt_u32_e32 vcc_lo, 0xffffff, v103
	v_sub_nc_u32_e32 v65, v113, v114
	v_cndmask_b32_e64 v113, 0, 1, vcc_lo
	v_add_co_ci_u32_e64 v65, null, 0, v65, vcc_lo
	v_lshrrev_b32_e32 v103, v113, v103
; %bb.3633:                             ;   in Loop: Header=BB2_3529 Depth=2
	s_andn2_saveexec_b32 s12, s12
; %bb.3634:                             ;   in Loop: Header=BB2_3529 Depth=2
	v_bfe_u32 v65, v103, 23, 1
; %bb.3635:                             ;   in Loop: Header=BB2_3529 Depth=2
	s_or_b32 exec_lo, exec_lo, s12
	v_lshrrev_b32_e32 v103, 21, v103
	v_cmp_gt_i32_e32 vcc_lo, 32, v65
	v_min_i32_e32 v113, 31, v65
	v_and_b32_sdwa v112, v112, v85 dst_sel:DWORD dst_unused:UNUSED_PAD src0_sel:BYTE_3 src1_sel:DWORD
	v_cndmask_b32_e32 v103, 3, v103, vcc_lo
	v_lshlrev_b32_e32 v113, 2, v113
	v_and_b32_e32 v114, 3, v103
	v_or_b32_e32 v65, v65, v103
	v_or3_b32 v103, v113, v112, v114
	v_cmp_ne_u32_e32 vcc_lo, 0, v65
	v_cndmask_b32_e32 v65, 0, v103, vcc_lo
.LBB2_3636:                             ;   in Loop: Header=BB2_3529 Depth=2
	s_or_b32 exec_lo, exec_lo, s40
.LBB2_3637:                             ;   in Loop: Header=BB2_3529 Depth=2
	s_or_b32 exec_lo, exec_lo, s29
	v_cmp_gt_i16_sdwa s29, v102, v84 src0_sel:BYTE_0 src1_sel:DWORD
	s_andn2_b32 vcc_lo, exec_lo, s27
	s_mov_b32 s12, -1
                                        ; implicit-def: $vgpr103
	s_cbranch_vccnz .LBB2_3651
; %bb.3638:                             ;   in Loop: Header=BB2_3529 Depth=2
	s_mov_b32 s12, 0
	s_and_saveexec_b32 s40, s29
	s_xor_b32 s29, exec_lo, s40
	s_cbranch_execz .LBB2_3839
; %bb.3639:                             ;   in Loop: Header=BB2_3529 Depth=2
	v_cmp_eq_u16_sdwa s41, v102, v85 src0_sel:BYTE_0 src1_sel:DWORD
	s_mov_b32 s12, -1
	s_and_saveexec_b32 s40, s41
; %bb.3640:                             ;   in Loop: Header=BB2_3529 Depth=2
	s_xor_b32 s12, exec_lo, -1
; %bb.3641:                             ;   in Loop: Header=BB2_3529 Depth=2
	s_or_b32 exec_lo, exec_lo, s40
	s_and_b32 s12, s12, exec_lo
	s_or_saveexec_b32 s29, s29
	v_mov_b32_e32 v103, 0x7f800001
	s_xor_b32 exec_lo, exec_lo, s29
	s_cbranch_execnz .LBB2_3840
.LBB2_3642:                             ;   in Loop: Header=BB2_3529 Depth=2
	s_or_b32 exec_lo, exec_lo, s29
	s_and_saveexec_b32 s29, s12
	s_cbranch_execz .LBB2_3644
.LBB2_3643:                             ;   in Loop: Header=BB2_3529 Depth=2
	v_and_b32_e32 v103, 3, v102
	v_lshrrev_b16 v113, 2, v102
	v_lshlrev_b32_e32 v115, 24, v102
	v_ffbh_u32_e32 v112, v103
	v_and_b32_e32 v113, 31, v113
	v_min_u32_e32 v112, 32, v112
	v_cmp_eq_u32_e32 vcc_lo, 0, v113
	v_subrev_nc_u32_e32 v114, 29, v112
	v_sub_nc_u32_e32 v112, 30, v112
	v_lshlrev_b32_e32 v114, v114, v102
	v_cndmask_b32_e32 v112, v113, v112, vcc_lo
	v_and_b32_e32 v113, 0x80000000, v115
	v_and_b32_e32 v114, 3, v114
	v_lshl_add_u32 v112, v112, 23, 0x37800000
	v_cndmask_b32_e32 v103, v103, v114, vcc_lo
	v_lshlrev_b32_e32 v103, 21, v103
	v_or3_b32 v103, v113, v112, v103
.LBB2_3644:                             ;   in Loop: Header=BB2_3529 Depth=2
	s_or_b32 exec_lo, exec_lo, s29
	s_waitcnt vmcnt(4) lgkmcnt(4)
	v_cmp_gt_i16_sdwa s29, v101, v84 src0_sel:BYTE_0 src1_sel:DWORD
	s_mov_b32 s12, 0
	s_and_saveexec_b32 s40, s29
	s_xor_b32 s29, exec_lo, s40
	s_cbranch_execz .LBB2_3841
; %bb.3645:                             ;   in Loop: Header=BB2_3529 Depth=2
	v_cmp_eq_u16_sdwa s41, v101, v85 src0_sel:BYTE_0 src1_sel:DWORD
	s_mov_b32 s12, -1
	s_and_saveexec_b32 s40, s41
; %bb.3646:                             ;   in Loop: Header=BB2_3529 Depth=2
	s_xor_b32 s12, exec_lo, -1
; %bb.3647:                             ;   in Loop: Header=BB2_3529 Depth=2
	s_or_b32 exec_lo, exec_lo, s40
	s_and_b32 s12, s12, exec_lo
	s_or_saveexec_b32 s29, s29
	v_mov_b32_e32 v112, 0x7f800001
	s_xor_b32 exec_lo, exec_lo, s29
	s_cbranch_execnz .LBB2_3842
.LBB2_3648:                             ;   in Loop: Header=BB2_3529 Depth=2
	s_or_b32 exec_lo, exec_lo, s29
	s_and_saveexec_b32 s29, s12
	s_cbranch_execz .LBB2_3650
.LBB2_3649:                             ;   in Loop: Header=BB2_3529 Depth=2
	v_and_b32_e32 v112, 3, v101
	v_lshrrev_b16 v114, 2, v101
	v_lshlrev_b32_e32 v116, 24, v101
	v_ffbh_u32_e32 v113, v112
	v_and_b32_e32 v114, 31, v114
	v_min_u32_e32 v113, 32, v113
	v_cmp_eq_u32_e32 vcc_lo, 0, v114
	v_subrev_nc_u32_e32 v115, 29, v113
	v_sub_nc_u32_e32 v113, 30, v113
	v_lshlrev_b32_e32 v115, v115, v101
	v_cndmask_b32_e32 v113, v114, v113, vcc_lo
	v_and_b32_e32 v114, 0x80000000, v116
	v_and_b32_e32 v115, 3, v115
	v_lshl_add_u32 v113, v113, 23, 0x37800000
	v_cndmask_b32_e32 v112, v112, v115, vcc_lo
	v_lshlrev_b32_e32 v112, 21, v112
	v_or3_b32 v112, v114, v113, v112
.LBB2_3650:                             ;   in Loop: Header=BB2_3529 Depth=2
	s_or_b32 exec_lo, exec_lo, s29
	v_max_f32_e32 v112, v112, v112
	v_max_f32_e32 v103, v103, v103
	s_mov_b32 s12, 0
	v_max_f32_e32 v103, v103, v112
.LBB2_3651:                             ;   in Loop: Header=BB2_3529 Depth=2
	s_and_b32 vcc_lo, exec_lo, s12
	s_cbranch_vccz .LBB2_3665
; %bb.3652:                             ;   in Loop: Header=BB2_3529 Depth=2
	v_cmp_gt_i16_sdwa s29, v102, v84 src0_sel:BYTE_0 src1_sel:DWORD
	s_mov_b32 s12, 0
	s_and_saveexec_b32 s40, s29
	s_xor_b32 s29, exec_lo, s40
	s_cbranch_execz .LBB2_3843
; %bb.3653:                             ;   in Loop: Header=BB2_3529 Depth=2
	v_cmp_eq_u16_sdwa s41, v102, v85 src0_sel:BYTE_0 src1_sel:DWORD
	s_mov_b32 s12, -1
	s_and_saveexec_b32 s40, s41
; %bb.3654:                             ;   in Loop: Header=BB2_3529 Depth=2
	s_xor_b32 s12, exec_lo, -1
; %bb.3655:                             ;   in Loop: Header=BB2_3529 Depth=2
	s_or_b32 exec_lo, exec_lo, s40
	s_and_b32 s12, s12, exec_lo
	s_or_saveexec_b32 s29, s29
	v_mov_b32_e32 v103, 0x7f800001
	s_xor_b32 exec_lo, exec_lo, s29
	s_cbranch_execnz .LBB2_3844
.LBB2_3656:                             ;   in Loop: Header=BB2_3529 Depth=2
	s_or_b32 exec_lo, exec_lo, s29
	s_and_saveexec_b32 s29, s12
	s_cbranch_execz .LBB2_3658
.LBB2_3657:                             ;   in Loop: Header=BB2_3529 Depth=2
	v_and_b32_e32 v103, 3, v102
	v_lshrrev_b16 v113, 2, v102
	v_ffbh_u32_e32 v112, v103
	v_and_b32_e32 v113, 31, v113
	v_min_u32_e32 v112, 32, v112
	v_cmp_eq_u32_e32 vcc_lo, 0, v113
	v_subrev_nc_u32_e32 v114, 29, v112
	v_sub_nc_u32_e32 v112, 30, v112
	v_lshlrev_b32_e32 v114, v114, v102
	v_lshlrev_b32_e32 v102, 24, v102
	v_cndmask_b32_e32 v112, v113, v112, vcc_lo
	v_and_b32_e32 v114, 3, v114
	v_and_b32_e32 v102, 0x80000000, v102
	v_lshl_add_u32 v112, v112, 23, 0x37800000
	v_cndmask_b32_e32 v103, v103, v114, vcc_lo
	v_lshlrev_b32_e32 v103, 21, v103
	v_or3_b32 v103, v102, v112, v103
.LBB2_3658:                             ;   in Loop: Header=BB2_3529 Depth=2
	s_or_b32 exec_lo, exec_lo, s29
	s_waitcnt vmcnt(4) lgkmcnt(4)
	v_cmp_gt_i16_sdwa s29, v101, v84 src0_sel:BYTE_0 src1_sel:DWORD
	s_mov_b32 s12, 0
	s_and_saveexec_b32 s40, s29
	s_xor_b32 s29, exec_lo, s40
	s_cbranch_execz .LBB2_3845
; %bb.3659:                             ;   in Loop: Header=BB2_3529 Depth=2
	v_cmp_eq_u16_sdwa s41, v101, v85 src0_sel:BYTE_0 src1_sel:DWORD
	s_mov_b32 s12, -1
	s_and_saveexec_b32 s40, s41
; %bb.3660:                             ;   in Loop: Header=BB2_3529 Depth=2
	s_xor_b32 s12, exec_lo, -1
; %bb.3661:                             ;   in Loop: Header=BB2_3529 Depth=2
	s_or_b32 exec_lo, exec_lo, s40
	s_and_b32 s12, s12, exec_lo
	s_or_saveexec_b32 s29, s29
	v_mov_b32_e32 v102, 0x7f800001
	s_xor_b32 exec_lo, exec_lo, s29
	s_cbranch_execnz .LBB2_3846
.LBB2_3662:                             ;   in Loop: Header=BB2_3529 Depth=2
	s_or_b32 exec_lo, exec_lo, s29
	s_and_saveexec_b32 s29, s12
	s_cbranch_execz .LBB2_3664
.LBB2_3663:                             ;   in Loop: Header=BB2_3529 Depth=2
	v_and_b32_e32 v102, 3, v101
	v_lshrrev_b16 v113, 2, v101
	v_ffbh_u32_e32 v112, v102
	v_and_b32_e32 v113, 31, v113
	v_min_u32_e32 v112, 32, v112
	v_cmp_eq_u32_e32 vcc_lo, 0, v113
	v_subrev_nc_u32_e32 v114, 29, v112
	v_sub_nc_u32_e32 v112, 30, v112
	v_lshlrev_b32_e32 v114, v114, v101
	v_lshlrev_b32_e32 v101, 24, v101
	v_cndmask_b32_e32 v112, v113, v112, vcc_lo
	v_and_b32_e32 v114, 3, v114
	v_and_b32_e32 v101, 0x80000000, v101
	v_lshl_add_u32 v112, v112, 23, 0x37800000
	v_cndmask_b32_e32 v102, v102, v114, vcc_lo
	v_lshlrev_b32_e32 v102, 21, v102
	v_or3_b32 v102, v101, v112, v102
.LBB2_3664:                             ;   in Loop: Header=BB2_3529 Depth=2
	s_or_b32 exec_lo, exec_lo, s29
	v_max_f32_e32 v101, v102, v102
	v_max_f32_e32 v102, v103, v103
	v_min_f32_e32 v103, v102, v101
.LBB2_3665:                             ;   in Loop: Header=BB2_3529 Depth=2
	s_waitcnt vmcnt(4) lgkmcnt(4)
	v_and_b32_e32 v101, 0x7f800000, v103
	v_cmp_ne_u32_e32 vcc_lo, 0x7f800000, v101
	v_mov_b32_e32 v101, 0x80
	s_and_saveexec_b32 s29, vcc_lo
	s_cbranch_execz .LBB2_3673
; %bb.3666:                             ;   in Loop: Header=BB2_3529 Depth=2
	v_mov_b32_e32 v101, 0
	s_mov_b32 s40, exec_lo
	v_cmpx_ne_u32_e32 0, v103
	s_cbranch_execz .LBB2_3672
; %bb.3667:                             ;   in Loop: Header=BB2_3529 Depth=2
	v_bfe_u32 v101, v103, 23, 8
	v_and_b32_e32 v102, 0x7fffff, v103
	v_sub_nc_u32_e32 v112, 0x70, v101
	v_cmp_gt_u32_e32 vcc_lo, 0x71, v101
	v_or_b32_e32 v113, 0x800000, v102
	v_cndmask_b32_e32 v112, 0, v112, vcc_lo
	v_cmp_eq_u32_e32 vcc_lo, 0, v101
	v_add_nc_u32_e32 v101, 0xffffff91, v101
	v_cndmask_b32_e64 v112, v112, 0x6f, vcc_lo
	v_cndmask_b32_e32 v102, v113, v102, vcc_lo
	v_cndmask_b32_e64 v101, v101, 0xffffff92, vcc_lo
	v_lshl_add_u32 v113, 0x200000, v112, -1
	v_lshrrev_b32_e32 v114, v112, v102
	v_lshlrev_b32_e64 v116, v112, 0x100000
	v_add_nc_u32_e32 v112, v112, v101
	v_and_b32_e32 v102, v113, v102
	v_bfe_u32 v115, v114, 21, 1
	v_cmp_eq_u32_e64 s12, v102, v116
	v_add_nc_u32_e32 v113, -1, v115
	v_cndmask_b32_e64 v102, 0, v113, s12
	v_lshrrev_b32_e32 v113, 23, v114
	s_mov_b32 s12, exec_lo
	v_add_nc_u32_e32 v102, v102, v114
	v_xor_b32_e32 v113, 1, v113
	v_and_b32_e32 v101, 0x1fffff, v102
	v_add_nc_u32_e32 v102, v101, v114
                                        ; implicit-def: $vgpr101
	v_cmpx_ne_u32_e64 v112, v113
	s_xor_b32 s12, exec_lo, s12
; %bb.3668:                             ;   in Loop: Header=BB2_3529 Depth=2
	v_cmp_lt_u32_e32 vcc_lo, 0xffffff, v102
	v_sub_nc_u32_e32 v101, v112, v113
	v_cndmask_b32_e64 v112, 0, 1, vcc_lo
	v_add_co_ci_u32_e64 v101, null, 0, v101, vcc_lo
	v_lshrrev_b32_e32 v102, v112, v102
; %bb.3669:                             ;   in Loop: Header=BB2_3529 Depth=2
	s_andn2_saveexec_b32 s12, s12
; %bb.3670:                             ;   in Loop: Header=BB2_3529 Depth=2
	v_bfe_u32 v101, v102, 23, 1
; %bb.3671:                             ;   in Loop: Header=BB2_3529 Depth=2
	s_or_b32 exec_lo, exec_lo, s12
	v_lshrrev_b32_e32 v102, 21, v102
	v_cmp_gt_i32_e32 vcc_lo, 32, v101
	v_min_i32_e32 v112, 31, v101
	v_and_b32_sdwa v103, v103, v85 dst_sel:DWORD dst_unused:UNUSED_PAD src0_sel:BYTE_3 src1_sel:DWORD
	v_cndmask_b32_e32 v102, 3, v102, vcc_lo
	v_lshlrev_b32_e32 v112, 2, v112
	v_and_b32_e32 v113, 3, v102
	v_or_b32_e32 v101, v101, v102
	v_or3_b32 v102, v112, v103, v113
	v_cmp_ne_u32_e32 vcc_lo, 0, v101
	v_cndmask_b32_e32 v101, 0, v102, vcc_lo
.LBB2_3672:                             ;   in Loop: Header=BB2_3529 Depth=2
	s_or_b32 exec_lo, exec_lo, s40
.LBB2_3673:                             ;   in Loop: Header=BB2_3529 Depth=2
	s_or_b32 exec_lo, exec_lo, s29
	v_cmp_gt_i16_sdwa s29, v100, v84 src0_sel:BYTE_0 src1_sel:DWORD
	s_andn2_b32 vcc_lo, exec_lo, s27
	s_mov_b32 s12, -1
                                        ; implicit-def: $vgpr102
	s_cbranch_vccnz .LBB2_3687
; %bb.3674:                             ;   in Loop: Header=BB2_3529 Depth=2
	s_mov_b32 s12, 0
	s_and_saveexec_b32 s40, s29
	s_xor_b32 s29, exec_lo, s40
	s_cbranch_execz .LBB2_3847
; %bb.3675:                             ;   in Loop: Header=BB2_3529 Depth=2
	v_cmp_eq_u16_sdwa s41, v100, v85 src0_sel:BYTE_0 src1_sel:DWORD
	s_mov_b32 s12, -1
	s_and_saveexec_b32 s40, s41
; %bb.3676:                             ;   in Loop: Header=BB2_3529 Depth=2
	s_xor_b32 s12, exec_lo, -1
; %bb.3677:                             ;   in Loop: Header=BB2_3529 Depth=2
	s_or_b32 exec_lo, exec_lo, s40
	s_and_b32 s12, s12, exec_lo
	s_or_saveexec_b32 s29, s29
	v_mov_b32_e32 v102, 0x7f800001
	s_xor_b32 exec_lo, exec_lo, s29
	s_cbranch_execnz .LBB2_3848
.LBB2_3678:                             ;   in Loop: Header=BB2_3529 Depth=2
	s_or_b32 exec_lo, exec_lo, s29
	s_and_saveexec_b32 s29, s12
	s_cbranch_execz .LBB2_3680
.LBB2_3679:                             ;   in Loop: Header=BB2_3529 Depth=2
	v_and_b32_e32 v102, 3, v100
	v_lshrrev_b16 v112, 2, v100
	v_lshlrev_b32_e32 v114, 24, v100
	v_ffbh_u32_e32 v103, v102
	v_and_b32_e32 v112, 31, v112
	v_min_u32_e32 v103, 32, v103
	v_cmp_eq_u32_e32 vcc_lo, 0, v112
	v_subrev_nc_u32_e32 v113, 29, v103
	v_sub_nc_u32_e32 v103, 30, v103
	v_lshlrev_b32_e32 v113, v113, v100
	v_cndmask_b32_e32 v103, v112, v103, vcc_lo
	v_and_b32_e32 v112, 0x80000000, v114
	v_and_b32_e32 v113, 3, v113
	v_lshl_add_u32 v103, v103, 23, 0x37800000
	v_cndmask_b32_e32 v102, v102, v113, vcc_lo
	v_lshlrev_b32_e32 v102, 21, v102
	v_or3_b32 v102, v112, v103, v102
.LBB2_3680:                             ;   in Loop: Header=BB2_3529 Depth=2
	s_or_b32 exec_lo, exec_lo, s29
	s_waitcnt vmcnt(3) lgkmcnt(3)
	v_cmp_gt_i16_sdwa s29, v99, v84 src0_sel:BYTE_0 src1_sel:DWORD
	s_mov_b32 s12, 0
	s_and_saveexec_b32 s40, s29
	s_xor_b32 s29, exec_lo, s40
	s_cbranch_execz .LBB2_3849
; %bb.3681:                             ;   in Loop: Header=BB2_3529 Depth=2
	v_cmp_eq_u16_sdwa s41, v99, v85 src0_sel:BYTE_0 src1_sel:DWORD
	s_mov_b32 s12, -1
	s_and_saveexec_b32 s40, s41
; %bb.3682:                             ;   in Loop: Header=BB2_3529 Depth=2
	s_xor_b32 s12, exec_lo, -1
; %bb.3683:                             ;   in Loop: Header=BB2_3529 Depth=2
	s_or_b32 exec_lo, exec_lo, s40
	s_and_b32 s12, s12, exec_lo
	s_or_saveexec_b32 s29, s29
	v_mov_b32_e32 v103, 0x7f800001
	s_xor_b32 exec_lo, exec_lo, s29
	s_cbranch_execnz .LBB2_3850
.LBB2_3684:                             ;   in Loop: Header=BB2_3529 Depth=2
	s_or_b32 exec_lo, exec_lo, s29
	s_and_saveexec_b32 s29, s12
	s_cbranch_execz .LBB2_3686
.LBB2_3685:                             ;   in Loop: Header=BB2_3529 Depth=2
	v_and_b32_e32 v103, 3, v99
	v_lshrrev_b16 v113, 2, v99
	v_lshlrev_b32_e32 v115, 24, v99
	v_ffbh_u32_e32 v112, v103
	v_and_b32_e32 v113, 31, v113
	v_min_u32_e32 v112, 32, v112
	v_cmp_eq_u32_e32 vcc_lo, 0, v113
	v_subrev_nc_u32_e32 v114, 29, v112
	v_sub_nc_u32_e32 v112, 30, v112
	v_lshlrev_b32_e32 v114, v114, v99
	v_cndmask_b32_e32 v112, v113, v112, vcc_lo
	v_and_b32_e32 v113, 0x80000000, v115
	v_and_b32_e32 v114, 3, v114
	v_lshl_add_u32 v112, v112, 23, 0x37800000
	v_cndmask_b32_e32 v103, v103, v114, vcc_lo
	v_lshlrev_b32_e32 v103, 21, v103
	v_or3_b32 v103, v113, v112, v103
.LBB2_3686:                             ;   in Loop: Header=BB2_3529 Depth=2
	s_or_b32 exec_lo, exec_lo, s29
	v_max_f32_e32 v103, v103, v103
	v_max_f32_e32 v102, v102, v102
	s_mov_b32 s12, 0
	v_max_f32_e32 v102, v102, v103
.LBB2_3687:                             ;   in Loop: Header=BB2_3529 Depth=2
	s_and_b32 vcc_lo, exec_lo, s12
	s_cbranch_vccz .LBB2_3701
; %bb.3688:                             ;   in Loop: Header=BB2_3529 Depth=2
	v_cmp_gt_i16_sdwa s29, v100, v84 src0_sel:BYTE_0 src1_sel:DWORD
	s_mov_b32 s12, 0
	s_and_saveexec_b32 s40, s29
	s_xor_b32 s29, exec_lo, s40
	s_cbranch_execz .LBB2_3851
; %bb.3689:                             ;   in Loop: Header=BB2_3529 Depth=2
	v_cmp_eq_u16_sdwa s41, v100, v85 src0_sel:BYTE_0 src1_sel:DWORD
	s_mov_b32 s12, -1
	s_and_saveexec_b32 s40, s41
; %bb.3690:                             ;   in Loop: Header=BB2_3529 Depth=2
	s_xor_b32 s12, exec_lo, -1
; %bb.3691:                             ;   in Loop: Header=BB2_3529 Depth=2
	s_or_b32 exec_lo, exec_lo, s40
	s_and_b32 s12, s12, exec_lo
	s_or_saveexec_b32 s29, s29
	v_mov_b32_e32 v102, 0x7f800001
	s_xor_b32 exec_lo, exec_lo, s29
	s_cbranch_execnz .LBB2_3852
.LBB2_3692:                             ;   in Loop: Header=BB2_3529 Depth=2
	s_or_b32 exec_lo, exec_lo, s29
	s_and_saveexec_b32 s29, s12
	s_cbranch_execz .LBB2_3694
.LBB2_3693:                             ;   in Loop: Header=BB2_3529 Depth=2
	v_and_b32_e32 v102, 3, v100
	v_lshrrev_b16 v112, 2, v100
	v_ffbh_u32_e32 v103, v102
	v_and_b32_e32 v112, 31, v112
	v_min_u32_e32 v103, 32, v103
	v_cmp_eq_u32_e32 vcc_lo, 0, v112
	v_subrev_nc_u32_e32 v113, 29, v103
	v_sub_nc_u32_e32 v103, 30, v103
	v_lshlrev_b32_e32 v113, v113, v100
	v_lshlrev_b32_e32 v100, 24, v100
	v_cndmask_b32_e32 v103, v112, v103, vcc_lo
	v_and_b32_e32 v113, 3, v113
	v_and_b32_e32 v100, 0x80000000, v100
	v_lshl_add_u32 v103, v103, 23, 0x37800000
	v_cndmask_b32_e32 v102, v102, v113, vcc_lo
	v_lshlrev_b32_e32 v102, 21, v102
	v_or3_b32 v102, v100, v103, v102
.LBB2_3694:                             ;   in Loop: Header=BB2_3529 Depth=2
	s_or_b32 exec_lo, exec_lo, s29
	s_waitcnt vmcnt(3) lgkmcnt(3)
	v_cmp_gt_i16_sdwa s29, v99, v84 src0_sel:BYTE_0 src1_sel:DWORD
	s_mov_b32 s12, 0
	s_and_saveexec_b32 s40, s29
	s_xor_b32 s29, exec_lo, s40
	s_cbranch_execz .LBB2_3853
; %bb.3695:                             ;   in Loop: Header=BB2_3529 Depth=2
	v_cmp_eq_u16_sdwa s41, v99, v85 src0_sel:BYTE_0 src1_sel:DWORD
	s_mov_b32 s12, -1
	s_and_saveexec_b32 s40, s41
; %bb.3696:                             ;   in Loop: Header=BB2_3529 Depth=2
	s_xor_b32 s12, exec_lo, -1
; %bb.3697:                             ;   in Loop: Header=BB2_3529 Depth=2
	s_or_b32 exec_lo, exec_lo, s40
	s_and_b32 s12, s12, exec_lo
	s_or_saveexec_b32 s29, s29
	v_mov_b32_e32 v100, 0x7f800001
	s_xor_b32 exec_lo, exec_lo, s29
	s_cbranch_execnz .LBB2_3854
.LBB2_3698:                             ;   in Loop: Header=BB2_3529 Depth=2
	s_or_b32 exec_lo, exec_lo, s29
	s_and_saveexec_b32 s29, s12
	s_cbranch_execz .LBB2_3700
.LBB2_3699:                             ;   in Loop: Header=BB2_3529 Depth=2
	v_and_b32_e32 v100, 3, v99
	v_lshrrev_b16 v112, 2, v99
	v_ffbh_u32_e32 v103, v100
	v_and_b32_e32 v112, 31, v112
	v_min_u32_e32 v103, 32, v103
	v_cmp_eq_u32_e32 vcc_lo, 0, v112
	v_subrev_nc_u32_e32 v113, 29, v103
	v_sub_nc_u32_e32 v103, 30, v103
	v_lshlrev_b32_e32 v113, v113, v99
	v_lshlrev_b32_e32 v99, 24, v99
	v_cndmask_b32_e32 v103, v112, v103, vcc_lo
	v_and_b32_e32 v113, 3, v113
	v_and_b32_e32 v99, 0x80000000, v99
	v_lshl_add_u32 v103, v103, 23, 0x37800000
	v_cndmask_b32_e32 v100, v100, v113, vcc_lo
	v_lshlrev_b32_e32 v100, 21, v100
	v_or3_b32 v100, v99, v103, v100
.LBB2_3700:                             ;   in Loop: Header=BB2_3529 Depth=2
	s_or_b32 exec_lo, exec_lo, s29
	v_max_f32_e32 v99, v100, v100
	v_max_f32_e32 v100, v102, v102
	v_min_f32_e32 v102, v100, v99
.LBB2_3701:                             ;   in Loop: Header=BB2_3529 Depth=2
	s_waitcnt vmcnt(3) lgkmcnt(3)
	v_and_b32_e32 v99, 0x7f800000, v102
	v_cmp_ne_u32_e32 vcc_lo, 0x7f800000, v99
	v_mov_b32_e32 v99, 0x80
	s_and_saveexec_b32 s29, vcc_lo
	s_cbranch_execz .LBB2_3709
; %bb.3702:                             ;   in Loop: Header=BB2_3529 Depth=2
	v_mov_b32_e32 v99, 0
	s_mov_b32 s40, exec_lo
	v_cmpx_ne_u32_e32 0, v102
	s_cbranch_execz .LBB2_3708
; %bb.3703:                             ;   in Loop: Header=BB2_3529 Depth=2
	v_bfe_u32 v99, v102, 23, 8
	v_and_b32_e32 v100, 0x7fffff, v102
	v_sub_nc_u32_e32 v103, 0x70, v99
	v_cmp_gt_u32_e32 vcc_lo, 0x71, v99
	v_or_b32_e32 v112, 0x800000, v100
	v_cndmask_b32_e32 v103, 0, v103, vcc_lo
	v_cmp_eq_u32_e32 vcc_lo, 0, v99
	v_add_nc_u32_e32 v99, 0xffffff91, v99
	v_cndmask_b32_e64 v103, v103, 0x6f, vcc_lo
	v_cndmask_b32_e32 v100, v112, v100, vcc_lo
	v_cndmask_b32_e64 v99, v99, 0xffffff92, vcc_lo
	v_lshl_add_u32 v112, 0x200000, v103, -1
	v_lshrrev_b32_e32 v113, v103, v100
	v_lshlrev_b32_e64 v115, v103, 0x100000
	v_add_nc_u32_e32 v103, v103, v99
	v_and_b32_e32 v100, v112, v100
	v_bfe_u32 v114, v113, 21, 1
	v_cmp_eq_u32_e64 s12, v100, v115
	v_add_nc_u32_e32 v112, -1, v114
	v_cndmask_b32_e64 v100, 0, v112, s12
	v_lshrrev_b32_e32 v112, 23, v113
	s_mov_b32 s12, exec_lo
	v_add_nc_u32_e32 v100, v100, v113
	v_xor_b32_e32 v112, 1, v112
	v_and_b32_e32 v99, 0x1fffff, v100
	v_add_nc_u32_e32 v100, v99, v113
                                        ; implicit-def: $vgpr99
	v_cmpx_ne_u32_e64 v103, v112
	s_xor_b32 s12, exec_lo, s12
; %bb.3704:                             ;   in Loop: Header=BB2_3529 Depth=2
	v_cmp_lt_u32_e32 vcc_lo, 0xffffff, v100
	v_sub_nc_u32_e32 v99, v103, v112
	v_cndmask_b32_e64 v103, 0, 1, vcc_lo
	v_add_co_ci_u32_e64 v99, null, 0, v99, vcc_lo
	v_lshrrev_b32_e32 v100, v103, v100
; %bb.3705:                             ;   in Loop: Header=BB2_3529 Depth=2
	s_andn2_saveexec_b32 s12, s12
; %bb.3706:                             ;   in Loop: Header=BB2_3529 Depth=2
	v_bfe_u32 v99, v100, 23, 1
; %bb.3707:                             ;   in Loop: Header=BB2_3529 Depth=2
	s_or_b32 exec_lo, exec_lo, s12
	v_lshrrev_b32_e32 v100, 21, v100
	v_cmp_gt_i32_e32 vcc_lo, 32, v99
	v_min_i32_e32 v103, 31, v99
	v_and_b32_sdwa v102, v102, v85 dst_sel:DWORD dst_unused:UNUSED_PAD src0_sel:BYTE_3 src1_sel:DWORD
	v_cndmask_b32_e32 v100, 3, v100, vcc_lo
	v_lshlrev_b32_e32 v103, 2, v103
	v_and_b32_e32 v112, 3, v100
	v_or_b32_e32 v99, v99, v100
	v_or3_b32 v100, v103, v102, v112
	v_cmp_ne_u32_e32 vcc_lo, 0, v99
	v_cndmask_b32_e32 v99, 0, v100, vcc_lo
.LBB2_3708:                             ;   in Loop: Header=BB2_3529 Depth=2
	s_or_b32 exec_lo, exec_lo, s40
.LBB2_3709:                             ;   in Loop: Header=BB2_3529 Depth=2
	s_or_b32 exec_lo, exec_lo, s29
	v_cmp_gt_i16_sdwa s29, v64, v84 src0_sel:BYTE_0 src1_sel:DWORD
	s_andn2_b32 vcc_lo, exec_lo, s27
	s_mov_b32 s12, -1
                                        ; implicit-def: $vgpr100
	s_cbranch_vccnz .LBB2_3723
; %bb.3710:                             ;   in Loop: Header=BB2_3529 Depth=2
	s_mov_b32 s12, 0
	s_and_saveexec_b32 s40, s29
	s_xor_b32 s29, exec_lo, s40
	s_cbranch_execz .LBB2_3855
; %bb.3711:                             ;   in Loop: Header=BB2_3529 Depth=2
	v_cmp_eq_u16_sdwa s41, v64, v85 src0_sel:BYTE_0 src1_sel:DWORD
	s_mov_b32 s12, -1
	s_and_saveexec_b32 s40, s41
; %bb.3712:                             ;   in Loop: Header=BB2_3529 Depth=2
	s_xor_b32 s12, exec_lo, -1
; %bb.3713:                             ;   in Loop: Header=BB2_3529 Depth=2
	s_or_b32 exec_lo, exec_lo, s40
	s_and_b32 s12, s12, exec_lo
	s_or_saveexec_b32 s29, s29
	v_mov_b32_e32 v100, 0x7f800001
	s_xor_b32 exec_lo, exec_lo, s29
	s_cbranch_execnz .LBB2_3856
.LBB2_3714:                             ;   in Loop: Header=BB2_3529 Depth=2
	s_or_b32 exec_lo, exec_lo, s29
	s_and_saveexec_b32 s29, s12
	s_cbranch_execz .LBB2_3716
.LBB2_3715:                             ;   in Loop: Header=BB2_3529 Depth=2
	v_and_b32_e32 v100, 3, v64
	v_lshrrev_b16 v103, 2, v64
	v_lshlrev_b32_e32 v113, 24, v64
	v_ffbh_u32_e32 v102, v100
	v_and_b32_e32 v103, 31, v103
	v_min_u32_e32 v102, 32, v102
	v_cmp_eq_u32_e32 vcc_lo, 0, v103
	v_subrev_nc_u32_e32 v112, 29, v102
	v_sub_nc_u32_e32 v102, 30, v102
	v_lshlrev_b32_e32 v112, v112, v64
	v_cndmask_b32_e32 v102, v103, v102, vcc_lo
	v_and_b32_e32 v103, 0x80000000, v113
	v_and_b32_e32 v112, 3, v112
	v_lshl_add_u32 v102, v102, 23, 0x37800000
	v_cndmask_b32_e32 v100, v100, v112, vcc_lo
	v_lshlrev_b32_e32 v100, 21, v100
	v_or3_b32 v100, v103, v102, v100
.LBB2_3716:                             ;   in Loop: Header=BB2_3529 Depth=2
	s_or_b32 exec_lo, exec_lo, s29
	s_waitcnt vmcnt(2) lgkmcnt(2)
	v_cmp_gt_i16_sdwa s29, v55, v84 src0_sel:BYTE_0 src1_sel:DWORD
	s_mov_b32 s12, 0
	s_and_saveexec_b32 s40, s29
	s_xor_b32 s29, exec_lo, s40
	s_cbranch_execz .LBB2_3857
; %bb.3717:                             ;   in Loop: Header=BB2_3529 Depth=2
	v_cmp_eq_u16_sdwa s41, v55, v85 src0_sel:BYTE_0 src1_sel:DWORD
	s_mov_b32 s12, -1
	s_and_saveexec_b32 s40, s41
; %bb.3718:                             ;   in Loop: Header=BB2_3529 Depth=2
	s_xor_b32 s12, exec_lo, -1
; %bb.3719:                             ;   in Loop: Header=BB2_3529 Depth=2
	s_or_b32 exec_lo, exec_lo, s40
	s_and_b32 s12, s12, exec_lo
	s_or_saveexec_b32 s29, s29
	v_mov_b32_e32 v102, 0x7f800001
	s_xor_b32 exec_lo, exec_lo, s29
	s_cbranch_execnz .LBB2_3858
.LBB2_3720:                             ;   in Loop: Header=BB2_3529 Depth=2
	s_or_b32 exec_lo, exec_lo, s29
	s_and_saveexec_b32 s29, s12
	s_cbranch_execz .LBB2_3722
.LBB2_3721:                             ;   in Loop: Header=BB2_3529 Depth=2
	v_and_b32_e32 v102, 3, v55
	v_lshrrev_b16 v112, 2, v55
	v_lshlrev_b32_e32 v114, 24, v55
	v_ffbh_u32_e32 v103, v102
	v_and_b32_e32 v112, 31, v112
	v_min_u32_e32 v103, 32, v103
	v_cmp_eq_u32_e32 vcc_lo, 0, v112
	v_subrev_nc_u32_e32 v113, 29, v103
	v_sub_nc_u32_e32 v103, 30, v103
	v_lshlrev_b32_e32 v113, v113, v55
	v_cndmask_b32_e32 v103, v112, v103, vcc_lo
	v_and_b32_e32 v112, 0x80000000, v114
	v_and_b32_e32 v113, 3, v113
	v_lshl_add_u32 v103, v103, 23, 0x37800000
	v_cndmask_b32_e32 v102, v102, v113, vcc_lo
	v_lshlrev_b32_e32 v102, 21, v102
	v_or3_b32 v102, v112, v103, v102
.LBB2_3722:                             ;   in Loop: Header=BB2_3529 Depth=2
	s_or_b32 exec_lo, exec_lo, s29
	v_max_f32_e32 v102, v102, v102
	v_max_f32_e32 v100, v100, v100
	s_mov_b32 s12, 0
	v_max_f32_e32 v100, v100, v102
.LBB2_3723:                             ;   in Loop: Header=BB2_3529 Depth=2
	s_and_b32 vcc_lo, exec_lo, s12
	s_cbranch_vccz .LBB2_3737
; %bb.3724:                             ;   in Loop: Header=BB2_3529 Depth=2
	v_cmp_gt_i16_sdwa s29, v64, v84 src0_sel:BYTE_0 src1_sel:DWORD
	s_mov_b32 s12, 0
	s_and_saveexec_b32 s40, s29
	s_xor_b32 s29, exec_lo, s40
	s_cbranch_execz .LBB2_3859
; %bb.3725:                             ;   in Loop: Header=BB2_3529 Depth=2
	v_cmp_eq_u16_sdwa s41, v64, v85 src0_sel:BYTE_0 src1_sel:DWORD
	s_mov_b32 s12, -1
	s_and_saveexec_b32 s40, s41
; %bb.3726:                             ;   in Loop: Header=BB2_3529 Depth=2
	s_xor_b32 s12, exec_lo, -1
; %bb.3727:                             ;   in Loop: Header=BB2_3529 Depth=2
	s_or_b32 exec_lo, exec_lo, s40
	s_and_b32 s12, s12, exec_lo
	s_or_saveexec_b32 s29, s29
	v_mov_b32_e32 v100, 0x7f800001
	s_xor_b32 exec_lo, exec_lo, s29
	s_cbranch_execnz .LBB2_3860
.LBB2_3728:                             ;   in Loop: Header=BB2_3529 Depth=2
	s_or_b32 exec_lo, exec_lo, s29
	s_and_saveexec_b32 s29, s12
	s_cbranch_execz .LBB2_3730
.LBB2_3729:                             ;   in Loop: Header=BB2_3529 Depth=2
	v_and_b32_e32 v100, 3, v64
	v_lshrrev_b16 v103, 2, v64
	v_ffbh_u32_e32 v102, v100
	v_and_b32_e32 v103, 31, v103
	v_min_u32_e32 v102, 32, v102
	v_cmp_eq_u32_e32 vcc_lo, 0, v103
	v_subrev_nc_u32_e32 v112, 29, v102
	v_sub_nc_u32_e32 v102, 30, v102
	v_lshlrev_b32_e32 v112, v112, v64
	v_lshlrev_b32_e32 v64, 24, v64
	v_cndmask_b32_e32 v102, v103, v102, vcc_lo
	v_and_b32_e32 v112, 3, v112
	v_and_b32_e32 v64, 0x80000000, v64
	v_lshl_add_u32 v102, v102, 23, 0x37800000
	v_cndmask_b32_e32 v100, v100, v112, vcc_lo
	v_lshlrev_b32_e32 v100, 21, v100
	v_or3_b32 v100, v64, v102, v100
.LBB2_3730:                             ;   in Loop: Header=BB2_3529 Depth=2
	s_or_b32 exec_lo, exec_lo, s29
	s_waitcnt vmcnt(2) lgkmcnt(2)
	v_cmp_gt_i16_sdwa s29, v55, v84 src0_sel:BYTE_0 src1_sel:DWORD
	s_mov_b32 s12, 0
	s_and_saveexec_b32 s40, s29
	s_xor_b32 s29, exec_lo, s40
	s_cbranch_execz .LBB2_3861
; %bb.3731:                             ;   in Loop: Header=BB2_3529 Depth=2
	v_cmp_eq_u16_sdwa s41, v55, v85 src0_sel:BYTE_0 src1_sel:DWORD
	s_mov_b32 s12, -1
	s_and_saveexec_b32 s40, s41
; %bb.3732:                             ;   in Loop: Header=BB2_3529 Depth=2
	s_xor_b32 s12, exec_lo, -1
; %bb.3733:                             ;   in Loop: Header=BB2_3529 Depth=2
	s_or_b32 exec_lo, exec_lo, s40
	s_and_b32 s12, s12, exec_lo
	s_or_saveexec_b32 s29, s29
	v_mov_b32_e32 v64, 0x7f800001
	s_xor_b32 exec_lo, exec_lo, s29
	s_cbranch_execnz .LBB2_3862
.LBB2_3734:                             ;   in Loop: Header=BB2_3529 Depth=2
	s_or_b32 exec_lo, exec_lo, s29
	s_and_saveexec_b32 s29, s12
	s_cbranch_execz .LBB2_3736
.LBB2_3735:                             ;   in Loop: Header=BB2_3529 Depth=2
	v_and_b32_e32 v64, 3, v55
	v_lshrrev_b16 v103, 2, v55
	v_ffbh_u32_e32 v102, v64
	v_and_b32_e32 v103, 31, v103
	v_min_u32_e32 v102, 32, v102
	v_cmp_eq_u32_e32 vcc_lo, 0, v103
	v_subrev_nc_u32_e32 v112, 29, v102
	v_sub_nc_u32_e32 v102, 30, v102
	v_lshlrev_b32_e32 v112, v112, v55
	v_lshlrev_b32_e32 v55, 24, v55
	v_cndmask_b32_e32 v102, v103, v102, vcc_lo
	v_and_b32_e32 v112, 3, v112
	v_and_b32_e32 v55, 0x80000000, v55
	v_lshl_add_u32 v102, v102, 23, 0x37800000
	v_cndmask_b32_e32 v64, v64, v112, vcc_lo
	v_lshlrev_b32_e32 v64, 21, v64
	v_or3_b32 v64, v55, v102, v64
.LBB2_3736:                             ;   in Loop: Header=BB2_3529 Depth=2
	s_or_b32 exec_lo, exec_lo, s29
	v_max_f32_e32 v55, v64, v64
	v_max_f32_e32 v64, v100, v100
	v_min_f32_e32 v100, v64, v55
.LBB2_3737:                             ;   in Loop: Header=BB2_3529 Depth=2
	s_waitcnt vmcnt(2) lgkmcnt(2)
	v_and_b32_e32 v55, 0x7f800000, v100
	v_cmp_ne_u32_e32 vcc_lo, 0x7f800000, v55
	v_mov_b32_e32 v55, 0x80
	s_and_saveexec_b32 s29, vcc_lo
	s_cbranch_execz .LBB2_3745
; %bb.3738:                             ;   in Loop: Header=BB2_3529 Depth=2
	v_mov_b32_e32 v55, 0
	s_mov_b32 s40, exec_lo
	v_cmpx_ne_u32_e32 0, v100
	s_cbranch_execz .LBB2_3744
; %bb.3739:                             ;   in Loop: Header=BB2_3529 Depth=2
	v_bfe_u32 v55, v100, 23, 8
	v_and_b32_e32 v64, 0x7fffff, v100
	v_sub_nc_u32_e32 v102, 0x70, v55
	v_cmp_gt_u32_e32 vcc_lo, 0x71, v55
	v_or_b32_e32 v103, 0x800000, v64
	v_cndmask_b32_e32 v102, 0, v102, vcc_lo
	v_cmp_eq_u32_e32 vcc_lo, 0, v55
	v_add_nc_u32_e32 v55, 0xffffff91, v55
	v_cndmask_b32_e64 v102, v102, 0x6f, vcc_lo
	v_cndmask_b32_e32 v64, v103, v64, vcc_lo
	v_cndmask_b32_e64 v55, v55, 0xffffff92, vcc_lo
	v_lshl_add_u32 v103, 0x200000, v102, -1
	v_lshrrev_b32_e32 v112, v102, v64
	v_lshlrev_b32_e64 v114, v102, 0x100000
	v_add_nc_u32_e32 v102, v102, v55
	v_and_b32_e32 v64, v103, v64
	v_bfe_u32 v113, v112, 21, 1
	v_cmp_eq_u32_e64 s12, v64, v114
	v_add_nc_u32_e32 v103, -1, v113
	v_cndmask_b32_e64 v64, 0, v103, s12
	v_lshrrev_b32_e32 v103, 23, v112
	s_mov_b32 s12, exec_lo
	v_add_nc_u32_e32 v64, v64, v112
	v_xor_b32_e32 v103, 1, v103
	v_and_b32_e32 v55, 0x1fffff, v64
	v_add_nc_u32_e32 v64, v55, v112
                                        ; implicit-def: $vgpr55
	v_cmpx_ne_u32_e64 v102, v103
	s_xor_b32 s12, exec_lo, s12
; %bb.3740:                             ;   in Loop: Header=BB2_3529 Depth=2
	v_cmp_lt_u32_e32 vcc_lo, 0xffffff, v64
	v_sub_nc_u32_e32 v55, v102, v103
	v_cndmask_b32_e64 v102, 0, 1, vcc_lo
	v_add_co_ci_u32_e64 v55, null, 0, v55, vcc_lo
	v_lshrrev_b32_e32 v64, v102, v64
; %bb.3741:                             ;   in Loop: Header=BB2_3529 Depth=2
	s_andn2_saveexec_b32 s12, s12
; %bb.3742:                             ;   in Loop: Header=BB2_3529 Depth=2
	v_bfe_u32 v55, v64, 23, 1
; %bb.3743:                             ;   in Loop: Header=BB2_3529 Depth=2
	s_or_b32 exec_lo, exec_lo, s12
	v_lshrrev_b32_e32 v64, 21, v64
	v_cmp_gt_i32_e32 vcc_lo, 32, v55
	v_min_i32_e32 v102, 31, v55
	v_and_b32_sdwa v100, v100, v85 dst_sel:DWORD dst_unused:UNUSED_PAD src0_sel:BYTE_3 src1_sel:DWORD
	v_cndmask_b32_e32 v64, 3, v64, vcc_lo
	v_lshlrev_b32_e32 v102, 2, v102
	v_and_b32_e32 v103, 3, v64
	v_or_b32_e32 v55, v55, v64
	v_or3_b32 v64, v102, v100, v103
	v_cmp_ne_u32_e32 vcc_lo, 0, v55
	v_cndmask_b32_e32 v55, 0, v64, vcc_lo
.LBB2_3744:                             ;   in Loop: Header=BB2_3529 Depth=2
	s_or_b32 exec_lo, exec_lo, s40
.LBB2_3745:                             ;   in Loop: Header=BB2_3529 Depth=2
	s_or_b32 exec_lo, exec_lo, s29
	v_cmp_gt_i16_sdwa s29, v53, v84 src0_sel:BYTE_0 src1_sel:DWORD
	s_andn2_b32 vcc_lo, exec_lo, s27
	s_mov_b32 s12, -1
                                        ; implicit-def: $vgpr64
	s_cbranch_vccnz .LBB2_3759
; %bb.3746:                             ;   in Loop: Header=BB2_3529 Depth=2
	s_mov_b32 s12, 0
	s_and_saveexec_b32 s40, s29
	s_xor_b32 s29, exec_lo, s40
	s_cbranch_execz .LBB2_3863
; %bb.3747:                             ;   in Loop: Header=BB2_3529 Depth=2
	v_cmp_eq_u16_sdwa s41, v53, v85 src0_sel:BYTE_0 src1_sel:DWORD
	s_mov_b32 s12, -1
	s_and_saveexec_b32 s40, s41
; %bb.3748:                             ;   in Loop: Header=BB2_3529 Depth=2
	s_xor_b32 s12, exec_lo, -1
; %bb.3749:                             ;   in Loop: Header=BB2_3529 Depth=2
	s_or_b32 exec_lo, exec_lo, s40
	s_and_b32 s12, s12, exec_lo
	s_or_saveexec_b32 s29, s29
	v_mov_b32_e32 v64, 0x7f800001
	s_xor_b32 exec_lo, exec_lo, s29
	s_cbranch_execnz .LBB2_3864
.LBB2_3750:                             ;   in Loop: Header=BB2_3529 Depth=2
	s_or_b32 exec_lo, exec_lo, s29
	s_and_saveexec_b32 s29, s12
	s_cbranch_execz .LBB2_3752
.LBB2_3751:                             ;   in Loop: Header=BB2_3529 Depth=2
	v_and_b32_e32 v64, 3, v53
	v_lshrrev_b16 v102, 2, v53
	v_lshlrev_b32_e32 v112, 24, v53
	v_ffbh_u32_e32 v100, v64
	v_and_b32_e32 v102, 31, v102
	v_min_u32_e32 v100, 32, v100
	v_cmp_eq_u32_e32 vcc_lo, 0, v102
	v_subrev_nc_u32_e32 v103, 29, v100
	v_sub_nc_u32_e32 v100, 30, v100
	v_lshlrev_b32_e32 v103, v103, v53
	v_cndmask_b32_e32 v100, v102, v100, vcc_lo
	v_and_b32_e32 v102, 0x80000000, v112
	v_and_b32_e32 v103, 3, v103
	v_lshl_add_u32 v100, v100, 23, 0x37800000
	v_cndmask_b32_e32 v64, v64, v103, vcc_lo
	v_lshlrev_b32_e32 v64, 21, v64
	v_or3_b32 v64, v102, v100, v64
.LBB2_3752:                             ;   in Loop: Header=BB2_3529 Depth=2
	s_or_b32 exec_lo, exec_lo, s29
	s_waitcnt vmcnt(1) lgkmcnt(1)
	v_cmp_gt_i16_sdwa s29, v51, v84 src0_sel:BYTE_0 src1_sel:DWORD
	s_mov_b32 s12, 0
	s_and_saveexec_b32 s40, s29
	s_xor_b32 s29, exec_lo, s40
	s_cbranch_execz .LBB2_3865
; %bb.3753:                             ;   in Loop: Header=BB2_3529 Depth=2
	v_cmp_eq_u16_sdwa s41, v51, v85 src0_sel:BYTE_0 src1_sel:DWORD
	s_mov_b32 s12, -1
	s_and_saveexec_b32 s40, s41
; %bb.3754:                             ;   in Loop: Header=BB2_3529 Depth=2
	s_xor_b32 s12, exec_lo, -1
; %bb.3755:                             ;   in Loop: Header=BB2_3529 Depth=2
	s_or_b32 exec_lo, exec_lo, s40
	s_and_b32 s12, s12, exec_lo
	s_or_saveexec_b32 s29, s29
	v_mov_b32_e32 v100, 0x7f800001
	s_xor_b32 exec_lo, exec_lo, s29
	s_cbranch_execnz .LBB2_3866
.LBB2_3756:                             ;   in Loop: Header=BB2_3529 Depth=2
	s_or_b32 exec_lo, exec_lo, s29
	s_and_saveexec_b32 s29, s12
	s_cbranch_execz .LBB2_3758
.LBB2_3757:                             ;   in Loop: Header=BB2_3529 Depth=2
	v_and_b32_e32 v100, 3, v51
	v_lshrrev_b16 v103, 2, v51
	v_lshlrev_b32_e32 v113, 24, v51
	v_ffbh_u32_e32 v102, v100
	v_and_b32_e32 v103, 31, v103
	v_min_u32_e32 v102, 32, v102
	v_cmp_eq_u32_e32 vcc_lo, 0, v103
	v_subrev_nc_u32_e32 v112, 29, v102
	v_sub_nc_u32_e32 v102, 30, v102
	v_lshlrev_b32_e32 v112, v112, v51
	v_cndmask_b32_e32 v102, v103, v102, vcc_lo
	v_and_b32_e32 v103, 0x80000000, v113
	v_and_b32_e32 v112, 3, v112
	v_lshl_add_u32 v102, v102, 23, 0x37800000
	v_cndmask_b32_e32 v100, v100, v112, vcc_lo
	v_lshlrev_b32_e32 v100, 21, v100
	v_or3_b32 v100, v103, v102, v100
.LBB2_3758:                             ;   in Loop: Header=BB2_3529 Depth=2
	s_or_b32 exec_lo, exec_lo, s29
	v_max_f32_e32 v100, v100, v100
	v_max_f32_e32 v64, v64, v64
	s_mov_b32 s12, 0
	v_max_f32_e32 v64, v64, v100
.LBB2_3759:                             ;   in Loop: Header=BB2_3529 Depth=2
	s_and_b32 vcc_lo, exec_lo, s12
	s_cbranch_vccz .LBB2_3773
; %bb.3760:                             ;   in Loop: Header=BB2_3529 Depth=2
	v_cmp_gt_i16_sdwa s29, v53, v84 src0_sel:BYTE_0 src1_sel:DWORD
	s_mov_b32 s12, 0
	s_and_saveexec_b32 s40, s29
	s_xor_b32 s29, exec_lo, s40
	s_cbranch_execz .LBB2_3867
; %bb.3761:                             ;   in Loop: Header=BB2_3529 Depth=2
	v_cmp_eq_u16_sdwa s41, v53, v85 src0_sel:BYTE_0 src1_sel:DWORD
	s_mov_b32 s12, -1
	s_and_saveexec_b32 s40, s41
; %bb.3762:                             ;   in Loop: Header=BB2_3529 Depth=2
	s_xor_b32 s12, exec_lo, -1
; %bb.3763:                             ;   in Loop: Header=BB2_3529 Depth=2
	s_or_b32 exec_lo, exec_lo, s40
	s_and_b32 s12, s12, exec_lo
	s_or_saveexec_b32 s29, s29
	v_mov_b32_e32 v64, 0x7f800001
	s_xor_b32 exec_lo, exec_lo, s29
	s_cbranch_execnz .LBB2_3868
.LBB2_3764:                             ;   in Loop: Header=BB2_3529 Depth=2
	s_or_b32 exec_lo, exec_lo, s29
	s_and_saveexec_b32 s29, s12
	s_cbranch_execz .LBB2_3766
.LBB2_3765:                             ;   in Loop: Header=BB2_3529 Depth=2
	v_and_b32_e32 v64, 3, v53
	v_lshrrev_b16 v102, 2, v53
	v_ffbh_u32_e32 v100, v64
	v_and_b32_e32 v102, 31, v102
	v_min_u32_e32 v100, 32, v100
	v_cmp_eq_u32_e32 vcc_lo, 0, v102
	v_subrev_nc_u32_e32 v103, 29, v100
	v_sub_nc_u32_e32 v100, 30, v100
	v_lshlrev_b32_e32 v103, v103, v53
	v_lshlrev_b32_e32 v53, 24, v53
	v_cndmask_b32_e32 v100, v102, v100, vcc_lo
	v_and_b32_e32 v103, 3, v103
	v_and_b32_e32 v53, 0x80000000, v53
	v_lshl_add_u32 v100, v100, 23, 0x37800000
	v_cndmask_b32_e32 v64, v64, v103, vcc_lo
	v_lshlrev_b32_e32 v64, 21, v64
	v_or3_b32 v64, v53, v100, v64
.LBB2_3766:                             ;   in Loop: Header=BB2_3529 Depth=2
	s_or_b32 exec_lo, exec_lo, s29
	s_waitcnt vmcnt(1) lgkmcnt(1)
	v_cmp_gt_i16_sdwa s29, v51, v84 src0_sel:BYTE_0 src1_sel:DWORD
	s_mov_b32 s12, 0
	s_and_saveexec_b32 s40, s29
	s_xor_b32 s29, exec_lo, s40
	s_cbranch_execz .LBB2_3869
; %bb.3767:                             ;   in Loop: Header=BB2_3529 Depth=2
	v_cmp_eq_u16_sdwa s41, v51, v85 src0_sel:BYTE_0 src1_sel:DWORD
	s_mov_b32 s12, -1
	s_and_saveexec_b32 s40, s41
; %bb.3768:                             ;   in Loop: Header=BB2_3529 Depth=2
	s_xor_b32 s12, exec_lo, -1
; %bb.3769:                             ;   in Loop: Header=BB2_3529 Depth=2
	s_or_b32 exec_lo, exec_lo, s40
	s_and_b32 s12, s12, exec_lo
	s_or_saveexec_b32 s29, s29
	v_mov_b32_e32 v53, 0x7f800001
	s_xor_b32 exec_lo, exec_lo, s29
	s_cbranch_execnz .LBB2_3870
.LBB2_3770:                             ;   in Loop: Header=BB2_3529 Depth=2
	s_or_b32 exec_lo, exec_lo, s29
	s_and_saveexec_b32 s29, s12
	s_cbranch_execz .LBB2_3772
.LBB2_3771:                             ;   in Loop: Header=BB2_3529 Depth=2
	v_and_b32_e32 v53, 3, v51
	v_lshrrev_b16 v102, 2, v51
	v_ffbh_u32_e32 v100, v53
	v_and_b32_e32 v102, 31, v102
	v_min_u32_e32 v100, 32, v100
	v_cmp_eq_u32_e32 vcc_lo, 0, v102
	v_subrev_nc_u32_e32 v103, 29, v100
	v_sub_nc_u32_e32 v100, 30, v100
	v_lshlrev_b32_e32 v103, v103, v51
	v_lshlrev_b32_e32 v51, 24, v51
	v_cndmask_b32_e32 v100, v102, v100, vcc_lo
	v_and_b32_e32 v103, 3, v103
	v_and_b32_e32 v51, 0x80000000, v51
	v_lshl_add_u32 v100, v100, 23, 0x37800000
	v_cndmask_b32_e32 v53, v53, v103, vcc_lo
	v_lshlrev_b32_e32 v53, 21, v53
	v_or3_b32 v53, v51, v100, v53
.LBB2_3772:                             ;   in Loop: Header=BB2_3529 Depth=2
	s_or_b32 exec_lo, exec_lo, s29
	v_max_f32_e32 v51, v53, v53
	v_max_f32_e32 v53, v64, v64
	v_min_f32_e32 v64, v53, v51
.LBB2_3773:                             ;   in Loop: Header=BB2_3529 Depth=2
	s_waitcnt vmcnt(1) lgkmcnt(1)
	v_and_b32_e32 v51, 0x7f800000, v64
	v_cmp_ne_u32_e32 vcc_lo, 0x7f800000, v51
	v_mov_b32_e32 v51, 0x80
	s_and_saveexec_b32 s29, vcc_lo
	s_cbranch_execz .LBB2_3781
; %bb.3774:                             ;   in Loop: Header=BB2_3529 Depth=2
	v_mov_b32_e32 v51, 0
	s_mov_b32 s40, exec_lo
	v_cmpx_ne_u32_e32 0, v64
	s_cbranch_execz .LBB2_3780
; %bb.3775:                             ;   in Loop: Header=BB2_3529 Depth=2
	v_bfe_u32 v51, v64, 23, 8
	v_and_b32_e32 v53, 0x7fffff, v64
	v_sub_nc_u32_e32 v100, 0x70, v51
	v_cmp_gt_u32_e32 vcc_lo, 0x71, v51
	v_or_b32_e32 v102, 0x800000, v53
	v_cndmask_b32_e32 v100, 0, v100, vcc_lo
	v_cmp_eq_u32_e32 vcc_lo, 0, v51
	v_add_nc_u32_e32 v51, 0xffffff91, v51
	v_cndmask_b32_e64 v100, v100, 0x6f, vcc_lo
	v_cndmask_b32_e32 v53, v102, v53, vcc_lo
	v_cndmask_b32_e64 v51, v51, 0xffffff92, vcc_lo
	v_lshl_add_u32 v102, 0x200000, v100, -1
	v_lshrrev_b32_e32 v103, v100, v53
	v_lshlrev_b32_e64 v113, v100, 0x100000
	v_add_nc_u32_e32 v100, v100, v51
	v_and_b32_e32 v53, v102, v53
	v_bfe_u32 v112, v103, 21, 1
	v_cmp_eq_u32_e64 s12, v53, v113
	v_add_nc_u32_e32 v102, -1, v112
	v_cndmask_b32_e64 v53, 0, v102, s12
	v_lshrrev_b32_e32 v102, 23, v103
	s_mov_b32 s12, exec_lo
	v_add_nc_u32_e32 v53, v53, v103
	v_xor_b32_e32 v102, 1, v102
	v_and_b32_e32 v51, 0x1fffff, v53
	v_add_nc_u32_e32 v53, v51, v103
                                        ; implicit-def: $vgpr51
	v_cmpx_ne_u32_e64 v100, v102
	s_xor_b32 s12, exec_lo, s12
; %bb.3776:                             ;   in Loop: Header=BB2_3529 Depth=2
	v_cmp_lt_u32_e32 vcc_lo, 0xffffff, v53
	v_sub_nc_u32_e32 v51, v100, v102
	v_cndmask_b32_e64 v100, 0, 1, vcc_lo
	v_add_co_ci_u32_e64 v51, null, 0, v51, vcc_lo
	v_lshrrev_b32_e32 v53, v100, v53
; %bb.3777:                             ;   in Loop: Header=BB2_3529 Depth=2
	s_andn2_saveexec_b32 s12, s12
; %bb.3778:                             ;   in Loop: Header=BB2_3529 Depth=2
	v_bfe_u32 v51, v53, 23, 1
; %bb.3779:                             ;   in Loop: Header=BB2_3529 Depth=2
	s_or_b32 exec_lo, exec_lo, s12
	v_lshrrev_b32_e32 v53, 21, v53
	v_cmp_gt_i32_e32 vcc_lo, 32, v51
	v_min_i32_e32 v100, 31, v51
	v_and_b32_sdwa v64, v64, v85 dst_sel:DWORD dst_unused:UNUSED_PAD src0_sel:BYTE_3 src1_sel:DWORD
	v_cndmask_b32_e32 v53, 3, v53, vcc_lo
	v_lshlrev_b32_e32 v100, 2, v100
	v_and_b32_e32 v102, 3, v53
	v_or_b32_e32 v51, v51, v53
	v_or3_b32 v53, v100, v64, v102
	v_cmp_ne_u32_e32 vcc_lo, 0, v51
	v_cndmask_b32_e32 v51, 0, v53, vcc_lo
.LBB2_3780:                             ;   in Loop: Header=BB2_3529 Depth=2
	s_or_b32 exec_lo, exec_lo, s40
.LBB2_3781:                             ;   in Loop: Header=BB2_3529 Depth=2
	s_or_b32 exec_lo, exec_lo, s29
	v_cmp_gt_i16_sdwa s29, v49, v84 src0_sel:BYTE_0 src1_sel:DWORD
	s_andn2_b32 vcc_lo, exec_lo, s27
	s_mov_b32 s12, -1
                                        ; implicit-def: $vgpr53
	s_cbranch_vccnz .LBB2_3795
; %bb.3782:                             ;   in Loop: Header=BB2_3529 Depth=2
	s_mov_b32 s12, 0
	s_and_saveexec_b32 s40, s29
	s_xor_b32 s29, exec_lo, s40
	s_cbranch_execz .LBB2_3871
; %bb.3783:                             ;   in Loop: Header=BB2_3529 Depth=2
	v_cmp_eq_u16_sdwa s41, v49, v85 src0_sel:BYTE_0 src1_sel:DWORD
	s_mov_b32 s12, -1
	s_and_saveexec_b32 s40, s41
; %bb.3784:                             ;   in Loop: Header=BB2_3529 Depth=2
	s_xor_b32 s12, exec_lo, -1
; %bb.3785:                             ;   in Loop: Header=BB2_3529 Depth=2
	s_or_b32 exec_lo, exec_lo, s40
	s_and_b32 s12, s12, exec_lo
	s_or_saveexec_b32 s29, s29
	v_mov_b32_e32 v53, 0x7f800001
	s_xor_b32 exec_lo, exec_lo, s29
	s_cbranch_execnz .LBB2_3872
.LBB2_3786:                             ;   in Loop: Header=BB2_3529 Depth=2
	s_or_b32 exec_lo, exec_lo, s29
	s_and_saveexec_b32 s29, s12
	s_cbranch_execz .LBB2_3788
.LBB2_3787:                             ;   in Loop: Header=BB2_3529 Depth=2
	v_and_b32_e32 v53, 3, v49
	v_lshrrev_b16 v100, 2, v49
	v_lshlrev_b32_e32 v103, 24, v49
	v_ffbh_u32_e32 v64, v53
	v_and_b32_e32 v100, 31, v100
	v_min_u32_e32 v64, 32, v64
	v_cmp_eq_u32_e32 vcc_lo, 0, v100
	v_subrev_nc_u32_e32 v102, 29, v64
	v_sub_nc_u32_e32 v64, 30, v64
	v_lshlrev_b32_e32 v102, v102, v49
	v_cndmask_b32_e32 v64, v100, v64, vcc_lo
	v_and_b32_e32 v100, 0x80000000, v103
	v_and_b32_e32 v102, 3, v102
	v_lshl_add_u32 v64, v64, 23, 0x37800000
	v_cndmask_b32_e32 v53, v53, v102, vcc_lo
	v_lshlrev_b32_e32 v53, 21, v53
	v_or3_b32 v53, v100, v64, v53
.LBB2_3788:                             ;   in Loop: Header=BB2_3529 Depth=2
	s_or_b32 exec_lo, exec_lo, s29
	s_waitcnt vmcnt(0) lgkmcnt(0)
	v_cmp_gt_i16_sdwa s29, v48, v84 src0_sel:BYTE_0 src1_sel:DWORD
	s_mov_b32 s12, 0
	s_and_saveexec_b32 s40, s29
	s_xor_b32 s29, exec_lo, s40
	s_cbranch_execz .LBB2_3873
; %bb.3789:                             ;   in Loop: Header=BB2_3529 Depth=2
	v_cmp_eq_u16_sdwa s41, v48, v85 src0_sel:BYTE_0 src1_sel:DWORD
	s_mov_b32 s12, -1
	s_and_saveexec_b32 s40, s41
; %bb.3790:                             ;   in Loop: Header=BB2_3529 Depth=2
	s_xor_b32 s12, exec_lo, -1
; %bb.3791:                             ;   in Loop: Header=BB2_3529 Depth=2
	s_or_b32 exec_lo, exec_lo, s40
	s_and_b32 s12, s12, exec_lo
	s_or_saveexec_b32 s29, s29
	v_mov_b32_e32 v64, 0x7f800001
	s_xor_b32 exec_lo, exec_lo, s29
	s_cbranch_execnz .LBB2_3874
.LBB2_3792:                             ;   in Loop: Header=BB2_3529 Depth=2
	s_or_b32 exec_lo, exec_lo, s29
	s_and_saveexec_b32 s29, s12
	s_cbranch_execz .LBB2_3794
.LBB2_3793:                             ;   in Loop: Header=BB2_3529 Depth=2
	v_and_b32_e32 v64, 3, v48
	v_lshrrev_b16 v102, 2, v48
	v_lshlrev_b32_e32 v112, 24, v48
	v_ffbh_u32_e32 v100, v64
	v_and_b32_e32 v102, 31, v102
	v_min_u32_e32 v100, 32, v100
	v_cmp_eq_u32_e32 vcc_lo, 0, v102
	v_subrev_nc_u32_e32 v103, 29, v100
	v_sub_nc_u32_e32 v100, 30, v100
	v_lshlrev_b32_e32 v103, v103, v48
	v_cndmask_b32_e32 v100, v102, v100, vcc_lo
	v_and_b32_e32 v102, 0x80000000, v112
	v_and_b32_e32 v103, 3, v103
	v_lshl_add_u32 v100, v100, 23, 0x37800000
	v_cndmask_b32_e32 v64, v64, v103, vcc_lo
	v_lshlrev_b32_e32 v64, 21, v64
	v_or3_b32 v64, v102, v100, v64
.LBB2_3794:                             ;   in Loop: Header=BB2_3529 Depth=2
	s_or_b32 exec_lo, exec_lo, s29
	v_max_f32_e32 v64, v64, v64
	v_max_f32_e32 v53, v53, v53
	s_mov_b32 s12, 0
	v_max_f32_e32 v53, v53, v64
.LBB2_3795:                             ;   in Loop: Header=BB2_3529 Depth=2
	s_and_b32 vcc_lo, exec_lo, s12
	s_cbranch_vccz .LBB2_3809
; %bb.3796:                             ;   in Loop: Header=BB2_3529 Depth=2
	v_cmp_gt_i16_sdwa s29, v49, v84 src0_sel:BYTE_0 src1_sel:DWORD
	s_mov_b32 s12, 0
	s_and_saveexec_b32 s40, s29
	s_xor_b32 s29, exec_lo, s40
	s_cbranch_execz .LBB2_3875
; %bb.3797:                             ;   in Loop: Header=BB2_3529 Depth=2
	v_cmp_eq_u16_sdwa s41, v49, v85 src0_sel:BYTE_0 src1_sel:DWORD
	s_mov_b32 s12, -1
	s_and_saveexec_b32 s40, s41
; %bb.3798:                             ;   in Loop: Header=BB2_3529 Depth=2
	s_xor_b32 s12, exec_lo, -1
; %bb.3799:                             ;   in Loop: Header=BB2_3529 Depth=2
	s_or_b32 exec_lo, exec_lo, s40
	s_and_b32 s12, s12, exec_lo
	s_or_saveexec_b32 s29, s29
	v_mov_b32_e32 v53, 0x7f800001
	s_xor_b32 exec_lo, exec_lo, s29
	s_cbranch_execnz .LBB2_3876
.LBB2_3800:                             ;   in Loop: Header=BB2_3529 Depth=2
	s_or_b32 exec_lo, exec_lo, s29
	s_and_saveexec_b32 s29, s12
	s_cbranch_execz .LBB2_3802
.LBB2_3801:                             ;   in Loop: Header=BB2_3529 Depth=2
	v_and_b32_e32 v53, 3, v49
	v_lshrrev_b16 v100, 2, v49
	v_ffbh_u32_e32 v64, v53
	v_and_b32_e32 v100, 31, v100
	v_min_u32_e32 v64, 32, v64
	v_cmp_eq_u32_e32 vcc_lo, 0, v100
	v_subrev_nc_u32_e32 v102, 29, v64
	v_sub_nc_u32_e32 v64, 30, v64
	v_lshlrev_b32_e32 v102, v102, v49
	v_lshlrev_b32_e32 v49, 24, v49
	v_cndmask_b32_e32 v64, v100, v64, vcc_lo
	v_and_b32_e32 v102, 3, v102
	v_and_b32_e32 v49, 0x80000000, v49
	v_lshl_add_u32 v64, v64, 23, 0x37800000
	v_cndmask_b32_e32 v53, v53, v102, vcc_lo
	v_lshlrev_b32_e32 v53, 21, v53
	v_or3_b32 v53, v49, v64, v53
.LBB2_3802:                             ;   in Loop: Header=BB2_3529 Depth=2
	s_or_b32 exec_lo, exec_lo, s29
	s_waitcnt vmcnt(0) lgkmcnt(0)
	v_cmp_gt_i16_sdwa s29, v48, v84 src0_sel:BYTE_0 src1_sel:DWORD
	s_mov_b32 s12, 0
	s_and_saveexec_b32 s40, s29
	s_xor_b32 s29, exec_lo, s40
	s_cbranch_execz .LBB2_3877
; %bb.3803:                             ;   in Loop: Header=BB2_3529 Depth=2
	v_cmp_eq_u16_sdwa s41, v48, v85 src0_sel:BYTE_0 src1_sel:DWORD
	s_mov_b32 s12, -1
	s_and_saveexec_b32 s40, s41
; %bb.3804:                             ;   in Loop: Header=BB2_3529 Depth=2
	s_xor_b32 s12, exec_lo, -1
; %bb.3805:                             ;   in Loop: Header=BB2_3529 Depth=2
	s_or_b32 exec_lo, exec_lo, s40
	s_and_b32 s12, s12, exec_lo
	s_or_saveexec_b32 s29, s29
	v_mov_b32_e32 v49, 0x7f800001
	s_xor_b32 exec_lo, exec_lo, s29
	s_cbranch_execnz .LBB2_3878
.LBB2_3806:                             ;   in Loop: Header=BB2_3529 Depth=2
	s_or_b32 exec_lo, exec_lo, s29
	s_and_saveexec_b32 s29, s12
	s_cbranch_execz .LBB2_3808
.LBB2_3807:                             ;   in Loop: Header=BB2_3529 Depth=2
	v_and_b32_e32 v49, 3, v48
	v_lshrrev_b16 v100, 2, v48
	v_ffbh_u32_e32 v64, v49
	v_and_b32_e32 v100, 31, v100
	v_min_u32_e32 v64, 32, v64
	v_cmp_eq_u32_e32 vcc_lo, 0, v100
	v_subrev_nc_u32_e32 v102, 29, v64
	v_sub_nc_u32_e32 v64, 30, v64
	v_lshlrev_b32_e32 v102, v102, v48
	v_lshlrev_b32_e32 v48, 24, v48
	v_cndmask_b32_e32 v64, v100, v64, vcc_lo
	v_and_b32_e32 v102, 3, v102
	v_and_b32_e32 v48, 0x80000000, v48
	v_lshl_add_u32 v64, v64, 23, 0x37800000
	v_cndmask_b32_e32 v49, v49, v102, vcc_lo
	v_lshlrev_b32_e32 v49, 21, v49
	v_or3_b32 v49, v48, v64, v49
.LBB2_3808:                             ;   in Loop: Header=BB2_3529 Depth=2
	s_or_b32 exec_lo, exec_lo, s29
	v_max_f32_e32 v48, v49, v49
	v_max_f32_e32 v49, v53, v53
	v_min_f32_e32 v53, v49, v48
.LBB2_3809:                             ;   in Loop: Header=BB2_3529 Depth=2
	s_waitcnt vmcnt(0) lgkmcnt(0)
	v_and_b32_e32 v48, 0x7f800000, v53
	v_cmp_ne_u32_e32 vcc_lo, 0x7f800000, v48
	v_mov_b32_e32 v48, 0x80
	s_and_saveexec_b32 s29, vcc_lo
	s_cbranch_execz .LBB2_3528
; %bb.3810:                             ;   in Loop: Header=BB2_3529 Depth=2
	v_mov_b32_e32 v48, 0
	s_mov_b32 s40, exec_lo
	v_cmpx_ne_u32_e32 0, v53
	s_cbranch_execz .LBB2_3527
; %bb.3811:                             ;   in Loop: Header=BB2_3529 Depth=2
	v_bfe_u32 v48, v53, 23, 8
	v_and_b32_e32 v49, 0x7fffff, v53
	v_sub_nc_u32_e32 v64, 0x70, v48
	v_cmp_gt_u32_e32 vcc_lo, 0x71, v48
	v_or_b32_e32 v100, 0x800000, v49
	v_cndmask_b32_e32 v64, 0, v64, vcc_lo
	v_cmp_eq_u32_e32 vcc_lo, 0, v48
	v_add_nc_u32_e32 v48, 0xffffff91, v48
	v_cndmask_b32_e64 v64, v64, 0x6f, vcc_lo
	v_cndmask_b32_e32 v49, v100, v49, vcc_lo
	v_cndmask_b32_e64 v48, v48, 0xffffff92, vcc_lo
	v_lshl_add_u32 v100, 0x200000, v64, -1
	v_lshrrev_b32_e32 v102, v64, v49
	v_lshlrev_b32_e64 v112, v64, 0x100000
	v_add_nc_u32_e32 v64, v64, v48
	v_and_b32_e32 v49, v100, v49
	v_bfe_u32 v103, v102, 21, 1
	v_cmp_eq_u32_e64 s12, v49, v112
	v_add_nc_u32_e32 v100, -1, v103
	v_cndmask_b32_e64 v49, 0, v100, s12
	v_lshrrev_b32_e32 v100, 23, v102
	s_mov_b32 s12, exec_lo
	v_add_nc_u32_e32 v49, v49, v102
	v_xor_b32_e32 v100, 1, v100
	v_and_b32_e32 v48, 0x1fffff, v49
	v_add_nc_u32_e32 v49, v48, v102
                                        ; implicit-def: $vgpr48
	v_cmpx_ne_u32_e64 v64, v100
	s_xor_b32 s12, exec_lo, s12
; %bb.3812:                             ;   in Loop: Header=BB2_3529 Depth=2
	v_cmp_lt_u32_e32 vcc_lo, 0xffffff, v49
	v_sub_nc_u32_e32 v48, v64, v100
	v_cndmask_b32_e64 v64, 0, 1, vcc_lo
	v_add_co_ci_u32_e64 v48, null, 0, v48, vcc_lo
	v_lshrrev_b32_e32 v49, v64, v49
; %bb.3813:                             ;   in Loop: Header=BB2_3529 Depth=2
	s_andn2_saveexec_b32 s12, s12
	s_cbranch_execz .LBB2_3526
; %bb.3814:                             ;   in Loop: Header=BB2_3529 Depth=2
	v_bfe_u32 v48, v49, 23, 1
	s_branch .LBB2_3526
.LBB2_3815:                             ;   in Loop: Header=BB2_3529 Depth=2
	s_or_saveexec_b32 s29, s29
	v_mov_b32_e32 v114, 0x7f800001
	s_xor_b32 exec_lo, exec_lo, s29
	s_cbranch_execz .LBB2_3534
.LBB2_3816:                             ;   in Loop: Header=BB2_3529 Depth=2
	v_cmp_ne_u16_sdwa s40, v113, v35 src0_sel:BYTE_0 src1_sel:DWORD
	v_mov_b32_e32 v114, 0
	s_andn2_b32 s12, s12, exec_lo
	s_and_b32 s40, s40, exec_lo
	s_or_b32 s12, s12, s40
	s_or_b32 exec_lo, exec_lo, s29
	s_and_saveexec_b32 s29, s12
	s_cbranch_execnz .LBB2_3535
	s_branch .LBB2_3536
.LBB2_3817:                             ;   in Loop: Header=BB2_3529 Depth=2
	s_or_saveexec_b32 s29, s29
	v_mov_b32_e32 v115, 0x7f800001
	s_xor_b32 exec_lo, exec_lo, s29
	s_cbranch_execz .LBB2_3540
.LBB2_3818:                             ;   in Loop: Header=BB2_3529 Depth=2
	v_cmp_ne_u16_sdwa s40, v50, v35 src0_sel:BYTE_0 src1_sel:DWORD
	v_mov_b32_e32 v115, 0
	s_andn2_b32 s12, s12, exec_lo
	s_and_b32 s40, s40, exec_lo
	s_or_b32 s12, s12, s40
	s_or_b32 exec_lo, exec_lo, s29
	s_and_saveexec_b32 s29, s12
	s_cbranch_execnz .LBB2_3541
	s_branch .LBB2_3542
.LBB2_3819:                             ;   in Loop: Header=BB2_3529 Depth=2
	s_or_saveexec_b32 s29, s29
	v_mov_b32_e32 v114, 0x7f800001
	s_xor_b32 exec_lo, exec_lo, s29
	s_cbranch_execz .LBB2_3548
.LBB2_3820:                             ;   in Loop: Header=BB2_3529 Depth=2
	v_cmp_ne_u16_sdwa s40, v113, v35 src0_sel:BYTE_0 src1_sel:DWORD
	v_mov_b32_e32 v114, 0
	s_andn2_b32 s12, s12, exec_lo
	s_and_b32 s40, s40, exec_lo
	s_or_b32 s12, s12, s40
	s_or_b32 exec_lo, exec_lo, s29
	s_and_saveexec_b32 s29, s12
	s_cbranch_execnz .LBB2_3549
	s_branch .LBB2_3550
.LBB2_3821:                             ;   in Loop: Header=BB2_3529 Depth=2
	s_or_saveexec_b32 s29, s29
	v_mov_b32_e32 v113, 0x7f800001
	s_xor_b32 exec_lo, exec_lo, s29
	s_cbranch_execz .LBB2_3554
.LBB2_3822:                             ;   in Loop: Header=BB2_3529 Depth=2
	v_cmp_ne_u16_sdwa s40, v50, v35 src0_sel:BYTE_0 src1_sel:DWORD
	v_mov_b32_e32 v113, 0
	s_andn2_b32 s12, s12, exec_lo
	s_and_b32 s40, s40, exec_lo
	s_or_b32 s12, s12, s40
	s_or_b32 exec_lo, exec_lo, s29
	s_and_saveexec_b32 s29, s12
	s_cbranch_execnz .LBB2_3555
	s_branch .LBB2_3556
.LBB2_3823:                             ;   in Loop: Header=BB2_3529 Depth=2
	s_or_saveexec_b32 s29, s29
	v_mov_b32_e32 v113, 0x7f800001
	s_xor_b32 exec_lo, exec_lo, s29
	s_cbranch_execz .LBB2_3570
.LBB2_3824:                             ;   in Loop: Header=BB2_3529 Depth=2
	v_cmp_ne_u16_sdwa s40, v112, v35 src0_sel:BYTE_0 src1_sel:DWORD
	v_mov_b32_e32 v113, 0
	s_andn2_b32 s12, s12, exec_lo
	s_and_b32 s40, s40, exec_lo
	s_or_b32 s12, s12, s40
	s_or_b32 exec_lo, exec_lo, s29
	s_and_saveexec_b32 s29, s12
	s_cbranch_execnz .LBB2_3571
	s_branch .LBB2_3572
.LBB2_3825:                             ;   in Loop: Header=BB2_3529 Depth=2
	s_or_saveexec_b32 s29, s29
	v_mov_b32_e32 v114, 0x7f800001
	s_xor_b32 exec_lo, exec_lo, s29
	s_cbranch_execz .LBB2_3576
.LBB2_3826:                             ;   in Loop: Header=BB2_3529 Depth=2
	v_cmp_ne_u16_sdwa s40, v54, v35 src0_sel:BYTE_0 src1_sel:DWORD
	v_mov_b32_e32 v114, 0
	s_andn2_b32 s12, s12, exec_lo
	s_and_b32 s40, s40, exec_lo
	s_or_b32 s12, s12, s40
	s_or_b32 exec_lo, exec_lo, s29
	s_and_saveexec_b32 s29, s12
	s_cbranch_execnz .LBB2_3577
	s_branch .LBB2_3578
.LBB2_3827:                             ;   in Loop: Header=BB2_3529 Depth=2
	s_or_saveexec_b32 s29, s29
	v_mov_b32_e32 v113, 0x7f800001
	s_xor_b32 exec_lo, exec_lo, s29
	s_cbranch_execz .LBB2_3584
.LBB2_3828:                             ;   in Loop: Header=BB2_3529 Depth=2
	v_cmp_ne_u16_sdwa s40, v112, v35 src0_sel:BYTE_0 src1_sel:DWORD
	v_mov_b32_e32 v113, 0
	s_andn2_b32 s12, s12, exec_lo
	s_and_b32 s40, s40, exec_lo
	s_or_b32 s12, s12, s40
	s_or_b32 exec_lo, exec_lo, s29
	s_and_saveexec_b32 s29, s12
	s_cbranch_execnz .LBB2_3585
	s_branch .LBB2_3586
.LBB2_3829:                             ;   in Loop: Header=BB2_3529 Depth=2
	s_or_saveexec_b32 s29, s29
	v_mov_b32_e32 v112, 0x7f800001
	s_xor_b32 exec_lo, exec_lo, s29
	s_cbranch_execz .LBB2_3590
.LBB2_3830:                             ;   in Loop: Header=BB2_3529 Depth=2
	v_cmp_ne_u16_sdwa s40, v54, v35 src0_sel:BYTE_0 src1_sel:DWORD
	v_mov_b32_e32 v112, 0
	s_andn2_b32 s12, s12, exec_lo
	s_and_b32 s40, s40, exec_lo
	s_or_b32 s12, s12, s40
	s_or_b32 exec_lo, exec_lo, s29
	s_and_saveexec_b32 s29, s12
	s_cbranch_execnz .LBB2_3591
	s_branch .LBB2_3592
.LBB2_3831:                             ;   in Loop: Header=BB2_3529 Depth=2
	s_or_saveexec_b32 s29, s29
	v_mov_b32_e32 v112, 0x7f800001
	s_xor_b32 exec_lo, exec_lo, s29
	s_cbranch_execz .LBB2_3606
.LBB2_3832:                             ;   in Loop: Header=BB2_3529 Depth=2
	v_cmp_ne_u16_sdwa s40, v103, v35 src0_sel:BYTE_0 src1_sel:DWORD
	v_mov_b32_e32 v112, 0
	s_andn2_b32 s12, s12, exec_lo
	s_and_b32 s40, s40, exec_lo
	s_or_b32 s12, s12, s40
	s_or_b32 exec_lo, exec_lo, s29
	s_and_saveexec_b32 s29, s12
	s_cbranch_execnz .LBB2_3607
	s_branch .LBB2_3608
.LBB2_3833:                             ;   in Loop: Header=BB2_3529 Depth=2
	s_or_saveexec_b32 s29, s29
	v_mov_b32_e32 v113, 0x7f800001
	s_xor_b32 exec_lo, exec_lo, s29
	s_cbranch_execz .LBB2_3612
.LBB2_3834:                             ;   in Loop: Header=BB2_3529 Depth=2
	v_cmp_ne_u16_sdwa s40, v65, v35 src0_sel:BYTE_0 src1_sel:DWORD
	v_mov_b32_e32 v113, 0
	s_andn2_b32 s12, s12, exec_lo
	s_and_b32 s40, s40, exec_lo
	s_or_b32 s12, s12, s40
	s_or_b32 exec_lo, exec_lo, s29
	s_and_saveexec_b32 s29, s12
	s_cbranch_execnz .LBB2_3613
	s_branch .LBB2_3614
.LBB2_3835:                             ;   in Loop: Header=BB2_3529 Depth=2
	s_or_saveexec_b32 s29, s29
	v_mov_b32_e32 v112, 0x7f800001
	s_xor_b32 exec_lo, exec_lo, s29
	s_cbranch_execz .LBB2_3620
.LBB2_3836:                             ;   in Loop: Header=BB2_3529 Depth=2
	v_cmp_ne_u16_sdwa s40, v103, v35 src0_sel:BYTE_0 src1_sel:DWORD
	v_mov_b32_e32 v112, 0
	s_andn2_b32 s12, s12, exec_lo
	s_and_b32 s40, s40, exec_lo
	s_or_b32 s12, s12, s40
	s_or_b32 exec_lo, exec_lo, s29
	s_and_saveexec_b32 s29, s12
	s_cbranch_execnz .LBB2_3621
	s_branch .LBB2_3622
.LBB2_3837:                             ;   in Loop: Header=BB2_3529 Depth=2
	s_or_saveexec_b32 s29, s29
	v_mov_b32_e32 v103, 0x7f800001
	s_xor_b32 exec_lo, exec_lo, s29
	s_cbranch_execz .LBB2_3626
.LBB2_3838:                             ;   in Loop: Header=BB2_3529 Depth=2
	v_cmp_ne_u16_sdwa s40, v65, v35 src0_sel:BYTE_0 src1_sel:DWORD
	v_mov_b32_e32 v103, 0
	s_andn2_b32 s12, s12, exec_lo
	s_and_b32 s40, s40, exec_lo
	s_or_b32 s12, s12, s40
	s_or_b32 exec_lo, exec_lo, s29
	s_and_saveexec_b32 s29, s12
	s_cbranch_execnz .LBB2_3627
	s_branch .LBB2_3628
.LBB2_3839:                             ;   in Loop: Header=BB2_3529 Depth=2
	s_or_saveexec_b32 s29, s29
	v_mov_b32_e32 v103, 0x7f800001
	s_xor_b32 exec_lo, exec_lo, s29
	s_cbranch_execz .LBB2_3642
.LBB2_3840:                             ;   in Loop: Header=BB2_3529 Depth=2
	v_cmp_ne_u16_sdwa s40, v102, v35 src0_sel:BYTE_0 src1_sel:DWORD
	v_mov_b32_e32 v103, 0
	s_andn2_b32 s12, s12, exec_lo
	s_and_b32 s40, s40, exec_lo
	s_or_b32 s12, s12, s40
	s_or_b32 exec_lo, exec_lo, s29
	s_and_saveexec_b32 s29, s12
	s_cbranch_execnz .LBB2_3643
	s_branch .LBB2_3644
.LBB2_3841:                             ;   in Loop: Header=BB2_3529 Depth=2
	s_or_saveexec_b32 s29, s29
	v_mov_b32_e32 v112, 0x7f800001
	s_xor_b32 exec_lo, exec_lo, s29
	s_cbranch_execz .LBB2_3648
.LBB2_3842:                             ;   in Loop: Header=BB2_3529 Depth=2
	v_cmp_ne_u16_sdwa s40, v101, v35 src0_sel:BYTE_0 src1_sel:DWORD
	v_mov_b32_e32 v112, 0
	s_andn2_b32 s12, s12, exec_lo
	s_and_b32 s40, s40, exec_lo
	s_or_b32 s12, s12, s40
	s_or_b32 exec_lo, exec_lo, s29
	s_and_saveexec_b32 s29, s12
	s_cbranch_execnz .LBB2_3649
	s_branch .LBB2_3650
.LBB2_3843:                             ;   in Loop: Header=BB2_3529 Depth=2
	s_or_saveexec_b32 s29, s29
	v_mov_b32_e32 v103, 0x7f800001
	s_xor_b32 exec_lo, exec_lo, s29
	s_cbranch_execz .LBB2_3656
.LBB2_3844:                             ;   in Loop: Header=BB2_3529 Depth=2
	v_cmp_ne_u16_sdwa s40, v102, v35 src0_sel:BYTE_0 src1_sel:DWORD
	v_mov_b32_e32 v103, 0
	s_andn2_b32 s12, s12, exec_lo
	s_and_b32 s40, s40, exec_lo
	s_or_b32 s12, s12, s40
	s_or_b32 exec_lo, exec_lo, s29
	s_and_saveexec_b32 s29, s12
	s_cbranch_execnz .LBB2_3657
	s_branch .LBB2_3658
.LBB2_3845:                             ;   in Loop: Header=BB2_3529 Depth=2
	s_or_saveexec_b32 s29, s29
	v_mov_b32_e32 v102, 0x7f800001
	s_xor_b32 exec_lo, exec_lo, s29
	s_cbranch_execz .LBB2_3662
.LBB2_3846:                             ;   in Loop: Header=BB2_3529 Depth=2
	v_cmp_ne_u16_sdwa s40, v101, v35 src0_sel:BYTE_0 src1_sel:DWORD
	v_mov_b32_e32 v102, 0
	s_andn2_b32 s12, s12, exec_lo
	s_and_b32 s40, s40, exec_lo
	s_or_b32 s12, s12, s40
	s_or_b32 exec_lo, exec_lo, s29
	s_and_saveexec_b32 s29, s12
	s_cbranch_execnz .LBB2_3663
	s_branch .LBB2_3664
.LBB2_3847:                             ;   in Loop: Header=BB2_3529 Depth=2
	s_or_saveexec_b32 s29, s29
	v_mov_b32_e32 v102, 0x7f800001
	s_xor_b32 exec_lo, exec_lo, s29
	s_cbranch_execz .LBB2_3678
.LBB2_3848:                             ;   in Loop: Header=BB2_3529 Depth=2
	v_cmp_ne_u16_sdwa s40, v100, v35 src0_sel:BYTE_0 src1_sel:DWORD
	v_mov_b32_e32 v102, 0
	s_andn2_b32 s12, s12, exec_lo
	s_and_b32 s40, s40, exec_lo
	s_or_b32 s12, s12, s40
	s_or_b32 exec_lo, exec_lo, s29
	s_and_saveexec_b32 s29, s12
	s_cbranch_execnz .LBB2_3679
	s_branch .LBB2_3680
.LBB2_3849:                             ;   in Loop: Header=BB2_3529 Depth=2
	s_or_saveexec_b32 s29, s29
	v_mov_b32_e32 v103, 0x7f800001
	s_xor_b32 exec_lo, exec_lo, s29
	s_cbranch_execz .LBB2_3684
.LBB2_3850:                             ;   in Loop: Header=BB2_3529 Depth=2
	v_cmp_ne_u16_sdwa s40, v99, v35 src0_sel:BYTE_0 src1_sel:DWORD
	v_mov_b32_e32 v103, 0
	s_andn2_b32 s12, s12, exec_lo
	s_and_b32 s40, s40, exec_lo
	s_or_b32 s12, s12, s40
	s_or_b32 exec_lo, exec_lo, s29
	s_and_saveexec_b32 s29, s12
	s_cbranch_execnz .LBB2_3685
	s_branch .LBB2_3686
.LBB2_3851:                             ;   in Loop: Header=BB2_3529 Depth=2
	s_or_saveexec_b32 s29, s29
	v_mov_b32_e32 v102, 0x7f800001
	s_xor_b32 exec_lo, exec_lo, s29
	s_cbranch_execz .LBB2_3692
.LBB2_3852:                             ;   in Loop: Header=BB2_3529 Depth=2
	v_cmp_ne_u16_sdwa s40, v100, v35 src0_sel:BYTE_0 src1_sel:DWORD
	v_mov_b32_e32 v102, 0
	s_andn2_b32 s12, s12, exec_lo
	s_and_b32 s40, s40, exec_lo
	s_or_b32 s12, s12, s40
	s_or_b32 exec_lo, exec_lo, s29
	s_and_saveexec_b32 s29, s12
	s_cbranch_execnz .LBB2_3693
	s_branch .LBB2_3694
.LBB2_3853:                             ;   in Loop: Header=BB2_3529 Depth=2
	s_or_saveexec_b32 s29, s29
	v_mov_b32_e32 v100, 0x7f800001
	s_xor_b32 exec_lo, exec_lo, s29
	s_cbranch_execz .LBB2_3698
.LBB2_3854:                             ;   in Loop: Header=BB2_3529 Depth=2
	v_cmp_ne_u16_sdwa s40, v99, v35 src0_sel:BYTE_0 src1_sel:DWORD
	v_mov_b32_e32 v100, 0
	s_andn2_b32 s12, s12, exec_lo
	s_and_b32 s40, s40, exec_lo
	s_or_b32 s12, s12, s40
	s_or_b32 exec_lo, exec_lo, s29
	s_and_saveexec_b32 s29, s12
	s_cbranch_execnz .LBB2_3699
	s_branch .LBB2_3700
.LBB2_3855:                             ;   in Loop: Header=BB2_3529 Depth=2
	s_or_saveexec_b32 s29, s29
	v_mov_b32_e32 v100, 0x7f800001
	s_xor_b32 exec_lo, exec_lo, s29
	s_cbranch_execz .LBB2_3714
.LBB2_3856:                             ;   in Loop: Header=BB2_3529 Depth=2
	v_cmp_ne_u16_sdwa s40, v64, v35 src0_sel:BYTE_0 src1_sel:DWORD
	v_mov_b32_e32 v100, 0
	s_andn2_b32 s12, s12, exec_lo
	s_and_b32 s40, s40, exec_lo
	s_or_b32 s12, s12, s40
	s_or_b32 exec_lo, exec_lo, s29
	s_and_saveexec_b32 s29, s12
	s_cbranch_execnz .LBB2_3715
	s_branch .LBB2_3716
.LBB2_3857:                             ;   in Loop: Header=BB2_3529 Depth=2
	s_or_saveexec_b32 s29, s29
	v_mov_b32_e32 v102, 0x7f800001
	s_xor_b32 exec_lo, exec_lo, s29
	s_cbranch_execz .LBB2_3720
.LBB2_3858:                             ;   in Loop: Header=BB2_3529 Depth=2
	v_cmp_ne_u16_sdwa s40, v55, v35 src0_sel:BYTE_0 src1_sel:DWORD
	v_mov_b32_e32 v102, 0
	s_andn2_b32 s12, s12, exec_lo
	s_and_b32 s40, s40, exec_lo
	s_or_b32 s12, s12, s40
	s_or_b32 exec_lo, exec_lo, s29
	s_and_saveexec_b32 s29, s12
	s_cbranch_execnz .LBB2_3721
	s_branch .LBB2_3722
.LBB2_3859:                             ;   in Loop: Header=BB2_3529 Depth=2
	s_or_saveexec_b32 s29, s29
	v_mov_b32_e32 v100, 0x7f800001
	s_xor_b32 exec_lo, exec_lo, s29
	s_cbranch_execz .LBB2_3728
.LBB2_3860:                             ;   in Loop: Header=BB2_3529 Depth=2
	v_cmp_ne_u16_sdwa s40, v64, v35 src0_sel:BYTE_0 src1_sel:DWORD
	v_mov_b32_e32 v100, 0
	s_andn2_b32 s12, s12, exec_lo
	s_and_b32 s40, s40, exec_lo
	s_or_b32 s12, s12, s40
	s_or_b32 exec_lo, exec_lo, s29
	s_and_saveexec_b32 s29, s12
	s_cbranch_execnz .LBB2_3729
	s_branch .LBB2_3730
.LBB2_3861:                             ;   in Loop: Header=BB2_3529 Depth=2
	s_or_saveexec_b32 s29, s29
	v_mov_b32_e32 v64, 0x7f800001
	s_xor_b32 exec_lo, exec_lo, s29
	s_cbranch_execz .LBB2_3734
.LBB2_3862:                             ;   in Loop: Header=BB2_3529 Depth=2
	v_cmp_ne_u16_sdwa s40, v55, v35 src0_sel:BYTE_0 src1_sel:DWORD
	v_mov_b32_e32 v64, 0
	s_andn2_b32 s12, s12, exec_lo
	s_and_b32 s40, s40, exec_lo
	s_or_b32 s12, s12, s40
	s_or_b32 exec_lo, exec_lo, s29
	s_and_saveexec_b32 s29, s12
	s_cbranch_execnz .LBB2_3735
	s_branch .LBB2_3736
.LBB2_3863:                             ;   in Loop: Header=BB2_3529 Depth=2
	s_or_saveexec_b32 s29, s29
	v_mov_b32_e32 v64, 0x7f800001
	s_xor_b32 exec_lo, exec_lo, s29
	s_cbranch_execz .LBB2_3750
.LBB2_3864:                             ;   in Loop: Header=BB2_3529 Depth=2
	v_cmp_ne_u16_sdwa s40, v53, v35 src0_sel:BYTE_0 src1_sel:DWORD
	v_mov_b32_e32 v64, 0
	s_andn2_b32 s12, s12, exec_lo
	s_and_b32 s40, s40, exec_lo
	s_or_b32 s12, s12, s40
	s_or_b32 exec_lo, exec_lo, s29
	s_and_saveexec_b32 s29, s12
	s_cbranch_execnz .LBB2_3751
	s_branch .LBB2_3752
.LBB2_3865:                             ;   in Loop: Header=BB2_3529 Depth=2
	s_or_saveexec_b32 s29, s29
	v_mov_b32_e32 v100, 0x7f800001
	s_xor_b32 exec_lo, exec_lo, s29
	s_cbranch_execz .LBB2_3756
.LBB2_3866:                             ;   in Loop: Header=BB2_3529 Depth=2
	v_cmp_ne_u16_sdwa s40, v51, v35 src0_sel:BYTE_0 src1_sel:DWORD
	v_mov_b32_e32 v100, 0
	s_andn2_b32 s12, s12, exec_lo
	s_and_b32 s40, s40, exec_lo
	s_or_b32 s12, s12, s40
	s_or_b32 exec_lo, exec_lo, s29
	s_and_saveexec_b32 s29, s12
	s_cbranch_execnz .LBB2_3757
	s_branch .LBB2_3758
.LBB2_3867:                             ;   in Loop: Header=BB2_3529 Depth=2
	s_or_saveexec_b32 s29, s29
	v_mov_b32_e32 v64, 0x7f800001
	s_xor_b32 exec_lo, exec_lo, s29
	s_cbranch_execz .LBB2_3764
.LBB2_3868:                             ;   in Loop: Header=BB2_3529 Depth=2
	v_cmp_ne_u16_sdwa s40, v53, v35 src0_sel:BYTE_0 src1_sel:DWORD
	v_mov_b32_e32 v64, 0
	s_andn2_b32 s12, s12, exec_lo
	s_and_b32 s40, s40, exec_lo
	s_or_b32 s12, s12, s40
	s_or_b32 exec_lo, exec_lo, s29
	s_and_saveexec_b32 s29, s12
	s_cbranch_execnz .LBB2_3765
	s_branch .LBB2_3766
.LBB2_3869:                             ;   in Loop: Header=BB2_3529 Depth=2
	s_or_saveexec_b32 s29, s29
	v_mov_b32_e32 v53, 0x7f800001
	s_xor_b32 exec_lo, exec_lo, s29
	s_cbranch_execz .LBB2_3770
.LBB2_3870:                             ;   in Loop: Header=BB2_3529 Depth=2
	v_cmp_ne_u16_sdwa s40, v51, v35 src0_sel:BYTE_0 src1_sel:DWORD
	v_mov_b32_e32 v53, 0
	s_andn2_b32 s12, s12, exec_lo
	s_and_b32 s40, s40, exec_lo
	s_or_b32 s12, s12, s40
	s_or_b32 exec_lo, exec_lo, s29
	s_and_saveexec_b32 s29, s12
	s_cbranch_execnz .LBB2_3771
	s_branch .LBB2_3772
.LBB2_3871:                             ;   in Loop: Header=BB2_3529 Depth=2
	s_or_saveexec_b32 s29, s29
	v_mov_b32_e32 v53, 0x7f800001
	s_xor_b32 exec_lo, exec_lo, s29
	s_cbranch_execz .LBB2_3786
.LBB2_3872:                             ;   in Loop: Header=BB2_3529 Depth=2
	v_cmp_ne_u16_sdwa s40, v49, v35 src0_sel:BYTE_0 src1_sel:DWORD
	v_mov_b32_e32 v53, 0
	s_andn2_b32 s12, s12, exec_lo
	s_and_b32 s40, s40, exec_lo
	s_or_b32 s12, s12, s40
	s_or_b32 exec_lo, exec_lo, s29
	s_and_saveexec_b32 s29, s12
	s_cbranch_execnz .LBB2_3787
	s_branch .LBB2_3788
.LBB2_3873:                             ;   in Loop: Header=BB2_3529 Depth=2
	s_or_saveexec_b32 s29, s29
	v_mov_b32_e32 v64, 0x7f800001
	s_xor_b32 exec_lo, exec_lo, s29
	s_cbranch_execz .LBB2_3792
.LBB2_3874:                             ;   in Loop: Header=BB2_3529 Depth=2
	v_cmp_ne_u16_sdwa s40, v48, v35 src0_sel:BYTE_0 src1_sel:DWORD
	v_mov_b32_e32 v64, 0
	s_andn2_b32 s12, s12, exec_lo
	s_and_b32 s40, s40, exec_lo
	s_or_b32 s12, s12, s40
	s_or_b32 exec_lo, exec_lo, s29
	s_and_saveexec_b32 s29, s12
	s_cbranch_execnz .LBB2_3793
	s_branch .LBB2_3794
.LBB2_3875:                             ;   in Loop: Header=BB2_3529 Depth=2
	s_or_saveexec_b32 s29, s29
	v_mov_b32_e32 v53, 0x7f800001
	s_xor_b32 exec_lo, exec_lo, s29
	s_cbranch_execz .LBB2_3800
.LBB2_3876:                             ;   in Loop: Header=BB2_3529 Depth=2
	v_cmp_ne_u16_sdwa s40, v49, v35 src0_sel:BYTE_0 src1_sel:DWORD
	v_mov_b32_e32 v53, 0
	s_andn2_b32 s12, s12, exec_lo
	s_and_b32 s40, s40, exec_lo
	s_or_b32 s12, s12, s40
	s_or_b32 exec_lo, exec_lo, s29
	s_and_saveexec_b32 s29, s12
	s_cbranch_execnz .LBB2_3801
	s_branch .LBB2_3802
.LBB2_3877:                             ;   in Loop: Header=BB2_3529 Depth=2
	s_or_saveexec_b32 s29, s29
	v_mov_b32_e32 v49, 0x7f800001
	s_xor_b32 exec_lo, exec_lo, s29
	s_cbranch_execz .LBB2_3806
.LBB2_3878:                             ;   in Loop: Header=BB2_3529 Depth=2
	v_cmp_ne_u16_sdwa s40, v48, v35 src0_sel:BYTE_0 src1_sel:DWORD
	v_mov_b32_e32 v49, 0
	s_andn2_b32 s12, s12, exec_lo
	s_and_b32 s40, s40, exec_lo
	s_or_b32 s12, s12, s40
	s_or_b32 exec_lo, exec_lo, s29
	s_and_saveexec_b32 s29, s12
	s_cbranch_execnz .LBB2_3807
	s_branch .LBB2_3808
.LBB2_3879:                             ;   in Loop: Header=BB2_2033 Depth=1
	s_or_b32 exec_lo, exec_lo, s28
.LBB2_3880:                             ;   in Loop: Header=BB2_2033 Depth=1
	s_or_b32 exec_lo, exec_lo, s26
	v_and_b32_e32 v10, 0x7fffff00, v98
	v_cmp_ne_u32_e32 vcc_lo, v98, v10
	s_and_b32 exec_lo, exec_lo, vcc_lo
	s_cbranch_execz .LBB2_3928
; %bb.3881:                             ;   in Loop: Header=BB2_2033 Depth=1
	v_lshlrev_b32_e32 v11, 5, v17
	v_lshlrev_b32_e32 v12, 5, v52
	v_sub_nc_u32_e32 v11, v16, v11
	v_sub_nc_u32_e32 v11, v11, v12
	v_sub_nc_u32_sdwa v16, v98, v11 dst_sel:DWORD dst_unused:UNUSED_PAD src0_sel:BYTE_0 src1_sel:DWORD
	v_cmp_lt_i32_e32 vcc_lo, 0, v16
	s_and_b32 exec_lo, exec_lo, vcc_lo
	s_cbranch_execz .LBB2_3928
; %bb.3882:                             ;   in Loop: Header=BB2_2033 Depth=1
	s_trap 2
	ds_read_b128 v[12:15], v0
	ds_read_b64 v[48:49], v0
	v_add3_u32 v17, v10, v97, v11
	s_bitcmp1_b32 s25, 0
	s_mov_b32 s25, 0
	s_cselect_b32 s26, -1, 0
	v_ashrrev_i32_e32 v50, 31, v17
	s_waitcnt lgkmcnt(1)
	v_add_co_u32 v10, vcc_lo, v12, v17
	v_add_co_ci_u32_e64 v11, null, v13, v50, vcc_lo
	v_add_co_u32 v12, vcc_lo, v14, v17
	v_add_co_ci_u32_e64 v13, null, v15, v50, vcc_lo
	s_waitcnt lgkmcnt(0)
	v_add_co_u32 v14, vcc_lo, v48, v17
	v_add_co_ci_u32_e64 v15, null, v49, v50, vcc_lo
	s_branch .LBB2_3886
.LBB2_3883:                             ;   in Loop: Header=BB2_3886 Depth=2
	s_or_b32 exec_lo, exec_lo, s12
	v_lshrrev_b32_e32 v48, 21, v48
	v_cmp_gt_i32_e32 vcc_lo, 32, v17
	v_min_i32_e32 v49, 31, v17
	v_and_b32_sdwa v50, v50, v85 dst_sel:DWORD dst_unused:UNUSED_PAD src0_sel:BYTE_3 src1_sel:DWORD
	v_cndmask_b32_e32 v48, 3, v48, vcc_lo
	v_lshlrev_b32_e32 v49, 2, v49
	v_and_b32_e32 v51, 3, v48
	v_or_b32_e32 v17, v17, v48
	v_or3_b32 v48, v49, v50, v51
	v_cmp_ne_u32_e32 vcc_lo, 0, v17
	v_cndmask_b32_e32 v17, 0, v48, vcc_lo
.LBB2_3884:                             ;   in Loop: Header=BB2_3886 Depth=2
	s_or_b32 exec_lo, exec_lo, s28
.LBB2_3885:                             ;   in Loop: Header=BB2_3886 Depth=2
	s_or_b32 exec_lo, exec_lo, s27
	v_sub_nc_u32_e32 v16, v16, v82
	v_add_co_u32 v10, vcc_lo, v10, v82
	v_add_co_ci_u32_e64 v11, null, 0, v11, vcc_lo
	v_add_co_u32 v12, vcc_lo, v12, v82
	flat_store_byte v[14:15], v17 glc slc
	v_add_co_ci_u32_e64 v13, null, 0, v13, vcc_lo
	v_cmp_gt_i32_e32 vcc_lo, 1, v16
	v_add_co_u32 v14, s12, v14, v82
	v_add_co_ci_u32_e64 v15, null, 0, v15, s12
	s_or_b32 s25, vcc_lo, s25
	s_andn2_b32 exec_lo, exec_lo, s25
	s_cbranch_execz .LBB2_3928
.LBB2_3886:                             ;   Parent Loop BB2_2033 Depth=1
                                        ; =>  This Inner Loop Header: Depth=2
	flat_load_ubyte v48, v[12:13] slc
	flat_load_ubyte v49, v[10:11] slc
	s_mov_b32 s12, -1
	s_waitcnt vmcnt(1) lgkmcnt(1)
	v_and_b32_e32 v17, 3, v48
	v_bfe_u32 v52, v48, 2, 5
	v_lshlrev_b32_e32 v53, 24, v48
	s_waitcnt vmcnt(0) lgkmcnt(0)
	v_cmp_gt_i16_sdwa s27, v49, v84 src0_sel:BYTE_0 src1_sel:DWORD
	v_ffbh_u32_e32 v50, v17
	v_cmp_eq_u32_e32 vcc_lo, 0, v52
	v_min_u32_e32 v50, 32, v50
	v_subrev_nc_u32_e32 v51, 29, v50
	v_sub_nc_u32_e32 v50, 30, v50
	v_lshlrev_b32_e32 v51, v51, v48
	v_cndmask_b32_e32 v50, v52, v50, vcc_lo
	v_and_b32_e32 v51, 3, v51
	v_lshl_add_u32 v50, v50, 23, 0x37800000
	v_cndmask_b32_e32 v17, v17, v51, vcc_lo
	v_and_b32_e32 v51, 0x80000000, v53
	s_and_b32 vcc_lo, exec_lo, s26
	v_lshlrev_b32_e32 v17, 21, v17
	v_or3_b32 v17, v51, v50, v17
                                        ; implicit-def: $vgpr50
	s_cbranch_vccz .LBB2_3900
; %bb.3887:                             ;   in Loop: Header=BB2_3886 Depth=2
	s_mov_b32 s12, 0
	s_and_saveexec_b32 s28, s27
	s_xor_b32 s27, exec_lo, s28
	s_cbranch_execz .LBB2_3920
; %bb.3888:                             ;   in Loop: Header=BB2_3886 Depth=2
	v_cmp_eq_u16_sdwa s29, v49, v85 src0_sel:BYTE_0 src1_sel:DWORD
	s_mov_b32 s12, -1
	s_and_saveexec_b32 s28, s29
; %bb.3889:                             ;   in Loop: Header=BB2_3886 Depth=2
	s_xor_b32 s12, exec_lo, -1
; %bb.3890:                             ;   in Loop: Header=BB2_3886 Depth=2
	s_or_b32 exec_lo, exec_lo, s28
	s_and_b32 s12, s12, exec_lo
	s_or_saveexec_b32 s27, s27
	v_mov_b32_e32 v50, 0x7f800001
	s_xor_b32 exec_lo, exec_lo, s27
	s_cbranch_execnz .LBB2_3921
.LBB2_3891:                             ;   in Loop: Header=BB2_3886 Depth=2
	s_or_b32 exec_lo, exec_lo, s27
	s_and_saveexec_b32 s27, s12
	s_cbranch_execz .LBB2_3893
.LBB2_3892:                             ;   in Loop: Header=BB2_3886 Depth=2
	v_and_b32_e32 v50, 3, v49
	v_lshrrev_b16 v52, 2, v49
	v_lshlrev_b32_e32 v54, 24, v49
	v_ffbh_u32_e32 v51, v50
	v_and_b32_e32 v52, 31, v52
	v_min_u32_e32 v51, 32, v51
	v_cmp_eq_u32_e32 vcc_lo, 0, v52
	v_subrev_nc_u32_e32 v53, 29, v51
	v_sub_nc_u32_e32 v51, 30, v51
	v_lshlrev_b32_e32 v53, v53, v49
	v_cndmask_b32_e32 v51, v52, v51, vcc_lo
	v_and_b32_e32 v52, 0x80000000, v54
	v_and_b32_e32 v53, 3, v53
	v_lshl_add_u32 v51, v51, 23, 0x37800000
	v_cndmask_b32_e32 v50, v50, v53, vcc_lo
	v_lshlrev_b32_e32 v50, 21, v50
	v_or3_b32 v50, v52, v51, v50
.LBB2_3893:                             ;   in Loop: Header=BB2_3886 Depth=2
	s_or_b32 exec_lo, exec_lo, s27
	v_cmp_gt_i16_sdwa s27, v48, v84 src0_sel:BYTE_0 src1_sel:DWORD
	s_mov_b32 s12, 0
	s_and_saveexec_b32 s28, s27
	s_xor_b32 s27, exec_lo, s28
	s_cbranch_execz .LBB2_3922
; %bb.3894:                             ;   in Loop: Header=BB2_3886 Depth=2
	v_cmp_eq_u16_sdwa s29, v48, v85 src0_sel:BYTE_0 src1_sel:DWORD
	s_mov_b32 s12, -1
	s_and_saveexec_b32 s28, s29
; %bb.3895:                             ;   in Loop: Header=BB2_3886 Depth=2
	s_xor_b32 s12, exec_lo, -1
; %bb.3896:                             ;   in Loop: Header=BB2_3886 Depth=2
	s_or_b32 exec_lo, exec_lo, s28
	s_and_b32 s12, s12, exec_lo
	s_or_saveexec_b32 s27, s27
	v_mov_b32_e32 v51, 0x7f800001
	s_xor_b32 exec_lo, exec_lo, s27
	s_cbranch_execnz .LBB2_3923
.LBB2_3897:                             ;   in Loop: Header=BB2_3886 Depth=2
	s_or_b32 exec_lo, exec_lo, s27
	s_and_saveexec_b32 s27, s12
.LBB2_3898:                             ;   in Loop: Header=BB2_3886 Depth=2
	v_mov_b32_e32 v51, v17
.LBB2_3899:                             ;   in Loop: Header=BB2_3886 Depth=2
	s_or_b32 exec_lo, exec_lo, s27
	v_max_f32_e32 v51, v51, v51
	v_max_f32_e32 v50, v50, v50
	s_mov_b32 s12, 0
	v_max_f32_e32 v50, v50, v51
.LBB2_3900:                             ;   in Loop: Header=BB2_3886 Depth=2
	s_and_b32 vcc_lo, exec_lo, s12
	s_cbranch_vccz .LBB2_3914
; %bb.3901:                             ;   in Loop: Header=BB2_3886 Depth=2
	v_cmp_gt_i16_sdwa s27, v49, v84 src0_sel:BYTE_0 src1_sel:DWORD
	s_mov_b32 s12, 0
	s_and_saveexec_b32 s28, s27
	s_xor_b32 s27, exec_lo, s28
	s_cbranch_execz .LBB2_3924
; %bb.3902:                             ;   in Loop: Header=BB2_3886 Depth=2
	v_cmp_eq_u16_sdwa s29, v49, v85 src0_sel:BYTE_0 src1_sel:DWORD
	s_mov_b32 s12, -1
	s_and_saveexec_b32 s28, s29
; %bb.3903:                             ;   in Loop: Header=BB2_3886 Depth=2
	s_xor_b32 s12, exec_lo, -1
; %bb.3904:                             ;   in Loop: Header=BB2_3886 Depth=2
	s_or_b32 exec_lo, exec_lo, s28
	s_and_b32 s12, s12, exec_lo
	s_or_saveexec_b32 s27, s27
	v_mov_b32_e32 v50, 0x7f800001
	s_xor_b32 exec_lo, exec_lo, s27
	s_cbranch_execnz .LBB2_3925
.LBB2_3905:                             ;   in Loop: Header=BB2_3886 Depth=2
	s_or_b32 exec_lo, exec_lo, s27
	s_and_saveexec_b32 s27, s12
	s_cbranch_execz .LBB2_3907
.LBB2_3906:                             ;   in Loop: Header=BB2_3886 Depth=2
	v_and_b32_e32 v50, 3, v49
	v_lshrrev_b16 v52, 2, v49
	v_ffbh_u32_e32 v51, v50
	v_and_b32_e32 v52, 31, v52
	v_min_u32_e32 v51, 32, v51
	v_cmp_eq_u32_e32 vcc_lo, 0, v52
	v_subrev_nc_u32_e32 v53, 29, v51
	v_sub_nc_u32_e32 v51, 30, v51
	v_lshlrev_b32_e32 v53, v53, v49
	v_lshlrev_b32_e32 v49, 24, v49
	v_cndmask_b32_e32 v51, v52, v51, vcc_lo
	v_and_b32_e32 v53, 3, v53
	v_and_b32_e32 v49, 0x80000000, v49
	v_lshl_add_u32 v51, v51, 23, 0x37800000
	v_cndmask_b32_e32 v50, v50, v53, vcc_lo
	v_lshlrev_b32_e32 v50, 21, v50
	v_or3_b32 v50, v49, v51, v50
.LBB2_3907:                             ;   in Loop: Header=BB2_3886 Depth=2
	s_or_b32 exec_lo, exec_lo, s27
	v_cmp_gt_i16_sdwa s27, v48, v84 src0_sel:BYTE_0 src1_sel:DWORD
	s_mov_b32 s12, 0
	s_and_saveexec_b32 s28, s27
	s_xor_b32 s27, exec_lo, s28
	s_cbranch_execz .LBB2_3926
; %bb.3908:                             ;   in Loop: Header=BB2_3886 Depth=2
	v_cmp_eq_u16_sdwa s29, v48, v85 src0_sel:BYTE_0 src1_sel:DWORD
	s_mov_b32 s12, -1
	s_and_saveexec_b32 s28, s29
; %bb.3909:                             ;   in Loop: Header=BB2_3886 Depth=2
	s_xor_b32 s12, exec_lo, -1
; %bb.3910:                             ;   in Loop: Header=BB2_3886 Depth=2
	s_or_b32 exec_lo, exec_lo, s28
	s_and_b32 s12, s12, exec_lo
                                        ; implicit-def: $vgpr48
	s_or_saveexec_b32 s27, s27
	v_mov_b32_e32 v49, 0x7f800001
	s_xor_b32 exec_lo, exec_lo, s27
	s_cbranch_execnz .LBB2_3927
.LBB2_3911:                             ;   in Loop: Header=BB2_3886 Depth=2
	s_or_b32 exec_lo, exec_lo, s27
	s_and_saveexec_b32 s27, s12
.LBB2_3912:                             ;   in Loop: Header=BB2_3886 Depth=2
	v_mov_b32_e32 v49, v17
.LBB2_3913:                             ;   in Loop: Header=BB2_3886 Depth=2
	s_or_b32 exec_lo, exec_lo, s27
	v_max_f32_e32 v17, v49, v49
	v_max_f32_e32 v48, v50, v50
	v_min_f32_e32 v50, v48, v17
.LBB2_3914:                             ;   in Loop: Header=BB2_3886 Depth=2
	v_and_b32_e32 v17, 0x7f800000, v50
	v_cmp_ne_u32_e32 vcc_lo, 0x7f800000, v17
	v_mov_b32_e32 v17, 0x80
	s_and_saveexec_b32 s27, vcc_lo
	s_cbranch_execz .LBB2_3885
; %bb.3915:                             ;   in Loop: Header=BB2_3886 Depth=2
	v_mov_b32_e32 v17, 0
	s_mov_b32 s28, exec_lo
	v_cmpx_ne_u32_e32 0, v50
	s_cbranch_execz .LBB2_3884
; %bb.3916:                             ;   in Loop: Header=BB2_3886 Depth=2
	v_bfe_u32 v17, v50, 23, 8
	v_and_b32_e32 v48, 0x7fffff, v50
	v_sub_nc_u32_e32 v49, 0x70, v17
	v_cmp_gt_u32_e32 vcc_lo, 0x71, v17
	v_or_b32_e32 v51, 0x800000, v48
	v_cndmask_b32_e32 v49, 0, v49, vcc_lo
	v_cmp_eq_u32_e32 vcc_lo, 0, v17
	v_add_nc_u32_e32 v17, 0xffffff91, v17
	v_cndmask_b32_e64 v49, v49, 0x6f, vcc_lo
	v_cndmask_b32_e32 v48, v51, v48, vcc_lo
	v_cndmask_b32_e64 v17, v17, 0xffffff92, vcc_lo
	v_lshl_add_u32 v51, 0x200000, v49, -1
	v_lshrrev_b32_e32 v52, v49, v48
	v_lshlrev_b32_e64 v54, v49, 0x100000
	v_add_nc_u32_e32 v49, v49, v17
	v_and_b32_e32 v48, v51, v48
	v_bfe_u32 v53, v52, 21, 1
	v_cmp_eq_u32_e64 s12, v48, v54
	v_add_nc_u32_e32 v51, -1, v53
	v_cndmask_b32_e64 v48, 0, v51, s12
	v_lshrrev_b32_e32 v51, 23, v52
	s_mov_b32 s12, exec_lo
	v_add_nc_u32_e32 v48, v48, v52
	v_xor_b32_e32 v51, 1, v51
	v_and_b32_e32 v17, 0x1fffff, v48
	v_add_nc_u32_e32 v48, v17, v52
                                        ; implicit-def: $vgpr17
	v_cmpx_ne_u32_e64 v49, v51
	s_xor_b32 s12, exec_lo, s12
; %bb.3917:                             ;   in Loop: Header=BB2_3886 Depth=2
	v_cmp_lt_u32_e32 vcc_lo, 0xffffff, v48
	v_sub_nc_u32_e32 v17, v49, v51
	v_cndmask_b32_e64 v49, 0, 1, vcc_lo
	v_add_co_ci_u32_e64 v17, null, 0, v17, vcc_lo
	v_lshrrev_b32_e32 v48, v49, v48
; %bb.3918:                             ;   in Loop: Header=BB2_3886 Depth=2
	s_andn2_saveexec_b32 s12, s12
	s_cbranch_execz .LBB2_3883
; %bb.3919:                             ;   in Loop: Header=BB2_3886 Depth=2
	v_bfe_u32 v17, v48, 23, 1
	s_branch .LBB2_3883
.LBB2_3920:                             ;   in Loop: Header=BB2_3886 Depth=2
	s_or_saveexec_b32 s27, s27
	v_mov_b32_e32 v50, 0x7f800001
	s_xor_b32 exec_lo, exec_lo, s27
	s_cbranch_execz .LBB2_3891
.LBB2_3921:                             ;   in Loop: Header=BB2_3886 Depth=2
	v_cmp_ne_u16_sdwa s28, v49, v35 src0_sel:BYTE_0 src1_sel:DWORD
	v_mov_b32_e32 v50, 0
	s_andn2_b32 s12, s12, exec_lo
	s_and_b32 s28, s28, exec_lo
	s_or_b32 s12, s12, s28
	s_or_b32 exec_lo, exec_lo, s27
	s_and_saveexec_b32 s27, s12
	s_cbranch_execnz .LBB2_3892
	s_branch .LBB2_3893
.LBB2_3922:                             ;   in Loop: Header=BB2_3886 Depth=2
	s_or_saveexec_b32 s27, s27
	v_mov_b32_e32 v51, 0x7f800001
	s_xor_b32 exec_lo, exec_lo, s27
	s_cbranch_execz .LBB2_3897
.LBB2_3923:                             ;   in Loop: Header=BB2_3886 Depth=2
	v_cmp_ne_u16_sdwa s28, v48, v35 src0_sel:BYTE_0 src1_sel:DWORD
	v_mov_b32_e32 v51, 0
	s_andn2_b32 s12, s12, exec_lo
	s_and_b32 s28, s28, exec_lo
	s_or_b32 s12, s12, s28
	s_or_b32 exec_lo, exec_lo, s27
	s_and_saveexec_b32 s27, s12
	s_cbranch_execnz .LBB2_3898
	s_branch .LBB2_3899
.LBB2_3924:                             ;   in Loop: Header=BB2_3886 Depth=2
	s_or_saveexec_b32 s27, s27
	v_mov_b32_e32 v50, 0x7f800001
	s_xor_b32 exec_lo, exec_lo, s27
	s_cbranch_execz .LBB2_3905
.LBB2_3925:                             ;   in Loop: Header=BB2_3886 Depth=2
	v_cmp_ne_u16_sdwa s28, v49, v35 src0_sel:BYTE_0 src1_sel:DWORD
	v_mov_b32_e32 v50, 0
	s_andn2_b32 s12, s12, exec_lo
	s_and_b32 s28, s28, exec_lo
	s_or_b32 s12, s12, s28
	s_or_b32 exec_lo, exec_lo, s27
	s_and_saveexec_b32 s27, s12
	s_cbranch_execnz .LBB2_3906
	s_branch .LBB2_3907
.LBB2_3926:                             ;   in Loop: Header=BB2_3886 Depth=2
	s_or_saveexec_b32 s27, s27
	v_mov_b32_e32 v49, 0x7f800001
	s_xor_b32 exec_lo, exec_lo, s27
	s_cbranch_execz .LBB2_3911
.LBB2_3927:                             ;   in Loop: Header=BB2_3886 Depth=2
	v_cmp_ne_u16_sdwa s28, v48, v35 src0_sel:BYTE_0 src1_sel:DWORD
	v_mov_b32_e32 v49, 0
	s_andn2_b32 s12, s12, exec_lo
	s_and_b32 s28, s28, exec_lo
	s_or_b32 s12, s12, s28
	s_or_b32 exec_lo, exec_lo, s27
	s_and_saveexec_b32 s27, s12
	s_cbranch_execnz .LBB2_3912
	s_branch .LBB2_3913
.LBB2_3928:                             ;   in Loop: Header=BB2_2033 Depth=1
	s_or_b32 exec_lo, exec_lo, s13
	v_cmp_ne_u32_e64 s12, 0, v34
	s_and_saveexec_b32 s13, s6
	s_cbranch_execz .LBB2_3947
.LBB2_3929:                             ;   in Loop: Header=BB2_2033 Depth=1
	s_and_saveexec_b32 s25, s19
	s_xor_b32 s25, exec_lo, s25
	s_cbranch_execz .LBB2_3944
; %bb.3930:                             ;   in Loop: Header=BB2_2033 Depth=1
	s_and_saveexec_b32 s26, s7
	s_cbranch_execz .LBB2_3943
; %bb.3931:                             ;   in Loop: Header=BB2_2033 Depth=1
	s_mov_b32 s28, exec_lo
	s_mov_b32 s27, exec_lo
	v_mbcnt_lo_u32_b32 v10, s28, 0
	s_waitcnt vmcnt(0) lgkmcnt(0)
	s_waitcnt_vscnt null, 0x0
	buffer_gl1_inv
	buffer_gl0_inv
	v_cmpx_eq_u32_e32 0, v10
	s_cbranch_execz .LBB2_3933
; %bb.3932:                             ;   in Loop: Header=BB2_2033 Depth=1
	s_bcnt1_i32_b32 s28, s28
	v_mov_b32_e32 v34, s28
	ds_add_u64 v0, v[34:35]
	s_trap 2
.LBB2_3933:                             ;   in Loop: Header=BB2_2033 Depth=1
	s_or_b32 exec_lo, exec_lo, s27
	s_trap 2
	ds_read_b64 v[10:11], v0
	s_waitcnt lgkmcnt(0)
	buffer_gl0_inv
	v_add_co_u32 v26, vcc_lo, v26, v67
	v_add_co_ci_u32_e64 v27, null, 0, v27, vcc_lo
	s_mov_b32 s27, exec_lo
	v_cmpx_lt_u64_e64 v[10:11], v[26:27]
	s_cbranch_execz .LBB2_3942
; %bb.3934:                             ;   in Loop: Header=BB2_2033 Depth=1
	s_mov_b32 s28, 0
	s_mov_b32 s41, 0
                                        ; implicit-def: $sgpr29
                                        ; implicit-def: $sgpr40
	s_inst_prefetch 0x1
	s_branch .LBB2_3936
	.p2align	6
.LBB2_3935:                             ;   in Loop: Header=BB2_3936 Depth=2
	s_or_b32 exec_lo, exec_lo, s43
	s_and_b32 s42, exec_lo, s44
	s_or_b32 s28, s42, s28
	s_andn2_b32 s29, s29, exec_lo
	s_and_b32 s42, s40, exec_lo
	s_or_b32 s29, s29, s42
	s_andn2_b32 exec_lo, exec_lo, s28
	s_cbranch_execz .LBB2_3940
.LBB2_3936:                             ;   Parent Loop BB2_2033 Depth=1
                                        ; =>  This Inner Loop Header: Depth=2
	s_add_i32 s41, s41, 1
	s_cmpk_lg_i32 s41, 0x2710
	s_cselect_b32 s42, -1, 0
	s_and_b32 vcc_lo, exec_lo, s42
	s_cbranch_vccz .LBB2_3938
; %bb.3937:                             ;   in Loop: Header=BB2_3936 Depth=2
	s_mov_b32 s44, -1
	s_or_b32 s40, s40, exec_lo
	s_and_saveexec_b32 s43, s42
	s_cbranch_execz .LBB2_3935
	s_branch .LBB2_3939
	.p2align	6
.LBB2_3938:                             ;   in Loop: Header=BB2_3936 Depth=2
	s_trap 2
	ds_read_b64 v[10:11], v0
	s_andn2_b32 s42, s42, exec_lo
	s_mov_b32 s41, 0
	s_waitcnt lgkmcnt(0)
	flat_load_dword v10, v[10:11] glc dlc
	s_waitcnt vmcnt(0) lgkmcnt(0)
	buffer_gl1_inv
	buffer_gl0_inv
	v_cmp_eq_u32_e32 vcc_lo, 0, v10
	s_and_b32 s43, vcc_lo, exec_lo
	s_or_b32 s42, s42, s43
	s_mov_b32 s44, -1
	s_or_b32 s40, s40, exec_lo
	s_and_saveexec_b32 s43, s42
	s_cbranch_execz .LBB2_3935
.LBB2_3939:                             ;   in Loop: Header=BB2_3936 Depth=2
	s_sleep 1
	s_trap 2
	ds_read_b64 v[10:11], v0
	s_waitcnt lgkmcnt(0)
	buffer_gl0_inv
	s_andn2_b32 s40, s40, exec_lo
	v_cmp_ge_u64_e32 vcc_lo, v[10:11], v[26:27]
	s_orn2_b32 s44, vcc_lo, exec_lo
	s_branch .LBB2_3935
.LBB2_3940:                             ;   in Loop: Header=BB2_2033 Depth=1
	s_inst_prefetch 0x2
	s_or_b32 exec_lo, exec_lo, s28
	s_and_saveexec_b32 s28, s29
	s_xor_b32 s28, exec_lo, s28
	s_cbranch_execz .LBB2_3942
; %bb.3941:                             ;   in Loop: Header=BB2_2033 Depth=1
	ds_write_b32 v0, v83
	s_trap 2
.LBB2_3942:                             ;   in Loop: Header=BB2_2033 Depth=1
	s_or_b32 exec_lo, exec_lo, s27
	;;#ASMSTART
	s_wakeup
	;;#ASMEND
.LBB2_3943:                             ;   in Loop: Header=BB2_2033 Depth=1
	s_or_b32 exec_lo, exec_lo, s26
.LBB2_3944:                             ;   in Loop: Header=BB2_2033 Depth=1
	s_andn2_saveexec_b32 s25, s25
	s_cbranch_execz .LBB2_3946
; %bb.3945:                             ;   in Loop: Header=BB2_2033 Depth=1
	s_waitcnt vmcnt(0) lgkmcnt(0)
	s_waitcnt_vscnt null, 0x0
	buffer_gl1_inv
	buffer_gl0_inv
	s_barrier
.LBB2_3946:                             ;   in Loop: Header=BB2_2033 Depth=1
	s_or_b32 exec_lo, exec_lo, s25
.LBB2_3947:                             ;   in Loop: Header=BB2_2033 Depth=1
	s_or_b32 exec_lo, exec_lo, s13
	v_and_b32_e32 v10, 16, v68
	v_cmp_ne_u32_e32 vcc_lo, 0, v10
	s_and_b32 s13, vcc_lo, s12
	s_and_saveexec_b32 s12, s13
	s_cbranch_execz .LBB2_3949
; %bb.3948:                             ;   in Loop: Header=BB2_2033 Depth=1
	s_waitcnt vmcnt(0) lgkmcnt(0)
	s_waitcnt_vscnt null, 0x0
	buffer_gl1_inv
	buffer_gl0_inv
.LBB2_3949:                             ;   in Loop: Header=BB2_2033 Depth=1
	s_or_b32 exec_lo, exec_lo, s12
	v_and_b32_e32 v10, 32, v68
	s_mov_b32 s12, exec_lo
	v_cmpx_ne_u32_e32 0, v10
	s_cbranch_execz .LBB2_3951
; %bb.3950:                             ;   in Loop: Header=BB2_2033 Depth=1
	v_add_co_u32 v8, vcc_lo, v8, 1
	v_add_co_ci_u32_e64 v9, null, 0, v9, vcc_lo
	s_waitcnt vmcnt(0) lgkmcnt(0)
	s_waitcnt_vscnt null, 0x0
	flat_store_dwordx2 v[22:23], v[8:9]
.LBB2_3951:                             ;   in Loop: Header=BB2_2033 Depth=1
	s_or_b32 exec_lo, exec_lo, s12
	v_mov_b32_e32 v14, v39
.LBB2_3952:                             ;   in Loop: Header=BB2_2033 Depth=1
	s_or_b32 exec_lo, exec_lo, s24
	s_and_saveexec_b32 s13, s23
	s_cbranch_execz .LBB2_2032
; %bb.3953:                             ;   in Loop: Header=BB2_2033 Depth=1
	v_and_b32_e32 v10, 4, v68
	s_mov_b32 s23, exec_lo
	v_cmpx_ne_u32_e32 0, v10
	s_cbranch_execz .LBB2_3975
; %bb.3954:                             ;   in Loop: Header=BB2_2033 Depth=1
	s_waitcnt lgkmcnt(0)
	v_add_co_u32 v10, vcc_lo, v8, 1
	v_add_co_ci_u32_e64 v11, null, 0, v9, vcc_lo
	s_mov_b32 s24, exec_lo
	s_waitcnt vmcnt(0)
	v_cmpx_lt_u64_e64 v[28:29], v[10:11]
	s_cbranch_execz .LBB2_3966
; %bb.3955:                             ;   in Loop: Header=BB2_2033 Depth=1
	v_and_b32_e32 v9, 64, v68
	s_mov_b32 s25, 0
	s_mov_b32 s29, 0
                                        ; implicit-def: $sgpr26
                                        ; implicit-def: $sgpr27
                                        ; implicit-def: $sgpr28
	v_cmp_eq_u32_e32 vcc_lo, 0, v9
	s_branch .LBB2_3959
.LBB2_3956:                             ;   in Loop: Header=BB2_3959 Depth=2
	s_waitcnt vmcnt(0) lgkmcnt(0)
	v_cmp_ge_u64_e64 s12, v[28:29], v[10:11]
	s_or_b32 s42, s42, exec_lo
	s_orn2_b32 s41, s12, exec_lo
.LBB2_3957:                             ;   in Loop: Header=BB2_3959 Depth=2
	s_or_b32 exec_lo, exec_lo, s44
	s_andn2_b32 s12, s28, exec_lo
	s_and_b32 s28, s42, exec_lo
	s_andn2_b32 s27, s27, exec_lo
	s_and_b32 s41, s41, exec_lo
	s_or_b32 s28, s12, s28
	s_or_b32 s27, s27, s41
.LBB2_3958:                             ;   in Loop: Header=BB2_3959 Depth=2
	s_or_b32 exec_lo, exec_lo, s40
	s_and_b32 s12, exec_lo, s27
	s_or_b32 s25, s12, s25
	s_andn2_b32 s12, s26, exec_lo
	s_and_b32 s26, s28, exec_lo
	s_or_b32 s26, s12, s26
	s_andn2_b32 exec_lo, exec_lo, s25
	s_cbranch_execz .LBB2_3963
.LBB2_3959:                             ;   Parent Loop BB2_2033 Depth=1
                                        ; =>  This Inner Loop Header: Depth=2
	s_sleep 1
	s_waitcnt vmcnt(0) lgkmcnt(0)
	flat_load_dwordx2 v[28:29], v[22:23] glc dlc
	s_or_b32 s28, s28, exec_lo
	s_or_b32 s27, s27, exec_lo
                                        ; implicit-def: $vgpr9
	s_and_saveexec_b32 s40, vcc_lo
	s_cbranch_execz .LBB2_3958
; %bb.3960:                             ;   in Loop: Header=BB2_3959 Depth=2
	s_cmpk_lt_i32 s29, 0x270f
	s_mov_b32 s41, -1
	s_cselect_b32 s43, -1, 0
	s_cmpk_gt_i32 s29, 0x270e
	s_cbranch_scc0 .LBB2_3962
; %bb.3961:                             ;   in Loop: Header=BB2_3959 Depth=2
	s_trap 2
	ds_read_b64 v[12:13], v0
	s_andn2_b32 s29, s43, exec_lo
	s_mov_b32 s42, 0
	s_waitcnt vmcnt(0) lgkmcnt(0)
	s_waitcnt_vscnt null, 0x0
	flat_load_dword v9, v[12:13] glc dlc
	s_waitcnt vmcnt(0) lgkmcnt(0)
	buffer_gl1_inv
	buffer_gl0_inv
	v_cmp_eq_u32_e64 s12, 0, v9
	s_and_b32 s12, s12, exec_lo
	s_or_b32 s43, s29, s12
	s_mov_b32 s29, 0
	s_and_saveexec_b32 s44, s43
	s_cbranch_execz .LBB2_3957
	s_branch .LBB2_3956
.LBB2_3962:                             ;   in Loop: Header=BB2_3959 Depth=2
	s_add_i32 s29, s29, 1
	s_mov_b32 s42, -1
                                        ; implicit-def: $vgpr9
	s_and_saveexec_b32 s44, s43
	s_cbranch_execz .LBB2_3957
	s_branch .LBB2_3956
.LBB2_3963:                             ;   in Loop: Header=BB2_2033 Depth=1
	s_or_b32 exec_lo, exec_lo, s25
	s_xor_b32 s12, s26, -1
	s_and_saveexec_b32 s25, s12
	s_xor_b32 s12, exec_lo, s25
	s_cbranch_execz .LBB2_3965
; %bb.3964:                             ;   in Loop: Header=BB2_2033 Depth=1
	v_or_b32_e32 v68, 64, v68
	s_waitcnt vmcnt(0) lgkmcnt(0)
	s_waitcnt_vscnt null, 0x0
	ds_write_b32 v0, v9
	s_trap 2
.LBB2_3965:                             ;   in Loop: Header=BB2_2033 Depth=1
	s_or_b32 exec_lo, exec_lo, s12
.LBB2_3966:                             ;   in Loop: Header=BB2_2033 Depth=1
	s_or_b32 exec_lo, exec_lo, s24
	v_and_b32_e32 v9, 0x100, v68
	v_and_b32_e32 v15, 7, v8
	s_mov_b32 s12, -1
	;;#ASMSTART
	s_wakeup
	;;#ASMEND
	v_cmp_ne_u32_e32 vcc_lo, 0, v9
                                        ; implicit-def: $vgpr8_vgpr9
	s_and_saveexec_b32 s24, vcc_lo
	s_cbranch_execz .LBB2_3970
; %bb.3967:                             ;   in Loop: Header=BB2_2033 Depth=1
	v_mad_u64_u32 v[12:13], null, v15, 24, v[6:7]
	flat_load_dword v8, v[12:13]
	s_waitcnt vmcnt(0) lgkmcnt(0)
	v_cmp_eq_u32_e64 s12, 1, v8
	v_cmp_ne_u32_e32 vcc_lo, 1, v8
                                        ; implicit-def: $vgpr8_vgpr9
	s_and_saveexec_b32 s25, s12
	s_cbranch_execz .LBB2_3969
; %bb.3968:                             ;   in Loop: Header=BB2_2033 Depth=1
	flat_load_dword v8, v[12:13] offset:4 glc dlc
	s_waitcnt vmcnt(0) lgkmcnt(0)
	v_ashrrev_i32_e32 v9, 31, v8
.LBB2_3969:                             ;   in Loop: Header=BB2_2033 Depth=1
	s_or_b32 exec_lo, exec_lo, s25
	s_orn2_b32 s12, vcc_lo, exec_lo
.LBB2_3970:                             ;   in Loop: Header=BB2_2033 Depth=1
	s_or_b32 exec_lo, exec_lo, s24
	s_and_saveexec_b32 s24, s12
; %bb.3971:                             ;   in Loop: Header=BB2_2033 Depth=1
	v_mad_i64_i32 v[8:9], null, v15, v69, 0
; %bb.3972:                             ;   in Loop: Header=BB2_2033 Depth=1
	s_or_b32 exec_lo, exec_lo, s24
	v_add_co_u32 v8, vcc_lo, v24, v8
	v_and_b32_e32 v12, 0x2000, v68
	v_add_co_ci_u32_e64 v9, null, v25, v9, vcc_lo
	s_mov_b32 s12, exec_lo
	ds_write_b64 v0, v[8:9] offset:728
	v_cmpx_ne_u32_e32 0, v12
	s_cbranch_execz .LBB2_3974
; %bb.3973:                             ;   in Loop: Header=BB2_2033 Depth=1
	ds_read_b64 v[8:9], v0 offset:872
	s_waitcnt lgkmcnt(0)
	v_add_co_u32 v8, vcc_lo, v8, 1
	v_add_co_ci_u32_e64 v9, null, 0, v9, vcc_lo
	ds_write_b64 v0, v[8:9] offset:872
.LBB2_3974:                             ;   in Loop: Header=BB2_2033 Depth=1
	s_or_b32 exec_lo, exec_lo, s12
	v_mov_b32_e32 v8, v10
	v_mov_b32_e32 v9, v11
.LBB2_3975:                             ;   in Loop: Header=BB2_2033 Depth=1
	s_or_b32 exec_lo, exec_lo, s23
	s_and_saveexec_b32 s12, s6
	s_cbranch_execz .LBB2_3994
; %bb.3976:                             ;   in Loop: Header=BB2_2033 Depth=1
	s_and_saveexec_b32 s23, s19
	s_xor_b32 s23, exec_lo, s23
	s_cbranch_execz .LBB2_3991
; %bb.3977:                             ;   in Loop: Header=BB2_2033 Depth=1
	s_and_saveexec_b32 s24, s7
	s_cbranch_execz .LBB2_3990
; %bb.3978:                             ;   in Loop: Header=BB2_2033 Depth=1
	s_mov_b32 s26, exec_lo
	s_mov_b32 s25, exec_lo
	v_mbcnt_lo_u32_b32 v10, s26, 0
	s_waitcnt vmcnt(0) lgkmcnt(0)
	s_waitcnt_vscnt null, 0x0
	buffer_gl1_inv
	buffer_gl0_inv
	v_cmpx_eq_u32_e32 0, v10
	s_cbranch_execz .LBB2_3980
; %bb.3979:                             ;   in Loop: Header=BB2_2033 Depth=1
	s_bcnt1_i32_b32 s26, s26
	v_mov_b32_e32 v34, s26
	ds_add_u64 v0, v[34:35]
	s_trap 2
.LBB2_3980:                             ;   in Loop: Header=BB2_2033 Depth=1
	s_or_b32 exec_lo, exec_lo, s25
	s_trap 2
	ds_read_b64 v[10:11], v0
	s_waitcnt lgkmcnt(0)
	buffer_gl0_inv
	v_add_co_u32 v26, vcc_lo, v26, v67
	v_add_co_ci_u32_e64 v27, null, 0, v27, vcc_lo
	s_mov_b32 s25, exec_lo
	v_cmpx_lt_u64_e64 v[10:11], v[26:27]
	s_cbranch_execz .LBB2_3989
; %bb.3981:                             ;   in Loop: Header=BB2_2033 Depth=1
	s_mov_b32 s26, 0
	s_mov_b32 s29, 0
                                        ; implicit-def: $sgpr27
                                        ; implicit-def: $sgpr28
	s_inst_prefetch 0x1
	s_branch .LBB2_3983
	.p2align	6
.LBB2_3982:                             ;   in Loop: Header=BB2_3983 Depth=2
	s_or_b32 exec_lo, exec_lo, s41
	s_and_b32 s40, exec_lo, s42
	s_or_b32 s26, s40, s26
	s_andn2_b32 s27, s27, exec_lo
	s_and_b32 s40, s28, exec_lo
	s_or_b32 s27, s27, s40
	s_andn2_b32 exec_lo, exec_lo, s26
	s_cbranch_execz .LBB2_3987
.LBB2_3983:                             ;   Parent Loop BB2_2033 Depth=1
                                        ; =>  This Inner Loop Header: Depth=2
	s_add_i32 s29, s29, 1
	s_cmpk_lg_i32 s29, 0x2710
	s_cselect_b32 s40, -1, 0
	s_and_b32 vcc_lo, exec_lo, s40
	s_cbranch_vccz .LBB2_3985
; %bb.3984:                             ;   in Loop: Header=BB2_3983 Depth=2
	s_mov_b32 s42, -1
	s_or_b32 s28, s28, exec_lo
	s_and_saveexec_b32 s41, s40
	s_cbranch_execz .LBB2_3982
	s_branch .LBB2_3986
	.p2align	6
.LBB2_3985:                             ;   in Loop: Header=BB2_3983 Depth=2
	s_trap 2
	ds_read_b64 v[10:11], v0
	s_andn2_b32 s40, s40, exec_lo
	s_mov_b32 s29, 0
	s_waitcnt lgkmcnt(0)
	flat_load_dword v10, v[10:11] glc dlc
	s_waitcnt vmcnt(0) lgkmcnt(0)
	buffer_gl1_inv
	buffer_gl0_inv
	v_cmp_eq_u32_e32 vcc_lo, 0, v10
	s_and_b32 s41, vcc_lo, exec_lo
	s_or_b32 s40, s40, s41
	s_mov_b32 s42, -1
	s_or_b32 s28, s28, exec_lo
	s_and_saveexec_b32 s41, s40
	s_cbranch_execz .LBB2_3982
.LBB2_3986:                             ;   in Loop: Header=BB2_3983 Depth=2
	s_sleep 1
	s_trap 2
	ds_read_b64 v[10:11], v0
	s_waitcnt lgkmcnt(0)
	buffer_gl0_inv
	s_andn2_b32 s28, s28, exec_lo
	v_cmp_ge_u64_e32 vcc_lo, v[10:11], v[26:27]
	s_orn2_b32 s42, vcc_lo, exec_lo
	s_branch .LBB2_3982
.LBB2_3987:                             ;   in Loop: Header=BB2_2033 Depth=1
	s_inst_prefetch 0x2
	s_or_b32 exec_lo, exec_lo, s26
	s_and_saveexec_b32 s26, s27
	s_xor_b32 s26, exec_lo, s26
	s_cbranch_execz .LBB2_3989
; %bb.3988:                             ;   in Loop: Header=BB2_2033 Depth=1
	ds_write_b32 v0, v83
	s_trap 2
.LBB2_3989:                             ;   in Loop: Header=BB2_2033 Depth=1
	s_or_b32 exec_lo, exec_lo, s25
	;;#ASMSTART
	s_wakeup
	;;#ASMEND
.LBB2_3990:                             ;   in Loop: Header=BB2_2033 Depth=1
	s_or_b32 exec_lo, exec_lo, s24
.LBB2_3991:                             ;   in Loop: Header=BB2_2033 Depth=1
	s_andn2_saveexec_b32 s23, s23
	s_cbranch_execz .LBB2_3993
; %bb.3992:                             ;   in Loop: Header=BB2_2033 Depth=1
	s_waitcnt vmcnt(0) lgkmcnt(0)
	s_waitcnt_vscnt null, 0x0
	buffer_gl1_inv
	buffer_gl0_inv
	s_barrier
.LBB2_3993:                             ;   in Loop: Header=BB2_2033 Depth=1
	s_or_b32 exec_lo, exec_lo, s23
.LBB2_3994:                             ;   in Loop: Header=BB2_2033 Depth=1
	s_or_b32 exec_lo, exec_lo, s12
	s_trap 2
	ds_read_b32 v10, v0
	v_sub_nc_u32_e32 v11, v38, v14
	v_min_i32_e32 v11, v39, v11
	v_cmp_lt_i32_e32 vcc_lo, 0, v11
	s_waitcnt lgkmcnt(0)
	v_readfirstlane_b32 s12, v10
	v_and_b32_e32 v10, 16, v68
	s_cmp_eq_u32 s12, 0
	v_cmp_ne_u32_e64 s12, 0, v10
	s_cselect_b32 s23, -1, 0
	s_and_b32 s23, vcc_lo, s23
	s_and_b32 s23, s12, s23
	s_and_saveexec_b32 s12, s23
	s_cbranch_execz .LBB2_3996
; %bb.3995:                             ;   in Loop: Header=BB2_2033 Depth=1
	s_waitcnt vmcnt(0)
	s_waitcnt_vscnt null, 0x0
	buffer_gl1_inv
	buffer_gl0_inv
.LBB2_3996:                             ;   in Loop: Header=BB2_2033 Depth=1
	s_or_b32 exec_lo, exec_lo, s12
	v_and_b32_e32 v10, 32, v68
	s_mov_b32 s12, exec_lo
	v_cmpx_ne_u32_e32 0, v10
	s_cbranch_execz .LBB2_2031
; %bb.3997:                             ;   in Loop: Header=BB2_2033 Depth=1
	v_add_co_u32 v8, vcc_lo, v8, 1
	v_add_co_ci_u32_e64 v9, null, 0, v9, vcc_lo
	s_waitcnt vmcnt(0)
	s_waitcnt_vscnt null, 0x0
	flat_store_dwordx2 v[22:23], v[8:9]
	s_branch .LBB2_2031
.LBB2_3998:
	s_or_b32 exec_lo, exec_lo, s20
.LBB2_3999:
	s_or_b32 exec_lo, exec_lo, s18
.LBB2_4000:
	s_or_b32 exec_lo, exec_lo, s14
                                        ; implicit-def: $vgpr18_vgpr19
                                        ; implicit-def: $vgpr4_vgpr5
                                        ; implicit-def: $vgpr34_vgpr35
                                        ; implicit-def: $vgpr69
                                        ; implicit-def: $vgpr28_vgpr29
                                        ; implicit-def: $vgpr24_vgpr25
                                        ; implicit-def: $vgpr22_vgpr23
                                        ; implicit-def: $vgpr0
                                        ; implicit-def: $vgpr38
                                        ; implicit-def: $vgpr32
.LBB2_4001:
	s_andn2_saveexec_b32 s17, s17
	s_cbranch_execz .LBB2_4173
; %bb.4002:
	v_mov_b32_e32 v26, 0
	v_mov_b32_e32 v27, 0
	s_mov_b32 s18, exec_lo
	v_cmpx_ne_u64_e32 0, v[4:5]
	s_cbranch_execz .LBB2_4172
; %bb.4003:
	v_and_b32_e32 v50, 31, v0
	v_and_b32_e32 v10, 31, v31
	v_lshrrev_b32_e32 v52, 5, v0
	v_mov_b32_e32 v11, 0
	v_lshrrev_b32_e32 v51, 5, v1
	v_lshlrev_b32_e32 v53, 4, v50
	v_cmp_eq_u32_e64 s7, 0, v10
	s_ashr_i32 s6, s16, 31
	v_cmp_eq_u32_e32 vcc_lo, 32, v1
	s_lshr_b32 s6, s6, 24
	v_lshl_or_b32 v10, v52, 10, v53
	v_mov_b32_e32 v12, 0
	s_waitcnt lgkmcnt(1)
	v_cmp_ne_u64_e64 s12, 0, v[34:35]
	v_mov_b32_e32 v15, v11
	v_mov_b32_e32 v26, 0
	v_cmp_ge_u32_e64 s5, v0, v1
	s_add_i32 s13, s16, s6
	v_cmp_ne_u32_e64 s6, 32, v1
	s_waitcnt vmcnt(0)
	v_cmp_ne_u32_sdwa s16, v1, v30 src0_sel:DWORD src1_sel:WORD_0
	v_cmp_eq_u32_e64 s10, 0, v50
	v_cmp_lt_u32_e64 s11, v50, v38
	v_lshlrev_b32_e32 v54, 10, v51
	v_lshlrev_b32_e32 v55, 9, v51
	;; [unrolled: 1-line block ×3, first 2 shown]
	v_and_b32_e32 v65, 0x1fe0, v1
	v_mov_b32_e32 v13, 0
	v_mov_b32_e32 v14, v10
	;; [unrolled: 1-line block ×4, first 2 shown]
	s_ashr_i32 s20, s13, 8
	s_mov_b32 s19, 0
	s_xor_b32 s21, vcc_lo, -1
	s_trap 2
	s_branch .LBB2_4007
.LBB2_4004:                             ;   in Loop: Header=BB2_4007 Depth=1
	s_or_b32 exec_lo, exec_lo, s22
	v_add_co_u32 v8, vcc_lo, v8, 1
	v_add_co_ci_u32_e64 v9, null, 0, v9, vcc_lo
	s_waitcnt vmcnt(0) lgkmcnt(0)
	s_waitcnt_vscnt null, 0x0
	flat_store_dwordx2 v[22:23], v[8:9]
.LBB2_4005:                             ;   in Loop: Header=BB2_4007 Depth=1
	s_or_b32 exec_lo, exec_lo, s13
.LBB2_4006:                             ;   in Loop: Header=BB2_4007 Depth=1
	s_or_b32 exec_lo, exec_lo, s14
	v_add_co_u32 v12, vcc_lo, v12, v32
	v_add_co_ci_u32_e64 v13, null, 0, v13, vcc_lo
	v_cmp_ge_u64_e32 vcc_lo, v[12:13], v[4:5]
	s_or_b32 s19, vcc_lo, s19
	s_andn2_b32 exec_lo, exec_lo, s19
	s_cbranch_execz .LBB2_4171
.LBB2_4007:                             ; =>This Loop Header: Depth=1
                                        ;     Child Loop BB2_4016 Depth 2
                                        ;     Child Loop BB2_4040 Depth 2
	;; [unrolled: 1-line block ×10, first 2 shown]
	v_sub_co_u32 v16, vcc_lo, v4, v12
	v_sub_co_ci_u32_e64 v17, null, v5, v13, vcc_lo
	v_cmp_lt_u64_e32 vcc_lo, v[32:33], v[16:17]
	v_cndmask_b32_e32 v16, v16, v32, vcc_lo
	v_cndmask_b32_e64 v17, v17, 0, vcc_lo
	v_add_nc_u32_e32 v10, 15, v16
	v_cmp_eq_u64_e32 vcc_lo, 0, v[16:17]
	v_mov_b32_e32 v17, 0
	v_and_b32_e32 v10, 0x7ffffff0, v10
	s_or_b32 s22, s5, vcc_lo
	s_xor_b32 s13, s22, -1
	v_max_i32_e32 v10, s20, v10
	s_and_saveexec_b32 s23, s13
	s_cbranch_execz .LBB2_4124
; %bb.4008:                             ;   in Loop: Header=BB2_4007 Depth=1
	s_and_saveexec_b32 s13, s4
	s_cbranch_execz .LBB2_4010
; %bb.4009:                             ;   in Loop: Header=BB2_4007 Depth=1
	s_trap 2
	ds_read_b64 v[36:37], v0
	s_waitcnt lgkmcnt(0)
	v_add_co_u32 v17, vcc_lo, v36, v18
	v_add_co_ci_u32_e64 v37, null, v37, v19, vcc_lo
	v_mov_b32_e32 v36, v11
	v_add_co_u32 v38, vcc_lo, v17, v12
	v_add_co_ci_u32_e64 v39, null, v37, v13, vcc_lo
	v_mov_b32_e32 v37, v11
	ds_write_b64 v0, v[38:39]
	ds_write_b64 v0, v[36:37]
.LBB2_4010:                             ;   in Loop: Header=BB2_4007 Depth=1
	s_or_b32 exec_lo, exec_lo, s13
	v_and_b32_e32 v17, 8, v68
	v_min_u32_e32 v10, v10, v16
	s_mov_b32 s14, exec_lo
	v_cmpx_ne_u32_e32 0, v17
	s_cbranch_execz .LBB2_4032
; %bb.4011:                             ;   in Loop: Header=BB2_4007 Depth=1
	s_waitcnt vmcnt(0)
	v_add_co_u32 v38, vcc_lo, v28, 8
	v_add_co_ci_u32_e64 v39, null, 0, v29, vcc_lo
	s_waitcnt lgkmcnt(0)
	v_add_co_u32 v36, vcc_lo, v8, 1
	v_add_co_ci_u32_e64 v37, null, 0, v9, vcc_lo
	s_mov_b32 s24, exec_lo
	v_cmpx_lt_u64_e64 v[38:39], v[36:37]
	s_cbranch_execz .LBB2_4023
; %bb.4012:                             ;   in Loop: Header=BB2_4007 Depth=1
	v_and_b32_e32 v9, 64, v68
	s_mov_b32 s25, 0
	s_mov_b32 s29, 0
                                        ; implicit-def: $sgpr26
                                        ; implicit-def: $sgpr27
                                        ; implicit-def: $sgpr28
	v_cmp_eq_u32_e32 vcc_lo, 0, v9
	s_branch .LBB2_4016
.LBB2_4013:                             ;   in Loop: Header=BB2_4016 Depth=2
	s_waitcnt vmcnt(0) lgkmcnt(0)
	v_add_co_u32 v38, s13, v28, 8
	v_add_co_ci_u32_e64 v39, null, 0, v29, s13
	s_or_b32 s42, s42, exec_lo
	v_cmp_ge_u64_e64 s13, v[38:39], v[36:37]
	s_orn2_b32 s41, s13, exec_lo
.LBB2_4014:                             ;   in Loop: Header=BB2_4016 Depth=2
	s_or_b32 exec_lo, exec_lo, s44
	s_andn2_b32 s13, s28, exec_lo
	s_and_b32 s28, s42, exec_lo
	s_andn2_b32 s27, s27, exec_lo
	s_and_b32 s41, s41, exec_lo
	s_or_b32 s28, s13, s28
	s_or_b32 s27, s27, s41
.LBB2_4015:                             ;   in Loop: Header=BB2_4016 Depth=2
	s_or_b32 exec_lo, exec_lo, s40
	s_and_b32 s13, exec_lo, s27
	s_or_b32 s25, s13, s25
	s_andn2_b32 s13, s26, exec_lo
	s_and_b32 s26, s28, exec_lo
	s_or_b32 s26, s13, s26
	s_andn2_b32 exec_lo, exec_lo, s25
	s_cbranch_execz .LBB2_4020
.LBB2_4016:                             ;   Parent Loop BB2_4007 Depth=1
                                        ; =>  This Inner Loop Header: Depth=2
	s_sleep 1
	s_waitcnt vmcnt(0) lgkmcnt(0)
	flat_load_dwordx2 v[28:29], v[22:23] glc dlc
	s_or_b32 s28, s28, exec_lo
	s_or_b32 s27, s27, exec_lo
                                        ; implicit-def: $vgpr9
	s_and_saveexec_b32 s40, vcc_lo
	s_cbranch_execz .LBB2_4015
; %bb.4017:                             ;   in Loop: Header=BB2_4016 Depth=2
	s_cmpk_lt_i32 s29, 0x270f
	s_mov_b32 s41, -1
	s_cselect_b32 s43, -1, 0
	s_cmpk_gt_i32 s29, 0x270e
	s_cbranch_scc0 .LBB2_4019
; %bb.4018:                             ;   in Loop: Header=BB2_4016 Depth=2
	s_trap 2
	ds_read_b64 v[38:39], v0
	s_andn2_b32 s29, s43, exec_lo
	s_mov_b32 s42, 0
	s_waitcnt vmcnt(0) lgkmcnt(0)
	s_waitcnt_vscnt null, 0x0
	flat_load_dword v9, v[38:39] glc dlc
	s_waitcnt vmcnt(0) lgkmcnt(0)
	buffer_gl1_inv
	buffer_gl0_inv
	v_cmp_eq_u32_e64 s13, 0, v9
	s_and_b32 s13, s13, exec_lo
	s_or_b32 s43, s29, s13
	s_mov_b32 s29, 0
	s_and_saveexec_b32 s44, s43
	s_cbranch_execz .LBB2_4014
	s_branch .LBB2_4013
.LBB2_4019:                             ;   in Loop: Header=BB2_4016 Depth=2
	s_add_i32 s29, s29, 1
	s_mov_b32 s42, -1
                                        ; implicit-def: $vgpr9
	s_and_saveexec_b32 s44, s43
	s_cbranch_execz .LBB2_4014
	s_branch .LBB2_4013
.LBB2_4020:                             ;   in Loop: Header=BB2_4007 Depth=1
	s_or_b32 exec_lo, exec_lo, s25
	s_xor_b32 s13, s26, -1
	s_and_saveexec_b32 s25, s13
	s_xor_b32 s13, exec_lo, s25
	s_cbranch_execz .LBB2_4022
; %bb.4021:                             ;   in Loop: Header=BB2_4007 Depth=1
	v_or_b32_e32 v68, 64, v68
	s_waitcnt vmcnt(0) lgkmcnt(0)
	s_waitcnt_vscnt null, 0x0
	ds_write_b32 v0, v9
	s_trap 2
.LBB2_4022:                             ;   in Loop: Header=BB2_4007 Depth=1
	s_or_b32 exec_lo, exec_lo, s13
.LBB2_4023:                             ;   in Loop: Header=BB2_4007 Depth=1
	s_or_b32 exec_lo, exec_lo, s24
	v_and_b32_e32 v9, 0x100, v68
	v_and_b32_e32 v17, 7, v8
	s_mov_b32 s13, -1
	;;#ASMSTART
	s_wakeup
	;;#ASMEND
	v_cmp_ne_u32_e32 vcc_lo, 0, v9
                                        ; implicit-def: $vgpr8_vgpr9
	s_and_saveexec_b32 s24, vcc_lo
	s_cbranch_execz .LBB2_4027
; %bb.4024:                             ;   in Loop: Header=BB2_4007 Depth=1
	v_mad_u64_u32 v[38:39], null, v17, 24, v[6:7]
	flat_load_dword v8, v[38:39]
	flat_store_dwordx2 v[38:39], v[10:11] offset:8
	s_waitcnt vmcnt(0) lgkmcnt(1)
	v_cmp_eq_u32_e64 s13, 1, v8
	v_cmp_ne_u32_e32 vcc_lo, 1, v8
                                        ; implicit-def: $vgpr8_vgpr9
	s_and_saveexec_b32 s25, s13
	s_cbranch_execz .LBB2_4026
; %bb.4025:                             ;   in Loop: Header=BB2_4007 Depth=1
	flat_load_dword v8, v[38:39] offset:4 glc dlc
	s_waitcnt vmcnt(0) lgkmcnt(0)
	v_ashrrev_i32_e32 v9, 31, v8
.LBB2_4026:                             ;   in Loop: Header=BB2_4007 Depth=1
	s_or_b32 exec_lo, exec_lo, s25
	s_orn2_b32 s13, vcc_lo, exec_lo
.LBB2_4027:                             ;   in Loop: Header=BB2_4007 Depth=1
	s_or_b32 exec_lo, exec_lo, s24
	s_and_saveexec_b32 s24, s13
; %bb.4028:                             ;   in Loop: Header=BB2_4007 Depth=1
	v_mad_i64_i32 v[8:9], null, v17, v69, 0
; %bb.4029:                             ;   in Loop: Header=BB2_4007 Depth=1
	s_or_b32 exec_lo, exec_lo, s24
	v_add_co_u32 v8, vcc_lo, v24, v8
	v_and_b32_e32 v17, 0x2000, v68
	v_add_co_ci_u32_e64 v9, null, v25, v9, vcc_lo
	s_mov_b32 s13, exec_lo
	ds_write_b64 v0, v[8:9] offset:784
	v_cmpx_ne_u32_e32 0, v17
	s_cbranch_execz .LBB2_4031
; %bb.4030:                             ;   in Loop: Header=BB2_4007 Depth=1
	ds_read_b64 v[8:9], v0 offset:872
	s_waitcnt lgkmcnt(0)
	v_add_co_u32 v8, vcc_lo, v8, 1
	v_add_co_ci_u32_e64 v9, null, 0, v9, vcc_lo
	ds_write_b64 v0, v[8:9] offset:872
.LBB2_4031:                             ;   in Loop: Header=BB2_4007 Depth=1
	s_or_b32 exec_lo, exec_lo, s13
	v_mov_b32_e32 v8, v36
	v_mov_b32_e32 v9, v37
.LBB2_4032:                             ;   in Loop: Header=BB2_4007 Depth=1
	s_or_b32 exec_lo, exec_lo, s14
	s_and_saveexec_b32 s13, s6
	s_cbranch_execz .LBB2_4051
; %bb.4033:                             ;   in Loop: Header=BB2_4007 Depth=1
	s_and_saveexec_b32 s14, s16
	s_xor_b32 s14, exec_lo, s14
	s_cbranch_execz .LBB2_4048
; %bb.4034:                             ;   in Loop: Header=BB2_4007 Depth=1
	s_and_saveexec_b32 s24, s7
	s_cbranch_execz .LBB2_4047
; %bb.4035:                             ;   in Loop: Header=BB2_4007 Depth=1
	s_mov_b32 s26, exec_lo
	s_mov_b32 s25, exec_lo
	v_mbcnt_lo_u32_b32 v17, s26, 0
	s_waitcnt vmcnt(0) lgkmcnt(0)
	s_waitcnt_vscnt null, 0x0
	buffer_gl1_inv
	buffer_gl0_inv
	v_cmpx_eq_u32_e32 0, v17
	s_cbranch_execz .LBB2_4037
; %bb.4036:                             ;   in Loop: Header=BB2_4007 Depth=1
	s_bcnt1_i32_b32 s26, s26
	v_mov_b32_e32 v37, v11
	v_mov_b32_e32 v36, s26
	ds_add_u64 v0, v[36:37]
	s_trap 2
.LBB2_4037:                             ;   in Loop: Header=BB2_4007 Depth=1
	s_or_b32 exec_lo, exec_lo, s25
	s_trap 2
	ds_read_b64 v[36:37], v0
	s_waitcnt lgkmcnt(0)
	buffer_gl0_inv
	v_add_co_u32 v26, vcc_lo, v26, v51
	v_add_co_ci_u32_e64 v27, null, 0, v27, vcc_lo
	s_mov_b32 s25, exec_lo
	v_cmpx_lt_u64_e64 v[36:37], v[26:27]
	s_cbranch_execz .LBB2_4046
; %bb.4038:                             ;   in Loop: Header=BB2_4007 Depth=1
	s_mov_b32 s26, 0
	s_mov_b32 s29, 0
                                        ; implicit-def: $sgpr27
                                        ; implicit-def: $sgpr28
	s_inst_prefetch 0x1
	s_branch .LBB2_4040
	.p2align	6
.LBB2_4039:                             ;   in Loop: Header=BB2_4040 Depth=2
	s_or_b32 exec_lo, exec_lo, s41
	s_and_b32 s40, exec_lo, s42
	s_or_b32 s26, s40, s26
	s_andn2_b32 s27, s27, exec_lo
	s_and_b32 s40, s28, exec_lo
	s_or_b32 s27, s27, s40
	s_andn2_b32 exec_lo, exec_lo, s26
	s_cbranch_execz .LBB2_4044
.LBB2_4040:                             ;   Parent Loop BB2_4007 Depth=1
                                        ; =>  This Inner Loop Header: Depth=2
	s_add_i32 s29, s29, 1
	s_cmpk_lg_i32 s29, 0x2710
	s_cselect_b32 s40, -1, 0
	s_and_b32 vcc_lo, exec_lo, s40
	s_cbranch_vccz .LBB2_4042
; %bb.4041:                             ;   in Loop: Header=BB2_4040 Depth=2
	s_mov_b32 s42, -1
	s_or_b32 s28, s28, exec_lo
	s_and_saveexec_b32 s41, s40
	s_cbranch_execz .LBB2_4039
	s_branch .LBB2_4043
	.p2align	6
.LBB2_4042:                             ;   in Loop: Header=BB2_4040 Depth=2
	s_trap 2
	ds_read_b64 v[36:37], v0
	s_andn2_b32 s40, s40, exec_lo
	s_mov_b32 s29, 0
	s_waitcnt lgkmcnt(0)
	flat_load_dword v17, v[36:37] glc dlc
	s_waitcnt vmcnt(0) lgkmcnt(0)
	buffer_gl1_inv
	buffer_gl0_inv
	v_cmp_eq_u32_e32 vcc_lo, 0, v17
	s_and_b32 s41, vcc_lo, exec_lo
	s_or_b32 s40, s40, s41
	s_mov_b32 s42, -1
	s_or_b32 s28, s28, exec_lo
	s_and_saveexec_b32 s41, s40
	s_cbranch_execz .LBB2_4039
.LBB2_4043:                             ;   in Loop: Header=BB2_4040 Depth=2
	s_sleep 1
	s_trap 2
	ds_read_b64 v[36:37], v0
	s_waitcnt lgkmcnt(0)
	buffer_gl0_inv
	s_andn2_b32 s28, s28, exec_lo
	v_cmp_ge_u64_e32 vcc_lo, v[36:37], v[26:27]
	s_orn2_b32 s42, vcc_lo, exec_lo
	s_branch .LBB2_4039
.LBB2_4044:                             ;   in Loop: Header=BB2_4007 Depth=1
	s_inst_prefetch 0x2
	s_or_b32 exec_lo, exec_lo, s26
	s_and_saveexec_b32 s26, s27
	s_xor_b32 s26, exec_lo, s26
	s_cbranch_execz .LBB2_4046
; %bb.4045:                             ;   in Loop: Header=BB2_4007 Depth=1
	ds_write_b32 v0, v66
	s_trap 2
.LBB2_4046:                             ;   in Loop: Header=BB2_4007 Depth=1
	s_or_b32 exec_lo, exec_lo, s25
	;;#ASMSTART
	s_wakeup
	;;#ASMEND
.LBB2_4047:                             ;   in Loop: Header=BB2_4007 Depth=1
	s_or_b32 exec_lo, exec_lo, s24
.LBB2_4048:                             ;   in Loop: Header=BB2_4007 Depth=1
	s_andn2_saveexec_b32 s14, s14
	s_cbranch_execz .LBB2_4050
; %bb.4049:                             ;   in Loop: Header=BB2_4007 Depth=1
	s_waitcnt vmcnt(0) lgkmcnt(0)
	s_waitcnt_vscnt null, 0x0
	buffer_gl1_inv
	buffer_gl0_inv
	s_barrier
.LBB2_4050:                             ;   in Loop: Header=BB2_4007 Depth=1
	s_or_b32 exec_lo, exec_lo, s14
.LBB2_4051:                             ;   in Loop: Header=BB2_4007 Depth=1
	s_or_b32 exec_lo, exec_lo, s13
	s_trap 2
	ds_read_b32 v17, v0
	v_and_b32_e32 v36, 0x4000, v68
	v_cmp_ne_u32_e32 vcc_lo, 0, v36
	s_and_b32 s14, s21, vcc_lo
	s_and_saveexec_b32 s13, s14
	s_cbranch_execz .LBB2_4070
; %bb.4052:                             ;   in Loop: Header=BB2_4007 Depth=1
	s_and_saveexec_b32 s14, s16
	s_xor_b32 s14, exec_lo, s14
	s_cbranch_execz .LBB2_4067
; %bb.4053:                             ;   in Loop: Header=BB2_4007 Depth=1
	s_and_saveexec_b32 s24, s7
	s_cbranch_execz .LBB2_4066
; %bb.4054:                             ;   in Loop: Header=BB2_4007 Depth=1
	s_mov_b32 s26, exec_lo
	s_mov_b32 s25, exec_lo
	v_mbcnt_lo_u32_b32 v36, s26, 0
	s_waitcnt vmcnt(0) lgkmcnt(0)
	s_waitcnt_vscnt null, 0x0
	buffer_gl1_inv
	buffer_gl0_inv
	v_cmpx_eq_u32_e32 0, v36
	s_cbranch_execz .LBB2_4056
; %bb.4055:                             ;   in Loop: Header=BB2_4007 Depth=1
	s_bcnt1_i32_b32 s26, s26
	v_mov_b32_e32 v37, v11
	v_mov_b32_e32 v36, s26
	ds_add_u64 v0, v[36:37]
	s_trap 2
.LBB2_4056:                             ;   in Loop: Header=BB2_4007 Depth=1
	s_or_b32 exec_lo, exec_lo, s25
	s_trap 2
	ds_read_b64 v[36:37], v0
	s_waitcnt lgkmcnt(0)
	buffer_gl0_inv
	v_add_co_u32 v26, vcc_lo, v26, v51
	v_add_co_ci_u32_e64 v27, null, 0, v27, vcc_lo
	s_mov_b32 s25, exec_lo
	v_cmpx_lt_u64_e64 v[36:37], v[26:27]
	s_cbranch_execz .LBB2_4065
; %bb.4057:                             ;   in Loop: Header=BB2_4007 Depth=1
	s_mov_b32 s26, 0
	s_mov_b32 s29, 0
                                        ; implicit-def: $sgpr27
                                        ; implicit-def: $sgpr28
	s_inst_prefetch 0x1
	s_branch .LBB2_4059
	.p2align	6
.LBB2_4058:                             ;   in Loop: Header=BB2_4059 Depth=2
	s_or_b32 exec_lo, exec_lo, s41
	s_and_b32 s40, exec_lo, s42
	s_or_b32 s26, s40, s26
	s_andn2_b32 s27, s27, exec_lo
	s_and_b32 s40, s28, exec_lo
	s_or_b32 s27, s27, s40
	s_andn2_b32 exec_lo, exec_lo, s26
	s_cbranch_execz .LBB2_4063
.LBB2_4059:                             ;   Parent Loop BB2_4007 Depth=1
                                        ; =>  This Inner Loop Header: Depth=2
	s_add_i32 s29, s29, 1
	s_cmpk_lg_i32 s29, 0x2710
	s_cselect_b32 s40, -1, 0
	s_and_b32 vcc_lo, exec_lo, s40
	s_cbranch_vccz .LBB2_4061
; %bb.4060:                             ;   in Loop: Header=BB2_4059 Depth=2
	s_mov_b32 s42, -1
	s_or_b32 s28, s28, exec_lo
	s_and_saveexec_b32 s41, s40
	s_cbranch_execz .LBB2_4058
	s_branch .LBB2_4062
	.p2align	6
.LBB2_4061:                             ;   in Loop: Header=BB2_4059 Depth=2
	s_trap 2
	ds_read_b64 v[36:37], v0
	s_andn2_b32 s40, s40, exec_lo
	s_mov_b32 s29, 0
	s_waitcnt lgkmcnt(0)
	flat_load_dword v36, v[36:37] glc dlc
	s_waitcnt vmcnt(0) lgkmcnt(0)
	buffer_gl1_inv
	buffer_gl0_inv
	v_cmp_eq_u32_e32 vcc_lo, 0, v36
	s_and_b32 s41, vcc_lo, exec_lo
	s_or_b32 s40, s40, s41
	s_mov_b32 s42, -1
	s_or_b32 s28, s28, exec_lo
	s_and_saveexec_b32 s41, s40
	s_cbranch_execz .LBB2_4058
.LBB2_4062:                             ;   in Loop: Header=BB2_4059 Depth=2
	s_sleep 1
	s_trap 2
	ds_read_b64 v[36:37], v0
	s_waitcnt lgkmcnt(0)
	buffer_gl0_inv
	s_andn2_b32 s28, s28, exec_lo
	v_cmp_ge_u64_e32 vcc_lo, v[36:37], v[26:27]
	s_orn2_b32 s42, vcc_lo, exec_lo
	s_branch .LBB2_4058
.LBB2_4063:                             ;   in Loop: Header=BB2_4007 Depth=1
	s_inst_prefetch 0x2
	s_or_b32 exec_lo, exec_lo, s26
	s_and_saveexec_b32 s26, s27
	s_xor_b32 s26, exec_lo, s26
	s_cbranch_execz .LBB2_4065
; %bb.4064:                             ;   in Loop: Header=BB2_4007 Depth=1
	ds_write_b32 v0, v66
	s_trap 2
.LBB2_4065:                             ;   in Loop: Header=BB2_4007 Depth=1
	s_or_b32 exec_lo, exec_lo, s25
	;;#ASMSTART
	s_wakeup
	;;#ASMEND
.LBB2_4066:                             ;   in Loop: Header=BB2_4007 Depth=1
	s_or_b32 exec_lo, exec_lo, s24
.LBB2_4067:                             ;   in Loop: Header=BB2_4007 Depth=1
	s_andn2_saveexec_b32 s14, s14
	s_cbranch_execz .LBB2_4069
; %bb.4068:                             ;   in Loop: Header=BB2_4007 Depth=1
	s_waitcnt vmcnt(0) lgkmcnt(0)
	s_waitcnt_vscnt null, 0x0
	buffer_gl1_inv
	buffer_gl0_inv
	s_barrier
.LBB2_4069:                             ;   in Loop: Header=BB2_4007 Depth=1
	s_or_b32 exec_lo, exec_lo, s14
.LBB2_4070:                             ;   in Loop: Header=BB2_4007 Depth=1
	s_or_b32 exec_lo, exec_lo, s13
	s_trap 2
	ds_read_b64 v[36:37], v0
	s_waitcnt lgkmcnt(0)
	v_cmp_eq_u64_e32 vcc_lo, 0, v[36:37]
	s_cbranch_vccnz .LBB2_4078
; %bb.4071:                             ;   in Loop: Header=BB2_4007 Depth=1
	s_trap 2
	ds_read_b64 v[38:39], v0
	s_waitcnt lgkmcnt(0)
	v_cmp_eq_u64_e32 vcc_lo, 0, v[38:39]
	s_cbranch_vccnz .LBB2_4078
; %bb.4072:                             ;   in Loop: Header=BB2_4007 Depth=1
	s_mov_b32 s13, -1
	s_and_saveexec_b32 s14, s10
	s_cbranch_execz .LBB2_4074
; %bb.4073:                             ;   in Loop: Header=BB2_4007 Depth=1
	ds_read_b32 v48, v0 offset:720
	s_waitcnt lgkmcnt(0)
	v_and_b32_e32 v48, 15, v48
	v_cmp_eq_u32_e32 vcc_lo, 0, v48
	s_orn2_b32 s13, vcc_lo, exec_lo
.LBB2_4074:                             ;   in Loop: Header=BB2_4007 Depth=1
	s_or_b32 exec_lo, exec_lo, s14
	s_and_saveexec_b32 s14, s11
	s_cbranch_execz .LBB2_4076
; %bb.4075:                             ;   in Loop: Header=BB2_4007 Depth=1
	ds_read_b32 v48, v0 offset:784
	s_waitcnt lgkmcnt(0)
	v_and_b32_e32 v48, 15, v48
	v_cmp_eq_u32_e32 vcc_lo, 0, v48
	s_and_b32 s24, s13, vcc_lo
	s_andn2_b32 s13, s13, exec_lo
	s_and_b32 s24, s24, exec_lo
	s_or_b32 s13, s13, s24
.LBB2_4076:                             ;   in Loop: Header=BB2_4007 Depth=1
	s_or_b32 exec_lo, exec_lo, s14
	v_cmp_eq_u32_e32 vcc_lo, 0, v17
	s_xor_b32 s13, s13, -1
	v_mov_b32_e32 v67, v0
	v_cndmask_b32_e64 v48, 0, 1, s13
	s_mov_b32 s13, -1
	v_cndmask_b32_e32 v17, 0, v10, vcc_lo
	v_cmp_ne_u32_e32 vcc_lo, 0, v48
	v_mov_b32_e32 v48, 0
	v_mov_b32_e32 v49, v17
	s_cbranch_vccz .LBB2_4079
; %bb.4077:                             ;   in Loop: Header=BB2_4007 Depth=1
	s_and_saveexec_b32 s14, s13
	s_cbranch_execnz .LBB2_4090
	s_branch .LBB2_4098
.LBB2_4078:                             ;   in Loop: Header=BB2_4007 Depth=1
	s_mov_b32 s13, 0
	s_and_saveexec_b32 s14, s6
	s_cbranch_execnz .LBB2_4099
	s_branch .LBB2_4117
.LBB2_4079:                             ;   in Loop: Header=BB2_4007 Depth=1
	v_lshrrev_b32_e32 v48, 10, v17
	s_mov_b32 s14, exec_lo
	v_sub_nc_u32_e32 v70, v48, v52
	v_cmpx_lt_i32_e32 0, v70
	s_cbranch_execz .LBB2_4083
; %bb.4080:                             ;   in Loop: Header=BB2_4007 Depth=1
	v_mov_b32_e32 v49, v15
	v_mov_b32_e32 v48, v14
	s_mov_b32 s24, 0
	.p2align	6
.LBB2_4081:                             ;   Parent Loop BB2_4007 Depth=1
                                        ; =>  This Inner Loop Header: Depth=2
	v_add_co_u32 v84, vcc_lo, v36, v48
	v_add_co_ci_u32_e64 v85, null, v37, v49, vcc_lo
	v_sub_nc_u32_e32 v70, v70, v51
	v_add_co_u32 v96, vcc_lo, v38, v48
	s_clause 0x1
	global_load_dwordx4 v[80:83], v[84:85], off slc
	global_load_dwordx4 v[84:87], v[84:85], off offset:512 slc
	v_add_co_ci_u32_e64 v97, null, v39, v49, vcc_lo
	v_cmp_gt_i32_e32 vcc_lo, 1, v70
	v_add_co_u32 v48, s13, v48, v54
	v_add_co_ci_u32_e64 v49, null, 0, v49, s13
	s_or_b32 s24, vcc_lo, s24
	s_waitcnt vmcnt(1)
	global_store_dwordx4 v[96:97], v[80:83], off glc slc
	s_waitcnt vmcnt(0)
	global_store_dwordx4 v[96:97], v[84:87], off offset:512 glc slc
	s_andn2_b32 exec_lo, exec_lo, s24
	s_cbranch_execnz .LBB2_4081
; %bb.4082:                             ;   in Loop: Header=BB2_4007 Depth=1
	s_or_b32 exec_lo, exec_lo, s24
.LBB2_4083:                             ;   in Loop: Header=BB2_4007 Depth=1
	s_or_b32 exec_lo, exec_lo, s14
	v_and_b32_e32 v71, 0x3ffffc00, v17
	v_mov_b32_e32 v48, 0
	s_mov_b32 s13, 0
	s_mov_b32 s24, exec_lo
                                        ; implicit-def: $vgpr49
                                        ; implicit-def: $vgpr67
	v_cmpx_ne_u32_e64 v17, v71
	s_cbranch_execz .LBB2_4089
; %bb.4084:                             ;   in Loop: Header=BB2_4007 Depth=1
	v_and_b32_e32 v48, 0x1ff, v17
	v_lshlrev_b32_e32 v49, 9, v70
	v_sub_nc_u32_e32 v67, 0, v70
	v_bfe_u32 v81, v17, 9, 1
	v_and_b32_e32 v80, 0x3ff, v17
	v_cmp_lt_u32_e32 vcc_lo, 15, v48
	v_sub_nc_u32_e32 v70, v53, v49
	v_and_b32_e32 v67, 0x7ffffff, v67
	s_mov_b32 s25, exec_lo
	v_add_co_ci_u32_e64 v81, null, 0, v81, vcc_lo
	v_sub_nc_u32_e32 v49, v80, v70
	v_sub_nc_u32_e32 v67, v81, v67
	v_cmpx_lt_i32_e32 15, v49
	s_cbranch_execz .LBB2_4088
; %bb.4085:                             ;   in Loop: Header=BB2_4007 Depth=1
	v_add_nc_u32_e32 v70, v70, v71
	v_mov_b32_e32 v71, v11
	s_mov_b32 s26, 0
	.p2align	6
.LBB2_4086:                             ;   Parent Loop BB2_4007 Depth=1
                                        ; =>  This Inner Loop Header: Depth=2
	v_add_co_u32 v80, s13, v36, v70
	v_add_co_ci_u32_e64 v81, null, v37, v71, s13
	v_sub_nc_u32_e32 v49, v49, v55
	v_add_co_u32 v84, s13, v38, v70
	global_load_dwordx4 v[80:83], v[80:81], off slc
	v_add_co_ci_u32_e64 v85, null, v39, v71, s13
	v_cmp_gt_i32_e64 s13, 16, v49
	v_add_co_u32 v70, s14, v70, v55
	v_sub_nc_u32_e32 v67, v67, v51
	v_add_co_ci_u32_e64 v71, null, 0, v71, s14
	s_or_b32 s26, s13, s26
	s_waitcnt vmcnt(0)
	global_store_dwordx4 v[84:85], v[80:83], off glc slc
	s_andn2_b32 exec_lo, exec_lo, s26
	s_cbranch_execnz .LBB2_4086
; %bb.4087:                             ;   in Loop: Header=BB2_4007 Depth=1
	s_or_b32 exec_lo, exec_lo, s26
.LBB2_4088:                             ;   in Loop: Header=BB2_4007 Depth=1
	s_or_b32 exec_lo, exec_lo, s25
	v_cmp_lt_i32_e64 s13, 0, v67
	v_and_b32_e32 v49, 15, v17
	v_and_b32_e32 v70, 0x1f0, v17
	v_cndmask_b32_e64 v71, 0, v51, s13
	v_cndmask_b32_e32 v49, v48, v49, vcc_lo
	v_cndmask_b32_e32 v48, 0, v70, vcc_lo
	v_sub_nc_u32_e32 v67, v71, v67
	v_cmp_ne_u32_e32 vcc_lo, 0, v49
	v_and_or_b32 v48, 0x3ffffe00, v17, v48
	v_lshl_or_b32 v67, v67, 5, v50
	s_and_b32 s13, vcc_lo, exec_lo
.LBB2_4089:                             ;   in Loop: Header=BB2_4007 Depth=1
	s_or_b32 exec_lo, exec_lo, s24
	s_and_saveexec_b32 s14, s13
	s_cbranch_execz .LBB2_4098
.LBB2_4090:                             ;   in Loop: Header=BB2_4007 Depth=1
	v_ashrrev_i32_e32 v70, 31, v67
	v_lshrrev_b32_e32 v71, 8, v49
	s_mov_b32 s13, exec_lo
	v_lshrrev_b32_e32 v70, 27, v70
	v_add_nc_u32_e32 v80, v67, v70
	v_ashrrev_i32_e32 v70, 5, v80
	v_sub_nc_u32_e32 v71, v71, v70
	v_cmpx_lt_i32_e32 0, v71
	s_cbranch_execz .LBB2_4094
; %bb.4091:                             ;   in Loop: Header=BB2_4007 Depth=1
	v_and_b32_e32 v80, 0xffffffe0, v80
	v_lshlrev_b32_e32 v81, 8, v70
	s_mov_b32 s24, 0
	v_sub_nc_u32_e32 v80, v67, v80
	v_add3_u32 v80, v48, v80, v81
	v_ashrrev_i32_e32 v81, 31, v80
.LBB2_4092:                             ;   Parent Loop BB2_4007 Depth=1
                                        ; =>  This Inner Loop Header: Depth=2
	v_add_co_u32 v82, vcc_lo, v80, v36
	v_add_co_ci_u32_e64 v83, null, v81, v37, vcc_lo
	v_sub_nc_u32_e32 v71, v71, v51
	s_clause 0x7
	flat_load_ubyte v84, v[82:83] slc
	flat_load_ubyte v85, v[82:83] offset:32 slc
	flat_load_ubyte v86, v[82:83] offset:64 slc
	;; [unrolled: 1-line block ×7, first 2 shown]
	v_add_co_u32 v82, vcc_lo, v80, v38
	v_add_co_ci_u32_e64 v83, null, v81, v39, vcc_lo
	v_add_co_u32 v36, vcc_lo, v36, v64
	v_add_co_ci_u32_e64 v37, null, 0, v37, vcc_lo
	;; [unrolled: 2-line block ×3, first 2 shown]
	v_cmp_gt_i32_e32 vcc_lo, 1, v71
	s_waitcnt vmcnt(7) lgkmcnt(7)
	flat_store_byte v[82:83], v84 glc slc
	s_waitcnt vmcnt(6) lgkmcnt(7)
	flat_store_byte v[82:83], v85 offset:32 glc slc
	s_waitcnt vmcnt(5) lgkmcnt(7)
	flat_store_byte v[82:83], v86 offset:64 glc slc
	;; [unrolled: 2-line block ×7, first 2 shown]
	s_or_b32 s24, vcc_lo, s24
	s_andn2_b32 exec_lo, exec_lo, s24
	s_cbranch_execnz .LBB2_4092
; %bb.4093:                             ;   in Loop: Header=BB2_4007 Depth=1
	s_or_b32 exec_lo, exec_lo, s24
.LBB2_4094:                             ;   in Loop: Header=BB2_4007 Depth=1
	s_or_b32 exec_lo, exec_lo, s13
	v_and_b32_e32 v39, 0xffffff00, v49
	v_cmp_ne_u32_e32 vcc_lo, v49, v39
	s_and_b32 exec_lo, exec_lo, vcc_lo
	s_cbranch_execz .LBB2_4098
; %bb.4095:                             ;   in Loop: Header=BB2_4007 Depth=1
	v_lshlrev_b32_e32 v36, 5, v70
	v_lshlrev_b32_e32 v37, 5, v71
	v_sub_nc_u32_e32 v36, v67, v36
	v_sub_nc_u32_e32 v67, v36, v37
	v_sub_nc_u32_sdwa v38, v49, v67 dst_sel:DWORD dst_unused:UNUSED_PAD src0_sel:BYTE_0 src1_sel:DWORD
	v_cmp_lt_i32_e32 vcc_lo, 0, v38
	s_and_b32 exec_lo, exec_lo, vcc_lo
	s_cbranch_execz .LBB2_4098
; %bb.4096:                             ;   in Loop: Header=BB2_4007 Depth=1
	s_trap 2
	ds_read_b64 v[36:37], v0
	v_add3_u32 v39, v39, v48, v67
	s_mov_b32 s24, 0
	v_ashrrev_i32_e32 v48, 31, v39
	.p2align	6
.LBB2_4097:                             ;   Parent Loop BB2_4007 Depth=1
                                        ; =>  This Inner Loop Header: Depth=2
	s_waitcnt lgkmcnt(0)
	v_add_co_u32 v70, vcc_lo, v36, v39
	v_add_co_ci_u32_e64 v71, null, v37, v48, vcc_lo
	v_sub_nc_u32_e32 v38, v38, v65
	v_add_co_u32 v39, s13, v39, v65
	flat_load_ubyte v49, v[70:71] slc
	v_add_co_ci_u32_e64 v48, null, 0, v48, s13
	v_cmp_gt_i32_e32 vcc_lo, 1, v38
	s_or_b32 s24, vcc_lo, s24
	s_waitcnt vmcnt(0) lgkmcnt(0)
	flat_store_byte v[70:71], v49 glc slc
	s_andn2_b32 exec_lo, exec_lo, s24
	s_cbranch_execnz .LBB2_4097
.LBB2_4098:                             ;   in Loop: Header=BB2_4007 Depth=1
	s_or_b32 exec_lo, exec_lo, s14
	v_cmp_ne_u32_e64 s13, 0, v17
	s_and_saveexec_b32 s14, s6
	s_cbranch_execz .LBB2_4117
.LBB2_4099:                             ;   in Loop: Header=BB2_4007 Depth=1
	s_and_saveexec_b32 s24, s16
	s_xor_b32 s24, exec_lo, s24
	s_cbranch_execz .LBB2_4114
; %bb.4100:                             ;   in Loop: Header=BB2_4007 Depth=1
	s_and_saveexec_b32 s25, s7
	s_cbranch_execz .LBB2_4113
; %bb.4101:                             ;   in Loop: Header=BB2_4007 Depth=1
	s_mov_b32 s27, exec_lo
	s_mov_b32 s26, exec_lo
	v_mbcnt_lo_u32_b32 v17, s27, 0
	s_waitcnt vmcnt(0) lgkmcnt(0)
	s_waitcnt_vscnt null, 0x0
	buffer_gl1_inv
	buffer_gl0_inv
	v_cmpx_eq_u32_e32 0, v17
	s_cbranch_execz .LBB2_4103
; %bb.4102:                             ;   in Loop: Header=BB2_4007 Depth=1
	s_bcnt1_i32_b32 s27, s27
	v_mov_b32_e32 v37, v11
	v_mov_b32_e32 v36, s27
	ds_add_u64 v0, v[36:37]
	s_trap 2
.LBB2_4103:                             ;   in Loop: Header=BB2_4007 Depth=1
	s_or_b32 exec_lo, exec_lo, s26
	s_trap 2
	ds_read_b64 v[36:37], v0
	s_waitcnt lgkmcnt(0)
	buffer_gl0_inv
	v_add_co_u32 v26, vcc_lo, v26, v51
	v_add_co_ci_u32_e64 v27, null, 0, v27, vcc_lo
	s_mov_b32 s26, exec_lo
	v_cmpx_lt_u64_e64 v[36:37], v[26:27]
	s_cbranch_execz .LBB2_4112
; %bb.4104:                             ;   in Loop: Header=BB2_4007 Depth=1
	s_mov_b32 s27, 0
	s_mov_b32 s40, 0
                                        ; implicit-def: $sgpr28
                                        ; implicit-def: $sgpr29
	s_inst_prefetch 0x1
	s_branch .LBB2_4106
	.p2align	6
.LBB2_4105:                             ;   in Loop: Header=BB2_4106 Depth=2
	s_or_b32 exec_lo, exec_lo, s42
	s_and_b32 s41, exec_lo, s43
	s_or_b32 s27, s41, s27
	s_andn2_b32 s28, s28, exec_lo
	s_and_b32 s41, s29, exec_lo
	s_or_b32 s28, s28, s41
	s_andn2_b32 exec_lo, exec_lo, s27
	s_cbranch_execz .LBB2_4110
.LBB2_4106:                             ;   Parent Loop BB2_4007 Depth=1
                                        ; =>  This Inner Loop Header: Depth=2
	s_add_i32 s40, s40, 1
	s_cmpk_lg_i32 s40, 0x2710
	s_cselect_b32 s41, -1, 0
	s_and_b32 vcc_lo, exec_lo, s41
	s_cbranch_vccz .LBB2_4108
; %bb.4107:                             ;   in Loop: Header=BB2_4106 Depth=2
	s_mov_b32 s43, -1
	s_or_b32 s29, s29, exec_lo
	s_and_saveexec_b32 s42, s41
	s_cbranch_execz .LBB2_4105
	s_branch .LBB2_4109
	.p2align	6
.LBB2_4108:                             ;   in Loop: Header=BB2_4106 Depth=2
	s_trap 2
	ds_read_b64 v[36:37], v0
	s_andn2_b32 s41, s41, exec_lo
	s_mov_b32 s40, 0
	s_waitcnt lgkmcnt(0)
	flat_load_dword v17, v[36:37] glc dlc
	s_waitcnt vmcnt(0) lgkmcnt(0)
	buffer_gl1_inv
	buffer_gl0_inv
	v_cmp_eq_u32_e32 vcc_lo, 0, v17
	s_and_b32 s42, vcc_lo, exec_lo
	s_or_b32 s41, s41, s42
	s_mov_b32 s43, -1
	s_or_b32 s29, s29, exec_lo
	s_and_saveexec_b32 s42, s41
	s_cbranch_execz .LBB2_4105
.LBB2_4109:                             ;   in Loop: Header=BB2_4106 Depth=2
	s_sleep 1
	s_trap 2
	ds_read_b64 v[36:37], v0
	s_waitcnt lgkmcnt(0)
	buffer_gl0_inv
	s_andn2_b32 s29, s29, exec_lo
	v_cmp_ge_u64_e32 vcc_lo, v[36:37], v[26:27]
	s_orn2_b32 s43, vcc_lo, exec_lo
	s_branch .LBB2_4105
.LBB2_4110:                             ;   in Loop: Header=BB2_4007 Depth=1
	s_inst_prefetch 0x2
	s_or_b32 exec_lo, exec_lo, s27
	s_and_saveexec_b32 s27, s28
	s_xor_b32 s27, exec_lo, s27
	s_cbranch_execz .LBB2_4112
; %bb.4111:                             ;   in Loop: Header=BB2_4007 Depth=1
	ds_write_b32 v0, v66
	s_trap 2
.LBB2_4112:                             ;   in Loop: Header=BB2_4007 Depth=1
	s_or_b32 exec_lo, exec_lo, s26
	;;#ASMSTART
	s_wakeup
	;;#ASMEND
.LBB2_4113:                             ;   in Loop: Header=BB2_4007 Depth=1
	s_or_b32 exec_lo, exec_lo, s25
.LBB2_4114:                             ;   in Loop: Header=BB2_4007 Depth=1
	s_andn2_saveexec_b32 s24, s24
	s_cbranch_execz .LBB2_4116
; %bb.4115:                             ;   in Loop: Header=BB2_4007 Depth=1
	s_waitcnt vmcnt(0) lgkmcnt(0)
	s_waitcnt_vscnt null, 0x0
	buffer_gl1_inv
	buffer_gl0_inv
	s_barrier
.LBB2_4116:                             ;   in Loop: Header=BB2_4007 Depth=1
	s_or_b32 exec_lo, exec_lo, s24
.LBB2_4117:                             ;   in Loop: Header=BB2_4007 Depth=1
	s_or_b32 exec_lo, exec_lo, s14
	v_and_b32_e32 v17, 16, v68
	v_cmp_ne_u32_e32 vcc_lo, 0, v17
	s_and_b32 s14, vcc_lo, s13
	s_and_saveexec_b32 s13, s14
	s_cbranch_execz .LBB2_4119
; %bb.4118:                             ;   in Loop: Header=BB2_4007 Depth=1
	s_waitcnt vmcnt(0) lgkmcnt(0)
	s_waitcnt_vscnt null, 0x0
	buffer_gl1_inv
	buffer_gl0_inv
.LBB2_4119:                             ;   in Loop: Header=BB2_4007 Depth=1
	s_or_b32 exec_lo, exec_lo, s13
	s_mov_b32 s13, exec_lo
	v_cmpx_ne_u32_e32 0, v17
	s_cbranch_execz .LBB2_4123
; %bb.4120:                             ;   in Loop: Header=BB2_4007 Depth=1
	s_and_saveexec_b32 s14, s12
	s_cbranch_execz .LBB2_4122
; %bb.4121:                             ;   in Loop: Header=BB2_4007 Depth=1
	s_waitcnt vmcnt(0) lgkmcnt(0)
	s_waitcnt_vscnt null, 0x0
	flat_store_dword v[34:35], v66
.LBB2_4122:                             ;   in Loop: Header=BB2_4007 Depth=1
	s_or_b32 exec_lo, exec_lo, s14
	v_add_co_u32 v8, vcc_lo, v8, 1
	v_add_co_ci_u32_e64 v9, null, 0, v9, vcc_lo
	s_waitcnt vmcnt(0) lgkmcnt(0)
	s_waitcnt_vscnt null, 0x0
	flat_store_dwordx2 v[22:23], v[8:9]
.LBB2_4123:                             ;   in Loop: Header=BB2_4007 Depth=1
	s_or_b32 exec_lo, exec_lo, s13
	v_mov_b32_e32 v17, v10
.LBB2_4124:                             ;   in Loop: Header=BB2_4007 Depth=1
	s_or_b32 exec_lo, exec_lo, s23
	s_and_saveexec_b32 s14, s22
	s_cbranch_execz .LBB2_4006
; %bb.4125:                             ;   in Loop: Header=BB2_4007 Depth=1
	v_sub_nc_u32_e32 v16, v16, v17
	v_and_b32_e32 v17, 8, v68
	s_mov_b32 s22, exec_lo
	v_min_i32_e32 v16, v10, v16
	v_cmpx_ne_u32_e32 0, v17
	s_cbranch_execz .LBB2_4147
; %bb.4126:                             ;   in Loop: Header=BB2_4007 Depth=1
	s_waitcnt vmcnt(0)
	v_add_co_u32 v38, vcc_lo, v28, 8
	v_add_co_ci_u32_e64 v39, null, 0, v29, vcc_lo
	s_waitcnt lgkmcnt(0)
	v_add_co_u32 v36, vcc_lo, v8, 1
	v_add_co_ci_u32_e64 v37, null, 0, v9, vcc_lo
	s_mov_b32 s23, exec_lo
	v_cmpx_lt_u64_e64 v[38:39], v[36:37]
	s_cbranch_execz .LBB2_4138
; %bb.4127:                             ;   in Loop: Header=BB2_4007 Depth=1
	v_and_b32_e32 v9, 64, v68
	s_mov_b32 s24, 0
	s_mov_b32 s28, 0
                                        ; implicit-def: $sgpr25
                                        ; implicit-def: $sgpr26
                                        ; implicit-def: $sgpr27
	v_cmp_eq_u32_e32 vcc_lo, 0, v9
	s_branch .LBB2_4131
.LBB2_4128:                             ;   in Loop: Header=BB2_4131 Depth=2
	s_waitcnt vmcnt(0) lgkmcnt(0)
	v_add_co_u32 v38, s13, v28, 8
	v_add_co_ci_u32_e64 v39, null, 0, v29, s13
	s_or_b32 s41, s41, exec_lo
	v_cmp_ge_u64_e64 s13, v[38:39], v[36:37]
	s_orn2_b32 s40, s13, exec_lo
.LBB2_4129:                             ;   in Loop: Header=BB2_4131 Depth=2
	s_or_b32 exec_lo, exec_lo, s43
	s_andn2_b32 s13, s27, exec_lo
	s_and_b32 s27, s41, exec_lo
	s_andn2_b32 s26, s26, exec_lo
	s_and_b32 s40, s40, exec_lo
	s_or_b32 s27, s13, s27
	s_or_b32 s26, s26, s40
.LBB2_4130:                             ;   in Loop: Header=BB2_4131 Depth=2
	s_or_b32 exec_lo, exec_lo, s29
	s_and_b32 s13, exec_lo, s26
	s_or_b32 s24, s13, s24
	s_andn2_b32 s13, s25, exec_lo
	s_and_b32 s25, s27, exec_lo
	s_or_b32 s25, s13, s25
	s_andn2_b32 exec_lo, exec_lo, s24
	s_cbranch_execz .LBB2_4135
.LBB2_4131:                             ;   Parent Loop BB2_4007 Depth=1
                                        ; =>  This Inner Loop Header: Depth=2
	s_sleep 1
	s_waitcnt vmcnt(0) lgkmcnt(0)
	flat_load_dwordx2 v[28:29], v[22:23] glc dlc
	s_or_b32 s27, s27, exec_lo
	s_or_b32 s26, s26, exec_lo
                                        ; implicit-def: $vgpr9
	s_and_saveexec_b32 s29, vcc_lo
	s_cbranch_execz .LBB2_4130
; %bb.4132:                             ;   in Loop: Header=BB2_4131 Depth=2
	s_cmpk_lt_i32 s28, 0x270f
	s_mov_b32 s40, -1
	s_cselect_b32 s42, -1, 0
	s_cmpk_gt_i32 s28, 0x270e
	s_cbranch_scc0 .LBB2_4134
; %bb.4133:                             ;   in Loop: Header=BB2_4131 Depth=2
	s_trap 2
	ds_read_b64 v[9:10], v0
	s_andn2_b32 s28, s42, exec_lo
	s_mov_b32 s41, 0
	s_waitcnt vmcnt(0) lgkmcnt(0)
	s_waitcnt_vscnt null, 0x0
	flat_load_dword v9, v[9:10] glc dlc
	s_waitcnt vmcnt(0) lgkmcnt(0)
	buffer_gl1_inv
	buffer_gl0_inv
	v_cmp_eq_u32_e64 s13, 0, v9
	s_and_b32 s13, s13, exec_lo
	s_or_b32 s42, s28, s13
	s_mov_b32 s28, 0
	s_and_saveexec_b32 s43, s42
	s_cbranch_execz .LBB2_4129
	s_branch .LBB2_4128
.LBB2_4134:                             ;   in Loop: Header=BB2_4131 Depth=2
	s_add_i32 s28, s28, 1
	s_mov_b32 s41, -1
                                        ; implicit-def: $vgpr9
	s_and_saveexec_b32 s43, s42
	s_cbranch_execz .LBB2_4129
	s_branch .LBB2_4128
.LBB2_4135:                             ;   in Loop: Header=BB2_4007 Depth=1
	s_or_b32 exec_lo, exec_lo, s24
	s_xor_b32 s13, s25, -1
	s_and_saveexec_b32 s24, s13
	s_xor_b32 s13, exec_lo, s24
	s_cbranch_execz .LBB2_4137
; %bb.4136:                             ;   in Loop: Header=BB2_4007 Depth=1
	v_or_b32_e32 v68, 64, v68
	s_waitcnt vmcnt(0) lgkmcnt(0)
	s_waitcnt_vscnt null, 0x0
	ds_write_b32 v0, v9
	s_trap 2
.LBB2_4137:                             ;   in Loop: Header=BB2_4007 Depth=1
	s_or_b32 exec_lo, exec_lo, s13
.LBB2_4138:                             ;   in Loop: Header=BB2_4007 Depth=1
	s_or_b32 exec_lo, exec_lo, s23
	v_and_b32_e32 v9, 0x100, v68
	v_and_b32_e32 v10, 7, v8
	s_mov_b32 s13, -1
	;;#ASMSTART
	s_wakeup
	;;#ASMEND
	v_cmp_ne_u32_e32 vcc_lo, 0, v9
                                        ; implicit-def: $vgpr8_vgpr9
	s_and_saveexec_b32 s23, vcc_lo
	s_cbranch_execz .LBB2_4142
; %bb.4139:                             ;   in Loop: Header=BB2_4007 Depth=1
	v_mad_u64_u32 v[38:39], null, v10, 24, v[6:7]
	v_ashrrev_i32_e32 v17, 31, v16
	flat_load_dword v8, v[38:39]
	flat_store_dwordx2 v[38:39], v[16:17] offset:8
	s_waitcnt vmcnt(0) lgkmcnt(1)
	v_cmp_eq_u32_e64 s13, 1, v8
	v_cmp_ne_u32_e32 vcc_lo, 1, v8
                                        ; implicit-def: $vgpr8_vgpr9
	s_and_saveexec_b32 s24, s13
	s_cbranch_execz .LBB2_4141
; %bb.4140:                             ;   in Loop: Header=BB2_4007 Depth=1
	flat_load_dword v8, v[38:39] offset:4 glc dlc
	s_waitcnt vmcnt(0) lgkmcnt(0)
	v_ashrrev_i32_e32 v9, 31, v8
.LBB2_4141:                             ;   in Loop: Header=BB2_4007 Depth=1
	s_or_b32 exec_lo, exec_lo, s24
	s_orn2_b32 s13, vcc_lo, exec_lo
.LBB2_4142:                             ;   in Loop: Header=BB2_4007 Depth=1
	s_or_b32 exec_lo, exec_lo, s23
	s_and_saveexec_b32 s23, s13
; %bb.4143:                             ;   in Loop: Header=BB2_4007 Depth=1
	v_mad_i64_i32 v[8:9], null, v10, v69, 0
; %bb.4144:                             ;   in Loop: Header=BB2_4007 Depth=1
	s_or_b32 exec_lo, exec_lo, s23
	v_add_co_u32 v8, vcc_lo, v24, v8
	v_and_b32_e32 v10, 0x2000, v68
	v_add_co_ci_u32_e64 v9, null, v25, v9, vcc_lo
	s_mov_b32 s13, exec_lo
	ds_write_b64 v0, v[8:9] offset:784
	v_cmpx_ne_u32_e32 0, v10
	s_cbranch_execz .LBB2_4146
; %bb.4145:                             ;   in Loop: Header=BB2_4007 Depth=1
	ds_read_b64 v[8:9], v0 offset:872
	s_waitcnt lgkmcnt(0)
	v_add_co_u32 v8, vcc_lo, v8, 1
	v_add_co_ci_u32_e64 v9, null, 0, v9, vcc_lo
	ds_write_b64 v0, v[8:9] offset:872
.LBB2_4146:                             ;   in Loop: Header=BB2_4007 Depth=1
	s_or_b32 exec_lo, exec_lo, s13
	v_mov_b32_e32 v8, v36
	v_mov_b32_e32 v9, v37
.LBB2_4147:                             ;   in Loop: Header=BB2_4007 Depth=1
	s_or_b32 exec_lo, exec_lo, s22
	s_and_saveexec_b32 s13, s6
	s_cbranch_execz .LBB2_4166
; %bb.4148:                             ;   in Loop: Header=BB2_4007 Depth=1
	s_and_saveexec_b32 s22, s16
	s_xor_b32 s22, exec_lo, s22
	s_cbranch_execz .LBB2_4163
; %bb.4149:                             ;   in Loop: Header=BB2_4007 Depth=1
	s_and_saveexec_b32 s23, s7
	s_cbranch_execz .LBB2_4162
; %bb.4150:                             ;   in Loop: Header=BB2_4007 Depth=1
	s_mov_b32 s25, exec_lo
	s_mov_b32 s24, exec_lo
	v_mbcnt_lo_u32_b32 v10, s25, 0
	s_waitcnt vmcnt(0) lgkmcnt(0)
	s_waitcnt_vscnt null, 0x0
	buffer_gl1_inv
	buffer_gl0_inv
	v_cmpx_eq_u32_e32 0, v10
	s_cbranch_execz .LBB2_4152
; %bb.4151:                             ;   in Loop: Header=BB2_4007 Depth=1
	s_bcnt1_i32_b32 s25, s25
	v_mov_b32_e32 v10, s25
	ds_add_u64 v0, v[10:11]
	s_trap 2
.LBB2_4152:                             ;   in Loop: Header=BB2_4007 Depth=1
	s_or_b32 exec_lo, exec_lo, s24
	s_trap 2
	ds_read_b64 v[36:37], v0
	s_waitcnt lgkmcnt(0)
	buffer_gl0_inv
	v_add_co_u32 v26, vcc_lo, v26, v51
	v_add_co_ci_u32_e64 v27, null, 0, v27, vcc_lo
	s_mov_b32 s24, exec_lo
	v_cmpx_lt_u64_e64 v[36:37], v[26:27]
	s_cbranch_execz .LBB2_4161
; %bb.4153:                             ;   in Loop: Header=BB2_4007 Depth=1
	s_mov_b32 s25, 0
	s_mov_b32 s28, 0
                                        ; implicit-def: $sgpr26
                                        ; implicit-def: $sgpr27
	s_inst_prefetch 0x1
	s_branch .LBB2_4155
	.p2align	6
.LBB2_4154:                             ;   in Loop: Header=BB2_4155 Depth=2
	s_or_b32 exec_lo, exec_lo, s40
	s_and_b32 s29, exec_lo, s41
	s_or_b32 s25, s29, s25
	s_andn2_b32 s26, s26, exec_lo
	s_and_b32 s29, s27, exec_lo
	s_or_b32 s26, s26, s29
	s_andn2_b32 exec_lo, exec_lo, s25
	s_cbranch_execz .LBB2_4159
.LBB2_4155:                             ;   Parent Loop BB2_4007 Depth=1
                                        ; =>  This Inner Loop Header: Depth=2
	s_add_i32 s28, s28, 1
	s_cmpk_lg_i32 s28, 0x2710
	s_cselect_b32 s29, -1, 0
	s_and_b32 vcc_lo, exec_lo, s29
	s_cbranch_vccz .LBB2_4157
; %bb.4156:                             ;   in Loop: Header=BB2_4155 Depth=2
	s_mov_b32 s41, -1
	s_or_b32 s27, s27, exec_lo
	s_and_saveexec_b32 s40, s29
	s_cbranch_execz .LBB2_4154
	s_branch .LBB2_4158
	.p2align	6
.LBB2_4157:                             ;   in Loop: Header=BB2_4155 Depth=2
	s_trap 2
	ds_read_b64 v[36:37], v0
	s_andn2_b32 s29, s29, exec_lo
	s_mov_b32 s28, 0
	s_waitcnt lgkmcnt(0)
	flat_load_dword v10, v[36:37] glc dlc
	s_waitcnt vmcnt(0) lgkmcnt(0)
	buffer_gl1_inv
	buffer_gl0_inv
	v_cmp_eq_u32_e32 vcc_lo, 0, v10
	s_and_b32 s40, vcc_lo, exec_lo
	s_or_b32 s29, s29, s40
	s_mov_b32 s41, -1
	s_or_b32 s27, s27, exec_lo
	s_and_saveexec_b32 s40, s29
	s_cbranch_execz .LBB2_4154
.LBB2_4158:                             ;   in Loop: Header=BB2_4155 Depth=2
	s_sleep 1
	s_trap 2
	ds_read_b64 v[36:37], v0
	s_waitcnt lgkmcnt(0)
	buffer_gl0_inv
	s_andn2_b32 s27, s27, exec_lo
	v_cmp_ge_u64_e32 vcc_lo, v[36:37], v[26:27]
	s_orn2_b32 s41, vcc_lo, exec_lo
	s_branch .LBB2_4154
.LBB2_4159:                             ;   in Loop: Header=BB2_4007 Depth=1
	s_inst_prefetch 0x2
	s_or_b32 exec_lo, exec_lo, s25
	s_and_saveexec_b32 s25, s26
	s_xor_b32 s25, exec_lo, s25
	s_cbranch_execz .LBB2_4161
; %bb.4160:                             ;   in Loop: Header=BB2_4007 Depth=1
	ds_write_b32 v0, v66
	s_trap 2
.LBB2_4161:                             ;   in Loop: Header=BB2_4007 Depth=1
	s_or_b32 exec_lo, exec_lo, s24
	;;#ASMSTART
	s_wakeup
	;;#ASMEND
.LBB2_4162:                             ;   in Loop: Header=BB2_4007 Depth=1
	s_or_b32 exec_lo, exec_lo, s23
.LBB2_4163:                             ;   in Loop: Header=BB2_4007 Depth=1
	s_andn2_saveexec_b32 s22, s22
	s_cbranch_execz .LBB2_4165
; %bb.4164:                             ;   in Loop: Header=BB2_4007 Depth=1
	s_waitcnt vmcnt(0) lgkmcnt(0)
	s_waitcnt_vscnt null, 0x0
	buffer_gl1_inv
	buffer_gl0_inv
	s_barrier
.LBB2_4165:                             ;   in Loop: Header=BB2_4007 Depth=1
	s_or_b32 exec_lo, exec_lo, s22
.LBB2_4166:                             ;   in Loop: Header=BB2_4007 Depth=1
	s_or_b32 exec_lo, exec_lo, s13
	s_trap 2
	ds_read_b32 v10, v0
	v_cmp_lt_i32_e32 vcc_lo, 0, v16
	s_waitcnt lgkmcnt(0)
	v_readfirstlane_b32 s13, v10
	v_and_b32_e32 v10, 16, v68
	s_cmp_eq_u32 s13, 0
	v_cmp_ne_u32_e64 s13, 0, v10
	s_cselect_b32 s22, -1, 0
	s_and_b32 s22, vcc_lo, s22
	s_and_b32 s22, s13, s22
	s_and_saveexec_b32 s13, s22
	s_cbranch_execz .LBB2_4168
; %bb.4167:                             ;   in Loop: Header=BB2_4007 Depth=1
	s_waitcnt vmcnt(0)
	s_waitcnt_vscnt null, 0x0
	buffer_gl1_inv
	buffer_gl0_inv
.LBB2_4168:                             ;   in Loop: Header=BB2_4007 Depth=1
	s_or_b32 exec_lo, exec_lo, s13
	s_mov_b32 s13, exec_lo
	v_cmpx_ne_u32_e32 0, v10
	s_cbranch_execz .LBB2_4005
; %bb.4169:                             ;   in Loop: Header=BB2_4007 Depth=1
	s_and_saveexec_b32 s22, s12
	s_cbranch_execz .LBB2_4004
; %bb.4170:                             ;   in Loop: Header=BB2_4007 Depth=1
	s_waitcnt vmcnt(0)
	s_waitcnt_vscnt null, 0x0
	flat_store_dword v[34:35], v66
	s_branch .LBB2_4004
.LBB2_4171:
	s_or_b32 exec_lo, exec_lo, s19
.LBB2_4172:
	s_or_b32 exec_lo, exec_lo, s18
.LBB2_4173:
	s_or_b32 exec_lo, exec_lo, s17
	v_and_b32_e32 v0, 0x800, v68
	s_mov_b32 s5, exec_lo
	v_cmpx_eq_u32_e32 0, v0
	s_cbranch_execz .LBB2_4206
; %bb.4174:
	v_and_b32_e32 v0, 48, v68
	s_mov_b32 s4, exec_lo
	v_cmpx_ne_u32_e32 0, v0
	s_cbranch_execz .LBB2_4176
; %bb.4175:
	s_waitcnt vmcnt(0) lgkmcnt(0)
	flat_store_dwordx2 v[20:21], v[8:9] offset:104
.LBB2_4176:
	s_or_b32 exec_lo, exec_lo, s4
	v_and_b32_e32 v0, 0x88, v68
	s_mov_b32 s6, exec_lo
	v_cmpx_eq_u32_e32 0x88, v0
	s_cbranch_execz .LBB2_4186
; %bb.4177:
	s_waitcnt vmcnt(0) lgkmcnt(0)
	v_add_nc_u32_e32 v0, -1, v8
	s_mov_b32 s7, 0
	v_and_b32_e32 v0, 7, v0
	v_mad_u64_u32 v[4:5], null, v0, 24, v[6:7]
	v_and_b32_e32 v0, 64, v68
	v_cmp_eq_u32_e64 s4, 0, v0
	flat_load_dwordx2 v[6:7], v[4:5] offset:8 glc dlc
	s_waitcnt vmcnt(0) lgkmcnt(0)
	v_cmp_ne_u64_e32 vcc_lo, -1, v[6:7]
	s_and_b32 s4, vcc_lo, s4
	s_and_b32 exec_lo, exec_lo, s4
	s_cbranch_execz .LBB2_4186
; %bb.4178:
	s_mov_b32 s11, 0
                                        ; implicit-def: $sgpr4
                                        ; implicit-def: $sgpr10
	s_inst_prefetch 0x1
	s_branch .LBB2_4181
	.p2align	6
.LBB2_4179:                             ;   in Loop: Header=BB2_4181 Depth=1
	flat_load_dwordx2 v[6:7], v[4:5] offset:8 glc dlc
	s_waitcnt vmcnt(0)
	s_andn2_b32 s10, s10, exec_lo
	s_waitcnt lgkmcnt(0)
	v_cmp_eq_u64_e32 vcc_lo, -1, v[6:7]
	s_orn2_b32 s13, vcc_lo, exec_lo
.LBB2_4180:                             ;   in Loop: Header=BB2_4181 Depth=1
	s_or_b32 exec_lo, exec_lo, s14
	s_and_b32 s12, exec_lo, s13
	s_or_b32 s7, s12, s7
	s_andn2_b32 s4, s4, exec_lo
	s_and_b32 s12, s10, exec_lo
	s_or_b32 s4, s4, s12
	s_andn2_b32 exec_lo, exec_lo, s7
	s_cbranch_execz .LBB2_4184
.LBB2_4181:                             ; =>This Inner Loop Header: Depth=1
	s_cmpk_lt_i32 s11, 0x270f
	s_cselect_b32 s12, -1, 0
	s_and_b32 vcc_lo, exec_lo, s12
	s_cbranch_vccnz .LBB2_4183
; %bb.4182:                             ;   in Loop: Header=BB2_4181 Depth=1
	s_trap 2
	ds_read_b64 v[6:7], v0
	s_andn2_b32 s12, s12, exec_lo
	s_mov_b32 s11, 0
	s_waitcnt lgkmcnt(0)
	s_waitcnt_vscnt null, 0x0
	flat_load_dword v0, v[6:7] glc dlc
	s_waitcnt vmcnt(0) lgkmcnt(0)
	buffer_gl1_inv
	buffer_gl0_inv
	v_cmp_eq_u32_e32 vcc_lo, 0, v0
	s_and_b32 s13, vcc_lo, exec_lo
	s_or_b32 s12, s12, s13
	s_mov_b32 s13, -1
	s_or_b32 s10, s10, exec_lo
	s_and_saveexec_b32 s14, s12
	s_cbranch_execz .LBB2_4180
	s_branch .LBB2_4179
	.p2align	6
.LBB2_4183:                             ;   in Loop: Header=BB2_4181 Depth=1
	s_add_i32 s11, s11, 1
                                        ; implicit-def: $vgpr0
	s_mov_b32 s13, -1
	s_or_b32 s10, s10, exec_lo
	s_and_saveexec_b32 s14, s12
	s_cbranch_execz .LBB2_4180
	s_branch .LBB2_4179
.LBB2_4184:
	s_inst_prefetch 0x2
	s_or_b32 exec_lo, exec_lo, s7
	s_and_saveexec_b32 s7, s4
	s_xor_b32 s7, exec_lo, s7
	s_cbranch_execz .LBB2_4186
; %bb.4185:
	s_waitcnt_vscnt null, 0x0
	ds_write_b32 v0, v0
	s_trap 2
.LBB2_4186:
	s_or_b32 exec_lo, exec_lo, s6
	v_and_b32_e32 v0, 0x2000, v68
	s_mov_b32 s4, exec_lo
	v_cmpx_ne_u32_e32 0, v0
	s_cbranch_execz .LBB2_4188
; %bb.4187:
	s_trap 2
	ds_read_b64 v[4:5], v0
	s_waitcnt lgkmcnt(0)
	flat_store_dwordx2 v[2:3], v[4:5] offset:16
.LBB2_4188:
	s_or_b32 exec_lo, exec_lo, s4
	v_cmp_ne_u32_e32 vcc_lo, 32, v1
	s_and_b32 exec_lo, exec_lo, vcc_lo
	s_cbranch_execz .LBB2_4206
; %bb.4189:
	s_waitcnt vmcnt(0)
	v_cmp_ne_u32_sdwa s4, v1, v30 src0_sel:DWORD src1_sel:WORD_0
	s_and_saveexec_b32 s6, s4
	s_xor_b32 s4, exec_lo, s6
	s_cbranch_execz .LBB2_4204
; %bb.4190:
	v_and_b32_e32 v0, 31, v31
	s_mov_b32 s6, exec_lo
	v_cmpx_eq_u32_e32 0, v0
	s_cbranch_execz .LBB2_4203
; %bb.4191:
	s_mov_b32 s10, exec_lo
	s_mov_b32 s7, exec_lo
	v_mbcnt_lo_u32_b32 v0, s10, 0
	s_waitcnt lgkmcnt(0)
	s_waitcnt_vscnt null, 0x0
	buffer_gl1_inv
	buffer_gl0_inv
	v_cmpx_eq_u32_e32 0, v0
	s_cbranch_execz .LBB2_4193
; %bb.4192:
	s_bcnt1_i32_b32 s10, s10
	v_mov_b32_e32 v3, 0
	v_mov_b32_e32 v2, s10
	ds_add_u64 v0, v[2:3]
	s_trap 2
.LBB2_4193:
	s_or_b32 exec_lo, exec_lo, s7
	s_trap 2
	ds_read_b64 v[2:3], v0
	s_waitcnt lgkmcnt(0)
	buffer_gl0_inv
	v_lshrrev_b32_e32 v0, 5, v1
	s_mov_b32 s7, exec_lo
	v_add_co_u32 v0, vcc_lo, v26, v0
	v_add_co_ci_u32_e64 v1, null, 0, v27, vcc_lo
	v_cmpx_lt_u64_e64 v[2:3], v[0:1]
	s_cbranch_execz .LBB2_4202
; %bb.4194:
	s_mov_b32 s10, 0
	s_mov_b32 s13, 0
                                        ; implicit-def: $sgpr11
                                        ; implicit-def: $sgpr12
	s_inst_prefetch 0x1
	s_branch .LBB2_4196
	.p2align	6
.LBB2_4195:                             ;   in Loop: Header=BB2_4196 Depth=1
	s_or_b32 exec_lo, exec_lo, s16
	s_and_b32 s14, exec_lo, s17
	s_or_b32 s10, s14, s10
	s_andn2_b32 s11, s11, exec_lo
	s_and_b32 s14, s12, exec_lo
	s_or_b32 s11, s11, s14
	s_andn2_b32 exec_lo, exec_lo, s10
	s_cbranch_execz .LBB2_4200
.LBB2_4196:                             ; =>This Inner Loop Header: Depth=1
	s_add_i32 s13, s13, 1
	s_cmpk_lg_i32 s13, 0x2710
	s_cselect_b32 s14, -1, 0
	s_and_b32 vcc_lo, exec_lo, s14
	s_cbranch_vccz .LBB2_4198
; %bb.4197:                             ;   in Loop: Header=BB2_4196 Depth=1
	s_mov_b32 s17, -1
	s_or_b32 s12, s12, exec_lo
	s_and_saveexec_b32 s16, s14
	s_cbranch_execz .LBB2_4195
	s_branch .LBB2_4199
.LBB2_4198:                             ;   in Loop: Header=BB2_4196 Depth=1
	s_trap 2
	ds_read_b64 v[2:3], v0
	s_andn2_b32 s14, s14, exec_lo
	s_mov_b32 s13, 0
	s_waitcnt lgkmcnt(0)
	flat_load_dword v2, v[2:3] glc dlc
	s_waitcnt vmcnt(0) lgkmcnt(0)
	buffer_gl1_inv
	buffer_gl0_inv
	v_cmp_eq_u32_e32 vcc_lo, 0, v2
	s_and_b32 s16, vcc_lo, exec_lo
	s_or_b32 s14, s14, s16
	s_mov_b32 s17, -1
	s_or_b32 s12, s12, exec_lo
	s_and_saveexec_b32 s16, s14
	s_cbranch_execz .LBB2_4195
.LBB2_4199:                             ;   in Loop: Header=BB2_4196 Depth=1
	s_sleep 1
	s_trap 2
	ds_read_b64 v[2:3], v0
	s_waitcnt lgkmcnt(0)
	buffer_gl0_inv
	s_andn2_b32 s12, s12, exec_lo
	v_cmp_ge_u64_e32 vcc_lo, v[2:3], v[0:1]
	s_orn2_b32 s17, vcc_lo, exec_lo
	s_branch .LBB2_4195
.LBB2_4200:
	s_inst_prefetch 0x2
	s_or_b32 exec_lo, exec_lo, s10
	s_and_saveexec_b32 s10, s11
	s_xor_b32 s10, exec_lo, s10
	s_cbranch_execz .LBB2_4202
; %bb.4201:
	v_mov_b32_e32 v0, 1
	ds_write_b32 v0, v0
	s_trap 2
.LBB2_4202:
	s_or_b32 exec_lo, exec_lo, s7
	;;#ASMSTART
	s_wakeup
	;;#ASMEND
.LBB2_4203:
	s_or_b32 exec_lo, exec_lo, s6
.LBB2_4204:
	s_andn2_saveexec_b32 s4, s4
	s_cbranch_execz .LBB2_4206
; %bb.4205:
	s_waitcnt lgkmcnt(0)
	s_waitcnt_vscnt null, 0x0
	buffer_gl1_inv
	buffer_gl0_inv
	s_barrier
.LBB2_4206:
	s_or_b32 exec_lo, exec_lo, s5
.LBB2_4207:
	s_andn2_saveexec_b32 s25, s15
	s_cbranch_execz .LBB2_4209
; %bb.4208:
	s_getpc_b64 s[4:5]
	s_add_u32 s4, s4, __PRETTY_FUNCTION__._ZN10PrimitivesI12rccl_bfloat810FuncMinMaxIS0_E12FanSymmetricILi1EELi0E11ProtoSimpleILi1ELi1ELi0ELi1ELi0ELi0EELi0ELb0ELi0ELi0ELi0EEC2EiiPKiS9_PKvPvmhhhP15ncclDevWorkCollP14ncclDevWorkP2pii@rel32@lo+4
	s_addc_u32 s5, s5, __PRETTY_FUNCTION__._ZN10PrimitivesI12rccl_bfloat810FuncMinMaxIS0_E12FanSymmetricILi1EELi0E11ProtoSimpleILi1ELi1ELi0ELi1ELi0ELi0EELi0ELb0ELi0ELi0ELi0EEC2EiiPKiS9_PKvPvmhhhP15ncclDevWorkCollP14ncclDevWorkP2pii@rel32@hi+12
	v_mov_b32_e32 v0, s4
	v_mov_b32_e32 v1, s5
	s_getpc_b64 s[6:7]
	s_add_u32 s6, s6, __assert_fail@rel32@lo+4
	s_addc_u32 s7, s7, __assert_fail@rel32@hi+12
	s_swappc_b64 s[30:31], s[6:7]
	; divergent unreachable
.LBB2_4209:
	s_or_b32 exec_lo, exec_lo, s25
	s_clause 0x9
	buffer_load_dword v57, off, s[0:3], s33
	buffer_load_dword v56, off, s[0:3], s33 offset:4
	buffer_load_dword v47, off, s[0:3], s33 offset:8
	;; [unrolled: 1-line block ×9, first 2 shown]
	v_readlane_b32 s30, v58, 0
	v_readlane_b32 s31, v58, 1
	s_mov_b32 s32, s33
	s_or_saveexec_b32 s4, -1
	buffer_load_dword v58, off, s[0:3], s33 offset:40 ; 4-byte Folded Reload
	s_mov_b32 exec_lo, s4
	s_mov_b32 s33, s47
	s_waitcnt vmcnt(0) lgkmcnt(0)
	s_setpc_b64 s[30:31]
.Lfunc_end2:
	.size	_ZN12_GLOBAL__N_17runRingI12rccl_bfloat810FuncMinMaxIS1_E11ProtoSimpleILi1ELi1ELi0ELi1ELi0ELi0EELi0ELi1ELi0EEEviiP15ncclDevWorkColl, .Lfunc_end2-_ZN12_GLOBAL__N_17runRingI12rccl_bfloat810FuncMinMaxIS1_E11ProtoSimpleILi1ELi1ELi0ELi1ELi0ELi0EELi0ELi1ELi0EEEviiP15ncclDevWorkColl
                                        ; -- End function
	.set .L_ZN12_GLOBAL__N_17runRingI12rccl_bfloat810FuncMinMaxIS1_E11ProtoSimpleILi1ELi1ELi0ELi1ELi0ELi0EELi0ELi1ELi0EEEviiP15ncclDevWorkColl.num_vgpr, max(120, .L__assert_fail.num_vgpr)
	.set .L_ZN12_GLOBAL__N_17runRingI12rccl_bfloat810FuncMinMaxIS1_E11ProtoSimpleILi1ELi1ELi0ELi1ELi0ELi0EELi0ELi1ELi0EEEviiP15ncclDevWorkColl.num_agpr, max(0, .L__assert_fail.num_agpr)
	.set .L_ZN12_GLOBAL__N_17runRingI12rccl_bfloat810FuncMinMaxIS1_E11ProtoSimpleILi1ELi1ELi0ELi1ELi0ELi0EELi0ELi1ELi0EEEviiP15ncclDevWorkColl.numbered_sgpr, max(48, .L__assert_fail.numbered_sgpr)
	.set .L_ZN12_GLOBAL__N_17runRingI12rccl_bfloat810FuncMinMaxIS1_E11ProtoSimpleILi1ELi1ELi0ELi1ELi0ELi0EELi0ELi1ELi0EEEviiP15ncclDevWorkColl.num_named_barrier, max(0, .L__assert_fail.num_named_barrier)
	.set .L_ZN12_GLOBAL__N_17runRingI12rccl_bfloat810FuncMinMaxIS1_E11ProtoSimpleILi1ELi1ELi0ELi1ELi0ELi0EELi0ELi1ELi0EEEviiP15ncclDevWorkColl.private_seg_size, 48+max(.L__assert_fail.private_seg_size)
	.set .L_ZN12_GLOBAL__N_17runRingI12rccl_bfloat810FuncMinMaxIS1_E11ProtoSimpleILi1ELi1ELi0ELi1ELi0ELi0EELi0ELi1ELi0EEEviiP15ncclDevWorkColl.uses_vcc, or(1, .L__assert_fail.uses_vcc)
	.set .L_ZN12_GLOBAL__N_17runRingI12rccl_bfloat810FuncMinMaxIS1_E11ProtoSimpleILi1ELi1ELi0ELi1ELi0ELi0EELi0ELi1ELi0EEEviiP15ncclDevWorkColl.uses_flat_scratch, or(1, .L__assert_fail.uses_flat_scratch)
	.set .L_ZN12_GLOBAL__N_17runRingI12rccl_bfloat810FuncMinMaxIS1_E11ProtoSimpleILi1ELi1ELi0ELi1ELi0ELi0EELi0ELi1ELi0EEEviiP15ncclDevWorkColl.has_dyn_sized_stack, or(0, .L__assert_fail.has_dyn_sized_stack)
	.set .L_ZN12_GLOBAL__N_17runRingI12rccl_bfloat810FuncMinMaxIS1_E11ProtoSimpleILi1ELi1ELi0ELi1ELi0ELi0EELi0ELi1ELi0EEEviiP15ncclDevWorkColl.has_recursion, or(1, .L__assert_fail.has_recursion)
	.set .L_ZN12_GLOBAL__N_17runRingI12rccl_bfloat810FuncMinMaxIS1_E11ProtoSimpleILi1ELi1ELi0ELi1ELi0ELi0EELi0ELi1ELi0EEEviiP15ncclDevWorkColl.has_indirect_call, or(0, .L__assert_fail.has_indirect_call)
	.section	.AMDGPU.csdata,"",@progbits
; Function info:
; codeLenInByte = 126000
; TotalNumSgprs: 50
; NumVgprs: 120
; ScratchSize: 112
; MemoryBound: 1
	.text
	.p2align	2                               ; -- Begin function _Z50ncclDevFunc_Reduce_RING_SIMPLE_MinMax_f8e5m2_0_0_1v
	.type	_Z50ncclDevFunc_Reduce_RING_SIMPLE_MinMax_f8e5m2_0_0_1v,@function
_Z50ncclDevFunc_Reduce_RING_SIMPLE_MinMax_f8e5m2_0_0_1v: ; @_Z50ncclDevFunc_Reduce_RING_SIMPLE_MinMax_f8e5m2_0_0_1v
; %bb.0:
	s_waitcnt vmcnt(0) expcnt(0) lgkmcnt(0)
	s_mov_b32 s61, s33
	s_mov_b32 s33, s32
	s_or_saveexec_b32 s4, -1
	buffer_store_dword v43, off, s[0:3], s33 offset:16 ; 4-byte Folded Spill
	s_mov_b32 exec_lo, s4
	s_addk_i32 s32, 0x400
	buffer_store_dword v40, off, s[0:3], s33 offset:12 ; 4-byte Folded Spill
	buffer_store_dword v41, off, s[0:3], s33 offset:8 ; 4-byte Folded Spill
	;; [unrolled: 1-line block ×3, first 2 shown]
	buffer_store_dword v58, off, s[0:3], s33 ; 4-byte Folded Spill
	v_writelane_b32 v43, s30, 0
	v_writelane_b32 v43, s31, 1
	s_trap 2
	ds_read_b32 v0, v0
	v_mov_b32_e32 v40, v31
	s_mov_b32 s58, s12
	s_mov_b64 s[56:57], s[8:9]
	s_mov_b32 s4, exec_lo
	v_and_b32_e32 v41, 0x3ff, v40
	s_waitcnt lgkmcnt(0)
	v_cmpx_lt_i32_e64 v41, v0
	s_cbranch_execz .LBB3_5
; %bb.1:
	s_load_dword s5, s[56:57], 0x0
	v_mov_b32_e32 v1, 0
	v_mov_b32_e32 v3, v41
                                        ; implicit-def: $vgpr4
	s_waitcnt lgkmcnt(0)
	s_cmp_lt_u32 s58, s5
	s_cselect_b32 s5, 12, 18
	s_add_u32 s6, s56, s5
	s_addc_u32 s7, s57, 0
	s_mov_b32 s5, 0
	global_load_ushort v1, v1, s[6:7]
	s_trap 2
	ds_read_b32 v2, v0
	s_mov_b32 s6, 0
	s_waitcnt vmcnt(0) lgkmcnt(0)
	v_mul_lo_u32 v2, v2, v1
	s_branch .LBB3_3
	.p2align	6
.LBB3_2:                                ;   in Loop: Header=BB3_3 Depth=1
	s_or_b32 exec_lo, exec_lo, s7
	v_add_nc_u32_e32 v3, v3, v1
	v_add_nc_u32_e32 v4, v4, v2
	v_cmp_ge_i32_e32 vcc_lo, v3, v0
	s_or_b32 s6, vcc_lo, s6
	s_andn2_b32 exec_lo, exec_lo, s6
	s_cbranch_execz .LBB3_5
.LBB3_3:                                ; =>This Inner Loop Header: Depth=1
	ds_read_b32 v5, v4
	s_mov_b32 s7, exec_lo
	s_waitcnt lgkmcnt(0)
	v_and_b32_e32 v5, 0x1000000, v5
	v_cmpx_ne_u32_e32 0, v5
	s_cbranch_execz .LBB3_2
; %bb.4:                                ;   in Loop: Header=BB3_3 Depth=1
	ds_read_b64 v[5:6], v4 offset:104
	s_waitcnt lgkmcnt(0)
	flat_load_ubyte v5, v[5:6]
	v_mov_b32_e32 v6, s5
	s_waitcnt vmcnt(0) lgkmcnt(0)
	v_and_b32_e32 v5, 0xffff, v5
	ds_write_b64 v4, v[5:6] offset:104
	s_branch .LBB3_2
.LBB3_5:
	s_or_b32 exec_lo, exec_lo, s4
	s_waitcnt lgkmcnt(0)
	s_waitcnt_vscnt null, 0x0
	s_barrier
	buffer_gl0_inv
	s_trap 2
	ds_read_b32 v0, v0
	s_waitcnt lgkmcnt(0)
	v_cmp_gt_i32_e32 vcc_lo, 1, v0
	s_cbranch_vccnz .LBB3_13
; %bb.6:
	v_mov_b32_e32 v42, 5
	s_mov_b32 s59, 0
	s_inst_prefetch 0x1
	s_branch .LBB3_8
	.p2align	6
.LBB3_7:                                ;   in Loop: Header=BB3_8 Depth=1
	s_or_b32 exec_lo, exec_lo, s60
	s_trap 2
	ds_read_b32 v0, v0
	s_add_i32 s59, s59, 1
	s_waitcnt lgkmcnt(0)
	v_cmp_lt_i32_e32 vcc_lo, s59, v0
	s_cbranch_vccz .LBB3_13
.LBB3_8:                                ; =>This Inner Loop Header: Depth=1
	s_trap 2
	ds_read_b32 v0, v0
	s_cmp_eq_u32 s59, 0
	s_cbranch_scc1 .LBB3_11
; %bb.9:                                ;   in Loop: Header=BB3_8 Depth=1
	s_trap 2
	s_waitcnt lgkmcnt(0)
	ds_read_b32 v1, v0
	s_waitcnt lgkmcnt(0)
	v_xor_b32_e32 v1, v1, v0
	v_and_b32_e32 v1, 0xff0000, v1
	v_cmp_eq_u32_e32 vcc_lo, 0, v1
	s_cbranch_vccnz .LBB3_11
; %bb.10:                               ;   in Loop: Header=BB3_8 Depth=1
	s_barrier
	buffer_gl0_inv
	ds_read_b32 v0, v0
.LBB3_11:                               ;   in Loop: Header=BB3_8 Depth=1
	s_waitcnt lgkmcnt(0)
	v_lshlrev_b32_sdwa v1, v42, v0 dst_sel:DWORD dst_unused:UNUSED_PAD src0_sel:DWORD src1_sel:BYTE_2
	s_mov_b32 s60, exec_lo
	v_cmpx_lt_u32_e64 v41, v1
	s_cbranch_execz .LBB3_7
; %bb.12:                               ;   in Loop: Header=BB3_8 Depth=1
	s_mov_b64 s[4:5], src_shared_base
	v_mov_b32_e32 v31, v40
	v_mov_b32_e32 v0, v41
	;; [unrolled: 1-line block ×3, first 2 shown]
	s_getpc_b64 s[6:7]
	s_add_u32 s6, s6, _ZN12_GLOBAL__N_17runRingI12rccl_bfloat810FuncMinMaxIS1_E11ProtoSimpleILi1ELi1ELi0ELi1ELi0ELi0EELi0ELi1ELi0EEEviiP15ncclDevWorkColl@rel32@lo+4
	s_addc_u32 s7, s7, _ZN12_GLOBAL__N_17runRingI12rccl_bfloat810FuncMinMaxIS1_E11ProtoSimpleILi1ELi1ELi0ELi1ELi0ELi0EELi0ELi1ELi0EEEviiP15ncclDevWorkColl@rel32@hi+12
	s_mov_b64 s[8:9], s[56:57]
	s_mov_b32 s12, s58
	s_swappc_b64 s[30:31], s[6:7]
	s_branch .LBB3_7
.LBB3_13:
	s_inst_prefetch 0x2
	s_clause 0x3
	buffer_load_dword v58, off, s[0:3], s33
	buffer_load_dword v42, off, s[0:3], s33 offset:4
	buffer_load_dword v41, off, s[0:3], s33 offset:8
	;; [unrolled: 1-line block ×3, first 2 shown]
	v_readlane_b32 s30, v43, 0
	v_readlane_b32 s31, v43, 1
	s_mov_b32 s32, s33
	s_or_saveexec_b32 s4, -1
	buffer_load_dword v43, off, s[0:3], s33 offset:16 ; 4-byte Folded Reload
	s_mov_b32 exec_lo, s4
	s_mov_b32 s33, s61
	s_waitcnt vmcnt(0)
	s_setpc_b64 s[30:31]
.Lfunc_end3:
	.size	_Z50ncclDevFunc_Reduce_RING_SIMPLE_MinMax_f8e5m2_0_0_1v, .Lfunc_end3-_Z50ncclDevFunc_Reduce_RING_SIMPLE_MinMax_f8e5m2_0_0_1v
                                        ; -- End function
	.set .L_Z50ncclDevFunc_Reduce_RING_SIMPLE_MinMax_f8e5m2_0_0_1v.num_vgpr, max(59, .L_ZN12_GLOBAL__N_17runRingI12rccl_bfloat810FuncMinMaxIS1_E11ProtoSimpleILi1ELi1ELi0ELi1ELi0ELi0EELi0ELi1ELi0EEEviiP15ncclDevWorkColl.num_vgpr)
	.set .L_Z50ncclDevFunc_Reduce_RING_SIMPLE_MinMax_f8e5m2_0_0_1v.num_agpr, max(0, .L_ZN12_GLOBAL__N_17runRingI12rccl_bfloat810FuncMinMaxIS1_E11ProtoSimpleILi1ELi1ELi0ELi1ELi0ELi0EELi0ELi1ELi0EEEviiP15ncclDevWorkColl.num_agpr)
	.set .L_Z50ncclDevFunc_Reduce_RING_SIMPLE_MinMax_f8e5m2_0_0_1v.numbered_sgpr, max(62, .L_ZN12_GLOBAL__N_17runRingI12rccl_bfloat810FuncMinMaxIS1_E11ProtoSimpleILi1ELi1ELi0ELi1ELi0ELi0EELi0ELi1ELi0EEEviiP15ncclDevWorkColl.numbered_sgpr)
	.set .L_Z50ncclDevFunc_Reduce_RING_SIMPLE_MinMax_f8e5m2_0_0_1v.num_named_barrier, max(0, .L_ZN12_GLOBAL__N_17runRingI12rccl_bfloat810FuncMinMaxIS1_E11ProtoSimpleILi1ELi1ELi0ELi1ELi0ELi0EELi0ELi1ELi0EEEviiP15ncclDevWorkColl.num_named_barrier)
	.set .L_Z50ncclDevFunc_Reduce_RING_SIMPLE_MinMax_f8e5m2_0_0_1v.private_seg_size, 32+max(.L_ZN12_GLOBAL__N_17runRingI12rccl_bfloat810FuncMinMaxIS1_E11ProtoSimpleILi1ELi1ELi0ELi1ELi0ELi0EELi0ELi1ELi0EEEviiP15ncclDevWorkColl.private_seg_size)
	.set .L_Z50ncclDevFunc_Reduce_RING_SIMPLE_MinMax_f8e5m2_0_0_1v.uses_vcc, or(1, .L_ZN12_GLOBAL__N_17runRingI12rccl_bfloat810FuncMinMaxIS1_E11ProtoSimpleILi1ELi1ELi0ELi1ELi0ELi0EELi0ELi1ELi0EEEviiP15ncclDevWorkColl.uses_vcc)
	.set .L_Z50ncclDevFunc_Reduce_RING_SIMPLE_MinMax_f8e5m2_0_0_1v.uses_flat_scratch, or(0, .L_ZN12_GLOBAL__N_17runRingI12rccl_bfloat810FuncMinMaxIS1_E11ProtoSimpleILi1ELi1ELi0ELi1ELi0ELi0EELi0ELi1ELi0EEEviiP15ncclDevWorkColl.uses_flat_scratch)
	.set .L_Z50ncclDevFunc_Reduce_RING_SIMPLE_MinMax_f8e5m2_0_0_1v.has_dyn_sized_stack, or(0, .L_ZN12_GLOBAL__N_17runRingI12rccl_bfloat810FuncMinMaxIS1_E11ProtoSimpleILi1ELi1ELi0ELi1ELi0ELi0EELi0ELi1ELi0EEEviiP15ncclDevWorkColl.has_dyn_sized_stack)
	.set .L_Z50ncclDevFunc_Reduce_RING_SIMPLE_MinMax_f8e5m2_0_0_1v.has_recursion, or(1, .L_ZN12_GLOBAL__N_17runRingI12rccl_bfloat810FuncMinMaxIS1_E11ProtoSimpleILi1ELi1ELi0ELi1ELi0ELi0EELi0ELi1ELi0EEEviiP15ncclDevWorkColl.has_recursion)
	.set .L_Z50ncclDevFunc_Reduce_RING_SIMPLE_MinMax_f8e5m2_0_0_1v.has_indirect_call, or(0, .L_ZN12_GLOBAL__N_17runRingI12rccl_bfloat810FuncMinMaxIS1_E11ProtoSimpleILi1ELi1ELi0ELi1ELi0ELi0EELi0ELi1ELi0EEEviiP15ncclDevWorkColl.has_indirect_call)
	.section	.AMDGPU.csdata,"",@progbits
; Function info:
; codeLenInByte = 728
; TotalNumSgprs: 64
; NumVgprs: 120
; ScratchSize: 144
; MemoryBound: 0
	.text
	.p2align	2                               ; -- Begin function _ZN12_GLOBAL__N_17runRingI12rccl_bfloat810FuncMinMaxIS1_E11ProtoSimpleILi1ELi1ELi0ELi2ELi0ELi0EELi0ELi2ELi0EEEviiP15ncclDevWorkColl
	.type	_ZN12_GLOBAL__N_17runRingI12rccl_bfloat810FuncMinMaxIS1_E11ProtoSimpleILi1ELi1ELi0ELi2ELi0ELi0EELi0ELi2ELi0EEEviiP15ncclDevWorkColl,@function
_ZN12_GLOBAL__N_17runRingI12rccl_bfloat810FuncMinMaxIS1_E11ProtoSimpleILi1ELi1ELi0ELi2ELi0ELi0EELi0ELi2ELi0EEEviiP15ncclDevWorkColl: ; @_ZN12_GLOBAL__N_17runRingI12rccl_bfloat810FuncMinMaxIS1_E11ProtoSimpleILi1ELi1ELi0ELi2ELi0ELi0EELi0ELi2ELi0EEEviiP15ncclDevWorkColl
; %bb.0:
	s_waitcnt vmcnt(0) expcnt(0) lgkmcnt(0)
	s_mov_b32 s47, s33
	s_mov_b32 s33, s32
	s_or_saveexec_b32 s4, -1
	buffer_store_dword v78, off, s[0:3], s33 offset:88 ; 4-byte Folded Spill
	s_mov_b32 exec_lo, s4
	s_addk_i32 s32, 0xc00
	buffer_store_dword v40, off, s[0:3], s33 offset:84 ; 4-byte Folded Spill
	buffer_store_dword v41, off, s[0:3], s33 offset:80 ; 4-byte Folded Spill
	;; [unrolled: 1-line block ×21, first 2 shown]
	buffer_store_dword v77, off, s[0:3], s33 ; 4-byte Folded Spill
	v_writelane_b32 v78, s30, 0
	v_writelane_b32 v78, s31, 1
	s_trap 2
	ds_read_b64 v[14:15], v0
	ds_read_b32 v6, v0
	flat_load_dwordx2 v[8:9], v[2:3]
                                        ; implicit-def: $vgpr17_vgpr18
                                        ; implicit-def: $vgpr26_vgpr27
	s_waitcnt lgkmcnt(2)
	v_ashrrev_i32_e32 v5, 31, v15
	v_mov_b32_e32 v4, v15
	v_lshlrev_b64 v[4:5], 2, v[4:5]
	v_add_co_u32 v4, vcc_lo, v14, v4
	v_add_co_ci_u32_e64 v5, null, v15, v5, vcc_lo
	v_add_co_u32 v4, vcc_lo, -4, v4
	v_add_co_ci_u32_e64 v5, null, -1, v5, vcc_lo
	flat_load_ushort v16, v[2:3] offset:8
	flat_load_dword v24, v[4:5]
                                        ; implicit-def: $vgpr4_vgpr5
	s_waitcnt vmcnt(2) lgkmcnt(2)
	v_mov_b32_e32 v15, v9
	v_cmp_ne_u32_sdwa s4, v6, v8 src0_sel:DWORD src1_sel:BYTE_0
	s_and_saveexec_b32 s5, s4
	s_xor_b32 s4, exec_lo, s5
	s_cbranch_execz .LBB4_6
; %bb.1:
	v_not_b32_sdwa v9, v8 dst_sel:DWORD dst_unused:UNUSED_PAD src0_sel:BYTE_0
	v_cmp_ne_u32_sdwa s5, v6, v8 src0_sel:DWORD src1_sel:BYTE_1
                                        ; implicit-def: $vgpr17_vgpr18
                                        ; implicit-def: $vgpr4_vgpr5
                                        ; implicit-def: $vgpr26_vgpr27
	s_and_saveexec_b32 s6, s5
	s_xor_b32 s5, exec_lo, s6
	s_cbranch_execz .LBB4_3
; %bb.2:
	s_clause 0x1
	flat_load_dwordx4 v[10:13], v[2:3] offset:72
	flat_load_dwordx2 v[4:5], v[2:3] offset:96
	v_add_nc_u32_e32 v6, v6, v9
                                        ; implicit-def: $vgpr8
                                        ; implicit-def: $vgpr9
	v_ashrrev_i32_e32 v7, 31, v6
	s_waitcnt vmcnt(1) lgkmcnt(1)
	v_mul_lo_u32 v7, v12, v7
	v_mad_u64_u32 v[26:27], null, v12, v6, v[10:11]
	v_mul_lo_u32 v6, v13, v6
	s_waitcnt vmcnt(0) lgkmcnt(0)
	v_lshrrev_b64 v[17:18], 12, v[4:5]
	v_mov_b32_e32 v4, v12
	v_mov_b32_e32 v5, v13
	v_add3_u32 v27, v6, v27, v7
.LBB4_3:
	s_andn2_saveexec_b32 s5, s5
	s_cbranch_execz .LBB4_5
; %bb.4:
	s_clause 0x1
	flat_load_dwordx4 v[10:13], v[2:3] offset:72
	flat_load_dwordx4 v[4:7], v[2:3] offset:88
	s_waitcnt vmcnt(0) lgkmcnt(0)
	v_add_nc_u32_sdwa v6, v8, v9 dst_sel:DWORD dst_unused:UNUSED_PAD src0_sel:BYTE_1 src1_sel:DWORD
	v_ashrrev_i32_e32 v8, 31, v6
	v_mul_lo_u32 v8, v12, v8
	v_mad_u64_u32 v[26:27], null, v12, v6, v[10:11]
	v_mul_lo_u32 v6, v13, v6
	v_lshrrev_b32_e32 v17, 1, v7
	v_add3_u32 v27, v6, v27, v8
.LBB4_5:
	s_or_b32 exec_lo, exec_lo, s5
.LBB4_6:
	s_andn2_saveexec_b32 s4, s4
	s_cbranch_execz .LBB4_8
; %bb.7:
	s_clause 0x1
	flat_load_dwordx2 v[6:7], v[2:3] offset:96
	flat_load_dwordx2 v[4:5], v[2:3] offset:72
	v_mov_b32_e32 v26, 0
	v_mov_b32_e32 v27, 0
	s_waitcnt vmcnt(1) lgkmcnt(1)
	v_lshlrev_b64 v[17:18], 9, v[6:7]
.LBB4_8:
	s_or_b32 exec_lo, exec_lo, s4
	s_trap 2
	ds_read_b64 v[6:7], v0
	s_mov_b32 s5, exec_lo
	s_waitcnt lgkmcnt(0)
	v_cmp_ne_u32_e32 vcc_lo, -1, v6
	v_cndmask_b32_e64 v25, 0, 1, vcc_lo
	v_cmp_ne_u32_e32 vcc_lo, -1, v7
	v_add_co_ci_u32_e64 v6, null, 0, v25, vcc_lo
	v_lshlrev_b32_e32 v7, 1, v6
	v_cmpx_le_u32_e64 v7, v1
	s_xor_b32 s15, exec_lo, s5
	s_cbranch_execnz .LBB4_9
; %bb.6322:
	s_getpc_b64 s[34:35]
.Lpost_getpc0:
	s_add_u32 s34, s34, (.LBB4_6319-.Lpost_getpc0)&4294967295
	s_addc_u32 s35, s35, (.LBB4_6319-.Lpost_getpc0)>>32
	s_setpc_b64 s[34:35]
.LBB4_9:
	s_clause 0x1
	flat_load_dwordx4 v[10:13], v[2:3] offset:16
	flat_load_dwordx2 v[18:19], v[2:3] offset:104
	s_trap 2
	s_load_dword s4, s[8:9], 0x0
	v_mov_b32_e32 v2, 0
	v_mov_b32_e32 v84, 4
	s_waitcnt lgkmcnt(0)
	s_cmp_lt_u32 s12, s4
	s_cselect_b32 s4, 12, 18
	s_add_u32 s4, s8, s4
	s_addc_u32 s5, s9, 0
	global_load_ushort v30, v2, s[4:5]
	ds_read_b32 v2, v0
	s_mov_b32 s5, exec_lo
	s_waitcnt lgkmcnt(0)
	v_readfirstlane_b32 s16, v2
	v_cmpx_ge_u32_e64 v0, v25
	s_cbranch_execz .LBB4_19
; %bb.10:
	v_cmp_ge_u32_e64 s4, v0, v6
                                        ; implicit-def: $vgpr84
	s_and_saveexec_b32 s6, s4
	s_xor_b32 s4, exec_lo, s6
	s_cbranch_execz .LBB4_16
; %bb.11:
	v_cndmask_b32_e64 v2, 0, 1, vcc_lo
	s_mov_b32 s6, exec_lo
	v_sub_nc_u32_e32 v2, v1, v2
	v_cmpx_ge_u32_e64 v0, v2
	s_xor_b32 s6, exec_lo, s6
; %bb.12:
                                        ; implicit-def: $vgpr6
; %bb.13:
	s_or_saveexec_b32 s6, s6
	v_mov_b32_e32 v84, 16
	s_xor_b32 exec_lo, exec_lo, s6
; %bb.14:
	v_sub_nc_u32_e32 v2, v1, v6
	v_cmp_lt_i32_e32 vcc_lo, v0, v2
	v_cndmask_b32_e64 v84, 32, 0, vcc_lo
; %bb.15:
	s_or_b32 exec_lo, exec_lo, s6
.LBB4_16:
	s_andn2_saveexec_b32 s4, s4
; %bb.17:
	v_mov_b32_e32 v84, 8
; %bb.18:
	s_or_b32 exec_lo, exec_lo, s4
.LBB4_19:
	s_or_b32 exec_lo, exec_lo, s5
	v_and_b32_e32 v2, 36, v84
	v_mov_b32_e32 v20, -1
	v_cmp_ne_u32_e32 vcc_lo, 0, v2
	s_and_saveexec_b32 s4, vcc_lo
	s_cbranch_execz .LBB4_21
; %bb.20:
	s_trap 2
	ds_read_b32 v20, v0
.LBB4_21:
	s_or_b32 exec_lo, exec_lo, s4
	v_and_b32_e32 v2, 24, v84
	s_mov_b32 s5, exec_lo
	v_cmpx_ne_u32_e32 0, v2
	s_cbranch_execz .LBB4_23
; %bb.22:
	s_trap 2
	s_waitcnt lgkmcnt(0)
	ds_read_b32 v20, v0
.LBB4_23:
	s_or_b32 exec_lo, exec_lo, s5
	s_waitcnt vmcnt(4)
	v_lshrrev_b64 v[2:3], 31, v[15:16]
	v_mov_b32_e32 v28, 0
	v_mov_b32_e32 v6, 0
	;; [unrolled: 1-line block ×3, first 2 shown]
	s_waitcnt lgkmcnt(0)
	v_ashrrev_i32_e32 v21, 31, v20
	v_mov_b32_e32 v7, 0
	v_and_b32_e32 v2, 3, v2
                                        ; implicit-def: $vgpr85
                                        ; implicit-def: $vgpr38_vgpr39
                                        ; implicit-def: $vgpr34_vgpr35
                                        ; implicit-def: $vgpr32_vgpr33
	v_and_b32_e32 v16, 0xffff, v2
                                        ; implicit-def: $vgpr2_vgpr3
	s_and_saveexec_b32 s4, vcc_lo
	s_cbranch_execz .LBB4_33
; %bb.24:
	s_trap 2
	ds_read_b64 v[2:3], v0
	v_lshlrev_b64 v[6:7], 3, v[20:21]
	s_waitcnt lgkmcnt(0)
	v_add_co_u32 v2, vcc_lo, v2, v6
	v_add_co_ci_u32_e64 v3, null, v3, v7, vcc_lo
	flat_load_dwordx2 v[2:3], v[2:3]
	s_waitcnt vmcnt(0) lgkmcnt(0)
	v_mad_u64_u32 v[22:23], null, 0xa8, v16, v[2:3]
	flat_load_dword v2, v[22:23] offset:640
	s_waitcnt vmcnt(0) lgkmcnt(0)
	v_cmp_eq_u32_e32 vcc_lo, 1, v2
                                        ; implicit-def: $vgpr2_vgpr3
	s_and_saveexec_b32 s5, vcc_lo
	s_cbranch_execz .LBB4_26
; %bb.25:
	flat_load_dwordx2 v[2:3], v[22:23] offset:648
	v_or_b32_e32 v84, 0x2000, v84
	s_waitcnt vmcnt(0) lgkmcnt(0)
	flat_load_dwordx2 v[6:7], v[2:3]
	s_trap 2
	s_waitcnt vmcnt(0) lgkmcnt(0)
	ds_write_b64 v0, v[6:7]
	flat_load_dwordx2 v[6:7], v[2:3] offset:8
	s_waitcnt vmcnt(0) lgkmcnt(0)
	ds_write_b64 v0, v[6:7]
	flat_load_dwordx2 v[6:7], v[2:3] offset:16
	s_waitcnt vmcnt(0) lgkmcnt(0)
	ds_write_b64 v0, v[6:7]
.LBB4_26:
	s_or_b32 exec_lo, exec_lo, s5
	flat_load_dwordx2 v[8:9], v[22:23] offset:608
	v_and_b32_e32 v6, 32, v84
	s_mov_b32 s5, exec_lo
                                        ; implicit-def: $vgpr32_vgpr33
	v_cmpx_ne_u32_e32 0, v6
	s_cbranch_execz .LBB4_28
; %bb.27:
	flat_load_dwordx2 v[32:33], v[22:23] offset:560
	s_waitcnt vmcnt(0) lgkmcnt(0)
	s_waitcnt_vscnt null, 0x0
	flat_store_dwordx2 v[32:33], v[8:9]
.LBB4_28:
	s_or_b32 exec_lo, exec_lo, s5
	v_and_b32_e32 v34, 4, v84
	v_add_co_u32 v28, vcc_lo, 0x1f8, v22
	v_mov_b32_e32 v6, 0
	v_add_co_ci_u32_e64 v29, null, 0, v23, vcc_lo
	v_mov_b32_e32 v7, 0
	v_cmp_ne_u32_e32 vcc_lo, 0, v34
                                        ; implicit-def: $vgpr85
                                        ; implicit-def: $vgpr38_vgpr39
                                        ; implicit-def: $vgpr34_vgpr35
	s_and_saveexec_b32 s5, vcc_lo
	s_cbranch_execz .LBB4_32
; %bb.29:
	v_and_b32_e32 v6, 0x800, v84
	s_mov_b32 s6, exec_lo
	v_cmpx_eq_u32_e32 0, v6
	s_cbranch_execz .LBB4_31
; %bb.30:
	s_trap 2
	ds_write_b64 v0, v[28:29]
.LBB4_31:
	s_or_b32 exec_lo, exec_lo, s6
	flat_load_dwordx2 v[32:33], v[22:23] offset:552
	s_waitcnt vmcnt(0) lgkmcnt(0)
	flat_load_dwordx2 v[38:39], v[32:33] glc dlc
	s_clause 0x2
	flat_load_dwordx2 v[6:7], v[22:23] offset:600
	flat_load_dword v85, v[22:23] offset:576
	flat_load_dwordx2 v[34:35], v[22:23] offset:520
	v_or_b32_e32 v22, 0x100, v84
	s_waitcnt vmcnt(2) lgkmcnt(2)
	v_cmp_eq_u64_e32 vcc_lo, 0, v[6:7]
	v_cndmask_b32_e32 v84, v22, v84, vcc_lo
.LBB4_32:
	s_or_b32 exec_lo, exec_lo, s5
.LBB4_33:
	s_or_b32 exec_lo, exec_lo, s4
	v_and_b32_e32 v22, 24, v84
	s_mov_b32 s4, exec_lo
                                        ; implicit-def: $vgpr50_vgpr51
	v_cmpx_ne_u32_e32 0, v22
	s_cbranch_execz .LBB4_41
; %bb.34:
	s_trap 2
	ds_read_b64 v[6:7], v0
	s_waitcnt vmcnt(0) lgkmcnt(1)
	v_lshlrev_b64 v[8:9], 3, v[20:21]
	s_mov_b32 s5, exec_lo
                                        ; implicit-def: $vgpr50_vgpr51
	s_waitcnt lgkmcnt(0)
	v_add_co_u32 v6, vcc_lo, v6, v8
	v_add_co_ci_u32_e64 v7, null, v7, v9, vcc_lo
	flat_load_dwordx2 v[6:7], v[6:7]
	s_waitcnt vmcnt(0) lgkmcnt(0)
	v_mad_u64_u32 v[28:29], null, 0xa8, v16, v[6:7]
	v_or_b32_e32 v16, 0x100, v84
	flat_load_dwordx4 v[6:9], v[28:29] offset:96
	s_waitcnt vmcnt(0) lgkmcnt(0)
	v_cmp_eq_u64_e32 vcc_lo, 0, v[6:7]
	v_cndmask_b32_e32 v84, v16, v84, vcc_lo
	v_and_b32_e32 v16, 16, v84
	v_cmpx_ne_u32_e32 0, v16
	s_cbranch_execz .LBB4_36
; %bb.35:
	s_clause 0x2
	flat_load_dwordx2 v[32:33], v[28:29] offset:48
	flat_load_dwordx2 v[50:51], v[28:29] offset:120
	;; [unrolled: 1-line block ×3, first 2 shown]
.LBB4_36:
	s_or_b32 exec_lo, exec_lo, s5
	v_and_b32_e32 v16, 8, v84
	s_mov_b32 s5, exec_lo
	v_cmpx_ne_u32_e32 0, v16
	s_cbranch_execz .LBB4_40
; %bb.37:
	v_and_b32_e32 v16, 0x800, v84
	s_mov_b32 s6, exec_lo
	v_cmpx_eq_u32_e32 0, v16
	s_cbranch_execz .LBB4_39
; %bb.38:
	s_trap 2
	ds_write_b64 v0, v[28:29]
.LBB4_39:
	s_or_b32 exec_lo, exec_lo, s6
	s_waitcnt vmcnt(2) lgkmcnt(2)
	flat_load_dwordx2 v[32:33], v[28:29] offset:56
	s_waitcnt vmcnt(0) lgkmcnt(0)
	flat_load_dwordx2 v[38:39], v[32:33] glc dlc
	s_clause 0x1
	flat_load_dword v85, v[28:29] offset:72
	flat_load_dwordx2 v[34:35], v[28:29] offset:16
.LBB4_40:
	s_or_b32 exec_lo, exec_lo, s5
.LBB4_41:
	s_or_b32 exec_lo, exec_lo, s4
	v_cmp_eq_u32_e64 s4, 0, v0
	s_and_saveexec_b32 s5, s4
	s_cbranch_execz .LBB4_43
; %bb.42:
	v_mov_b32_e32 v20, 0
	s_waitcnt vmcnt(2)
	ds_write2_b64 v0, v[12:13], v[10:11] offset1:1
	s_trap 2
	v_mov_b32_e32 v21, v20
	ds_write_b64 v0, v[20:21]
	s_waitcnt vmcnt(1)
	ds_write_b64 v0, v[18:19]
.LBB4_43:
	s_or_b32 exec_lo, exec_lo, s5
	s_waitcnt vmcnt(2)
	v_bfe_u32 v10, v15, 1, 30
	v_and_b32_e32 v48, 0x3ffffe00, v17
	v_mov_b32_e32 v49, 0
                                        ; implicit-def: $vgpr36_vgpr37
	s_mov_b32 s5, exec_lo
	v_cmpx_ne_u32_e64 v24, v10
	s_xor_b32 s17, exec_lo, s5
	s_cbranch_execnz .LBB4_44
; %bb.6324:
	s_getpc_b64 s[34:35]
.Lpost_getpc1:
	s_add_u32 s34, s34, (.LBB4_6113-.Lpost_getpc1)&4294967295
	s_addc_u32 s35, s35, (.LBB4_6113-.Lpost_getpc1)>>32
	s_setpc_b64 s[34:35]
.LBB4_44:
                                        ; implicit-def: $vgpr36_vgpr37
	s_mov_b32 s5, exec_lo
	v_cmpx_ne_u32_e64 v14, v10
	s_xor_b32 s18, exec_lo, s5
	s_cbranch_execz .LBB4_3084
; %bb.45:
	v_mov_b32_e32 v36, 0
	v_mov_b32_e32 v37, 0
	s_mov_b32 s19, exec_lo
	v_cmpx_ne_u64_e32 0, v[4:5]
	s_cbranch_execz .LBB4_3083
; %bb.46:
	v_and_b32_e32 v10, 31, v31
	v_lshrrev_b32_e32 v87, 5, v0
	v_and_b32_e32 v96, 31, v0
	v_lshrrev_b32_e32 v97, 5, v1
	s_ashr_i32 s6, s16, 31
	v_cmp_eq_u32_e64 s7, 0, v10
	v_lshlrev_b32_e32 v10, 10, v87
	s_lshr_b32 s6, s6, 24
	v_cmp_eq_u32_e32 vcc_lo, 32, v1
	v_mov_b32_e32 v54, 0
	s_waitcnt vmcnt(1) lgkmcnt(1)
	v_cmp_eq_u64_e64 s12, 0, v[50:51]
	v_mov_b32_e32 v36, 0
	v_cmp_ge_u32_e64 s5, v0, v1
	v_ashrrev_i32_e32 v86, 31, v85
	s_add_i32 s13, s16, s6
	v_cmp_ne_u32_e64 s6, 32, v1
	s_waitcnt vmcnt(0)
	v_cmp_ne_u32_sdwa s20, v1, v30 src0_sel:DWORD src1_sel:WORD_0
	v_mov_b32_e32 v52, 0
	v_cmp_le_u32_e64 s10, v96, v25
	v_cmp_lt_u32_e64 s11, v96, v25
	v_lshl_or_b32 v98, v96, 4, v10
	v_lshlrev_b32_e32 v99, 10, v97
	v_lshlrev_b32_e32 v100, 9, v97
	v_and_b32_e32 v101, 0x1fe0, v1
	v_mov_b32_e32 v55, 0
	v_mov_b32_e32 v102, 1
	;; [unrolled: 1-line block ×9, first 2 shown]
	s_ashr_i32 s22, s13, 8
	s_mov_b32 s21, 0
	s_xor_b32 s23, vcc_lo, -1
	s_trap 2
	s_branch .LBB4_49
.LBB4_47:                               ;   in Loop: Header=BB4_49 Depth=1
	s_or_b32 exec_lo, exec_lo, s13
.LBB4_48:                               ;   in Loop: Header=BB4_49 Depth=1
	s_or_b32 exec_lo, exec_lo, s14
	v_add_co_u32 v54, vcc_lo, v54, v48
	v_add_co_ci_u32_e64 v55, null, 0, v55, vcc_lo
	v_cmp_ge_u64_e32 vcc_lo, v[54:55], v[4:5]
	s_or_b32 s21, vcc_lo, s21
	s_andn2_b32 exec_lo, exec_lo, s21
	s_cbranch_execz .LBB4_3082
.LBB4_49:                               ; =>This Loop Header: Depth=1
                                        ;     Child Loop BB4_58 Depth 2
                                        ;     Child Loop BB4_86 Depth 2
	;; [unrolled: 1-line block ×10, first 2 shown]
	v_sub_co_u32 v10, vcc_lo, v4, v54
	v_sub_co_ci_u32_e64 v11, null, v5, v55, vcc_lo
	v_cmp_lt_u64_e32 vcc_lo, v[48:49], v[10:11]
	v_cndmask_b32_e32 v64, v10, v48, vcc_lo
	v_cndmask_b32_e64 v65, v11, 0, vcc_lo
	v_add_nc_u32_e32 v10, 15, v64
	v_cmp_eq_u64_e32 vcc_lo, 0, v[64:65]
	v_and_b32_e32 v10, 0x7ffffff0, v10
	s_or_b32 s24, s5, vcc_lo
	s_xor_b32 s13, s24, -1
	v_max_i32_e32 v65, s22, v10
	v_mov_b32_e32 v10, 0
	s_and_saveexec_b32 s25, s13
	s_cbranch_execz .LBB4_3030
; %bb.50:                               ;   in Loop: Header=BB4_49 Depth=1
	s_and_saveexec_b32 s13, s4
	s_cbranch_execz .LBB4_52
; %bb.51:                               ;   in Loop: Header=BB4_49 Depth=1
	s_trap 2
	ds_read_b64 v[10:11], v0
	v_mov_b32_e32 v53, v52
	s_waitcnt lgkmcnt(0)
	v_add_co_u32 v10, vcc_lo, v10, v26
	v_add_co_ci_u32_e64 v11, null, v11, v27, vcc_lo
	v_add_co_u32 v10, vcc_lo, v10, v54
	v_add_co_ci_u32_e64 v11, null, v11, v55, vcc_lo
	ds_write_b64 v0, v[10:11]
	ds_write_b64 v0, v[52:53]
.LBB4_52:                               ;   in Loop: Header=BB4_49 Depth=1
	s_or_b32 exec_lo, exec_lo, s13
	v_and_b32_e32 v10, 12, v84
	v_min_u32_e32 v65, v65, v64
	s_mov_b32 s14, exec_lo
	v_cmpx_ne_u32_e32 0, v10
	s_cbranch_execz .LBB4_78
; %bb.53:                               ;   in Loop: Header=BB4_49 Depth=1
	v_and_b32_e32 v14, 8, v84
	s_mov_b32 s26, exec_lo
	s_waitcnt vmcnt(0)
	v_add_co_u32 v12, vcc_lo, v38, v14
	v_add_co_ci_u32_e64 v13, null, 0, v39, vcc_lo
	s_waitcnt lgkmcnt(0)
	v_add_co_u32 v10, vcc_lo, v8, 1
	v_add_co_ci_u32_e64 v11, null, 0, v9, vcc_lo
	v_cmpx_lt_u64_e64 v[12:13], v[10:11]
	s_cbranch_execz .LBB4_65
; %bb.54:                               ;   in Loop: Header=BB4_49 Depth=1
	v_and_b32_e32 v9, 64, v84
	s_mov_b32 s27, 0
	s_mov_b32 s41, 0
                                        ; implicit-def: $sgpr28
                                        ; implicit-def: $sgpr29
                                        ; implicit-def: $sgpr40
	v_cmp_eq_u32_e32 vcc_lo, 0, v9
	s_branch .LBB4_58
.LBB4_55:                               ;   in Loop: Header=BB4_58 Depth=2
	s_waitcnt vmcnt(0) lgkmcnt(0)
	v_add_co_u32 v12, s13, v38, v14
	v_add_co_ci_u32_e64 v13, null, 0, v39, s13
	s_or_b32 s44, s44, exec_lo
	v_cmp_ge_u64_e64 s13, v[12:13], v[10:11]
	s_orn2_b32 s43, s13, exec_lo
.LBB4_56:                               ;   in Loop: Header=BB4_58 Depth=2
	s_or_b32 exec_lo, exec_lo, s46
	s_andn2_b32 s13, s40, exec_lo
	s_and_b32 s40, s44, exec_lo
	s_andn2_b32 s29, s29, exec_lo
	s_and_b32 s43, s43, exec_lo
	s_or_b32 s40, s13, s40
	s_or_b32 s29, s29, s43
.LBB4_57:                               ;   in Loop: Header=BB4_58 Depth=2
	s_or_b32 exec_lo, exec_lo, s42
	s_and_b32 s13, exec_lo, s29
	s_or_b32 s27, s13, s27
	s_andn2_b32 s13, s28, exec_lo
	s_and_b32 s28, s40, exec_lo
	s_or_b32 s28, s13, s28
	s_andn2_b32 exec_lo, exec_lo, s27
	s_cbranch_execz .LBB4_62
.LBB4_58:                               ;   Parent Loop BB4_49 Depth=1
                                        ; =>  This Inner Loop Header: Depth=2
	s_sleep 1
	s_waitcnt vmcnt(0) lgkmcnt(0)
	flat_load_dwordx2 v[38:39], v[32:33] glc dlc
	s_or_b32 s40, s40, exec_lo
	s_or_b32 s29, s29, exec_lo
                                        ; implicit-def: $vgpr9
	s_and_saveexec_b32 s42, vcc_lo
	s_cbranch_execz .LBB4_57
; %bb.59:                               ;   in Loop: Header=BB4_58 Depth=2
	s_cmpk_lt_i32 s41, 0x270f
	s_mov_b32 s43, -1
	s_cselect_b32 s45, -1, 0
	s_cmpk_gt_i32 s41, 0x270e
	s_cbranch_scc0 .LBB4_61
; %bb.60:                               ;   in Loop: Header=BB4_58 Depth=2
	s_trap 2
	ds_read_b64 v[12:13], v0
	s_andn2_b32 s41, s45, exec_lo
	s_mov_b32 s44, 0
	s_waitcnt vmcnt(0) lgkmcnt(0)
	s_waitcnt_vscnt null, 0x0
	flat_load_dword v9, v[12:13] glc dlc
	s_waitcnt vmcnt(0) lgkmcnt(0)
	buffer_gl1_inv
	buffer_gl0_inv
	v_cmp_eq_u32_e64 s13, 0, v9
	s_and_b32 s13, s13, exec_lo
	s_or_b32 s45, s41, s13
	s_mov_b32 s41, 0
	s_and_saveexec_b32 s46, s45
	s_cbranch_execz .LBB4_56
	s_branch .LBB4_55
.LBB4_61:                               ;   in Loop: Header=BB4_58 Depth=2
	s_add_i32 s41, s41, 1
	s_mov_b32 s44, -1
                                        ; implicit-def: $vgpr9
	s_and_saveexec_b32 s46, s45
	s_cbranch_execz .LBB4_56
	s_branch .LBB4_55
.LBB4_62:                               ;   in Loop: Header=BB4_49 Depth=1
	s_or_b32 exec_lo, exec_lo, s27
	s_xor_b32 s13, s28, -1
	s_and_saveexec_b32 s27, s13
	s_xor_b32 s13, exec_lo, s27
	s_cbranch_execz .LBB4_64
; %bb.63:                               ;   in Loop: Header=BB4_49 Depth=1
	v_or_b32_e32 v84, 64, v84
	s_waitcnt vmcnt(0) lgkmcnt(0)
	s_waitcnt_vscnt null, 0x0
	ds_write_b32 v0, v9
	s_trap 2
.LBB4_64:                               ;   in Loop: Header=BB4_49 Depth=1
	s_or_b32 exec_lo, exec_lo, s13
.LBB4_65:                               ;   in Loop: Header=BB4_49 Depth=1
	s_or_b32 exec_lo, exec_lo, s26
	v_and_b32_e32 v9, 0x108, v84
	v_and_b32_e32 v15, 7, v8
	s_mov_b32 s13, exec_lo
	;;#ASMSTART
	s_wakeup
	;;#ASMEND
	v_cmpx_ne_u32_e32 0x108, v9
	s_xor_b32 s13, exec_lo, s13
                                        ; implicit-def: $vgpr16
; %bb.66:                               ;   in Loop: Header=BB4_49 Depth=1
	v_mov_b32_e32 v16, v52
; %bb.67:                               ;   in Loop: Header=BB4_49 Depth=1
	s_andn2_saveexec_b32 s13, s13
	s_cbranch_execz .LBB4_69
; %bb.68:                               ;   in Loop: Header=BB4_49 Depth=1
	v_mad_u64_u32 v[8:9], null, v15, 24, v[6:7]
	v_mov_b32_e32 v66, v52
	v_mov_b32_e32 v16, v52
	flat_store_dwordx2 v[8:9], v[65:66] offset:8
.LBB4_69:                               ;   in Loop: Header=BB4_49 Depth=1
	s_or_b32 exec_lo, exec_lo, s13
	v_and_b32_e32 v8, 0x100, v84
	s_mov_b32 s13, -1
	v_cmp_ne_u32_e32 vcc_lo, 0, v8
                                        ; implicit-def: $vgpr8_vgpr9
	s_and_saveexec_b32 s26, vcc_lo
	s_cbranch_execz .LBB4_73
; %bb.70:                               ;   in Loop: Header=BB4_49 Depth=1
	v_mad_u64_u32 v[12:13], null, v15, 24, v[6:7]
	v_mov_b32_e32 v8, v13
	v_mad_u64_u32 v[8:9], null, v16, 24, v[8:9]
	v_mov_b32_e32 v13, v8
	flat_load_dword v8, v[12:13]
	s_waitcnt vmcnt(0) lgkmcnt(0)
	v_cmp_eq_u32_e64 s13, 1, v8
	v_cmp_ne_u32_e32 vcc_lo, 1, v8
                                        ; implicit-def: $vgpr8_vgpr9
	s_and_saveexec_b32 s27, s13
	s_cbranch_execz .LBB4_72
; %bb.71:                               ;   in Loop: Header=BB4_49 Depth=1
	flat_load_dword v8, v[12:13] offset:4 glc dlc
	s_waitcnt vmcnt(0) lgkmcnt(0)
	v_ashrrev_i32_e32 v9, 31, v8
.LBB4_72:                               ;   in Loop: Header=BB4_49 Depth=1
	s_or_b32 exec_lo, exec_lo, s27
	s_orn2_b32 s13, vcc_lo, exec_lo
.LBB4_73:                               ;   in Loop: Header=BB4_49 Depth=1
	s_or_b32 exec_lo, exec_lo, s26
	s_and_saveexec_b32 s26, s13
; %bb.74:                               ;   in Loop: Header=BB4_49 Depth=1
	v_mul_lo_u32 v12, v16, v85
	v_mul_lo_u32 v13, v15, v86
	v_mad_u64_u32 v[8:9], null, v15, v85, 0
	v_add3_u32 v9, v9, v13, v12
; %bb.75:                               ;   in Loop: Header=BB4_49 Depth=1
	s_or_b32 exec_lo, exec_lo, s26
	v_cmp_eq_u32_e32 vcc_lo, 0, v14
	v_and_b32_e32 v13, 0x2000, v84
	s_mov_b32 s13, exec_lo
	v_cndmask_b32_e32 v12, 0xc8, v103, vcc_lo
	v_add_co_u32 v8, vcc_lo, v34, v8
	v_add_co_ci_u32_e64 v9, null, v35, v9, vcc_lo
	v_add_nc_u32_e32 v12, v0, v12
	ds_write_b64 v12, v[8:9] offset:584
	v_cmpx_ne_u32_e32 0, v13
	s_cbranch_execz .LBB4_77
; %bb.76:                               ;   in Loop: Header=BB4_49 Depth=1
	ds_read_b64 v[8:9], v0 offset:872
	s_waitcnt lgkmcnt(0)
	v_add_co_u32 v8, vcc_lo, v8, 1
	v_add_co_ci_u32_e64 v9, null, 0, v9, vcc_lo
	ds_write_b64 v0, v[8:9] offset:872
.LBB4_77:                               ;   in Loop: Header=BB4_49 Depth=1
	s_or_b32 exec_lo, exec_lo, s13
	v_mov_b32_e32 v8, v10
	v_mov_b32_e32 v9, v11
.LBB4_78:                               ;   in Loop: Header=BB4_49 Depth=1
	s_or_b32 exec_lo, exec_lo, s14
	s_and_saveexec_b32 s13, s6
	s_cbranch_execz .LBB4_97
; %bb.79:                               ;   in Loop: Header=BB4_49 Depth=1
	s_and_saveexec_b32 s14, s20
	s_xor_b32 s14, exec_lo, s14
	s_cbranch_execz .LBB4_94
; %bb.80:                               ;   in Loop: Header=BB4_49 Depth=1
	s_and_saveexec_b32 s26, s7
	s_cbranch_execz .LBB4_93
; %bb.81:                               ;   in Loop: Header=BB4_49 Depth=1
	s_mov_b32 s28, exec_lo
	s_mov_b32 s27, exec_lo
	v_mbcnt_lo_u32_b32 v10, s28, 0
	s_waitcnt vmcnt(0) lgkmcnt(0)
	s_waitcnt_vscnt null, 0x0
	buffer_gl1_inv
	buffer_gl0_inv
	v_cmpx_eq_u32_e32 0, v10
	s_cbranch_execz .LBB4_83
; %bb.82:                               ;   in Loop: Header=BB4_49 Depth=1
	s_bcnt1_i32_b32 s28, s28
	v_mov_b32_e32 v11, v52
	v_mov_b32_e32 v10, s28
	ds_add_u64 v0, v[10:11]
	s_trap 2
.LBB4_83:                               ;   in Loop: Header=BB4_49 Depth=1
	s_or_b32 exec_lo, exec_lo, s27
	s_trap 2
	ds_read_b64 v[10:11], v0
	s_waitcnt lgkmcnt(0)
	buffer_gl0_inv
	v_add_co_u32 v36, vcc_lo, v36, v97
	v_add_co_ci_u32_e64 v37, null, 0, v37, vcc_lo
	s_mov_b32 s27, exec_lo
	v_cmpx_lt_u64_e64 v[10:11], v[36:37]
	s_cbranch_execz .LBB4_92
; %bb.84:                               ;   in Loop: Header=BB4_49 Depth=1
	s_mov_b32 s28, 0
	s_mov_b32 s41, 0
                                        ; implicit-def: $sgpr29
                                        ; implicit-def: $sgpr40
	s_inst_prefetch 0x1
	s_branch .LBB4_86
	.p2align	6
.LBB4_85:                               ;   in Loop: Header=BB4_86 Depth=2
	s_or_b32 exec_lo, exec_lo, s43
	s_and_b32 s42, exec_lo, s44
	s_or_b32 s28, s42, s28
	s_andn2_b32 s29, s29, exec_lo
	s_and_b32 s42, s40, exec_lo
	s_or_b32 s29, s29, s42
	s_andn2_b32 exec_lo, exec_lo, s28
	s_cbranch_execz .LBB4_90
.LBB4_86:                               ;   Parent Loop BB4_49 Depth=1
                                        ; =>  This Inner Loop Header: Depth=2
	s_add_i32 s41, s41, 1
	s_cmpk_lg_i32 s41, 0x2710
	s_cselect_b32 s42, -1, 0
	s_and_b32 vcc_lo, exec_lo, s42
	s_cbranch_vccz .LBB4_88
; %bb.87:                               ;   in Loop: Header=BB4_86 Depth=2
	s_mov_b32 s44, -1
	s_or_b32 s40, s40, exec_lo
	s_and_saveexec_b32 s43, s42
	s_cbranch_execz .LBB4_85
	s_branch .LBB4_89
	.p2align	6
.LBB4_88:                               ;   in Loop: Header=BB4_86 Depth=2
	s_trap 2
	ds_read_b64 v[10:11], v0
	s_andn2_b32 s42, s42, exec_lo
	s_mov_b32 s41, 0
	s_waitcnt lgkmcnt(0)
	flat_load_dword v10, v[10:11] glc dlc
	s_waitcnt vmcnt(0) lgkmcnt(0)
	buffer_gl1_inv
	buffer_gl0_inv
	v_cmp_eq_u32_e32 vcc_lo, 0, v10
	s_and_b32 s43, vcc_lo, exec_lo
	s_or_b32 s42, s42, s43
	s_mov_b32 s44, -1
	s_or_b32 s40, s40, exec_lo
	s_and_saveexec_b32 s43, s42
	s_cbranch_execz .LBB4_85
.LBB4_89:                               ;   in Loop: Header=BB4_86 Depth=2
	s_sleep 1
	s_trap 2
	ds_read_b64 v[10:11], v0
	s_waitcnt lgkmcnt(0)
	buffer_gl0_inv
	s_andn2_b32 s40, s40, exec_lo
	v_cmp_ge_u64_e32 vcc_lo, v[10:11], v[36:37]
	s_orn2_b32 s44, vcc_lo, exec_lo
	s_branch .LBB4_85
.LBB4_90:                               ;   in Loop: Header=BB4_49 Depth=1
	s_inst_prefetch 0x2
	s_or_b32 exec_lo, exec_lo, s28
	s_and_saveexec_b32 s28, s29
	s_xor_b32 s28, exec_lo, s28
	s_cbranch_execz .LBB4_92
; %bb.91:                               ;   in Loop: Header=BB4_49 Depth=1
	ds_write_b32 v0, v102
	s_trap 2
.LBB4_92:                               ;   in Loop: Header=BB4_49 Depth=1
	s_or_b32 exec_lo, exec_lo, s27
	;;#ASMSTART
	s_wakeup
	;;#ASMEND
.LBB4_93:                               ;   in Loop: Header=BB4_49 Depth=1
	s_or_b32 exec_lo, exec_lo, s26
.LBB4_94:                               ;   in Loop: Header=BB4_49 Depth=1
	s_andn2_saveexec_b32 s14, s14
	s_cbranch_execz .LBB4_96
; %bb.95:                               ;   in Loop: Header=BB4_49 Depth=1
	s_waitcnt vmcnt(0) lgkmcnt(0)
	s_waitcnt_vscnt null, 0x0
	buffer_gl1_inv
	buffer_gl0_inv
	s_barrier
.LBB4_96:                               ;   in Loop: Header=BB4_49 Depth=1
	s_or_b32 exec_lo, exec_lo, s14
.LBB4_97:                               ;   in Loop: Header=BB4_49 Depth=1
	s_or_b32 exec_lo, exec_lo, s13
	s_trap 2
	ds_read_b32 v10, v0
	v_and_b32_e32 v11, 0x4000, v84
	v_cmp_ne_u32_e32 vcc_lo, 0, v11
	s_and_b32 s14, s23, vcc_lo
	s_and_saveexec_b32 s13, s14
	s_cbranch_execz .LBB4_116
; %bb.98:                               ;   in Loop: Header=BB4_49 Depth=1
	s_and_saveexec_b32 s14, s20
	s_xor_b32 s14, exec_lo, s14
	s_cbranch_execz .LBB4_113
; %bb.99:                               ;   in Loop: Header=BB4_49 Depth=1
	s_and_saveexec_b32 s26, s7
	s_cbranch_execz .LBB4_112
; %bb.100:                              ;   in Loop: Header=BB4_49 Depth=1
	s_mov_b32 s28, exec_lo
	s_mov_b32 s27, exec_lo
	v_mbcnt_lo_u32_b32 v11, s28, 0
	s_waitcnt vmcnt(0) lgkmcnt(0)
	s_waitcnt_vscnt null, 0x0
	buffer_gl1_inv
	buffer_gl0_inv
	v_cmpx_eq_u32_e32 0, v11
	s_cbranch_execz .LBB4_102
; %bb.101:                              ;   in Loop: Header=BB4_49 Depth=1
	s_bcnt1_i32_b32 s28, s28
	v_mov_b32_e32 v12, v52
	v_mov_b32_e32 v11, s28
	ds_add_u64 v0, v[11:12]
	s_trap 2
.LBB4_102:                              ;   in Loop: Header=BB4_49 Depth=1
	s_or_b32 exec_lo, exec_lo, s27
	s_trap 2
	ds_read_b64 v[11:12], v0
	s_waitcnt lgkmcnt(0)
	buffer_gl0_inv
	v_add_co_u32 v36, vcc_lo, v36, v97
	v_add_co_ci_u32_e64 v37, null, 0, v37, vcc_lo
	s_mov_b32 s27, exec_lo
	v_cmpx_lt_u64_e64 v[11:12], v[36:37]
	s_cbranch_execz .LBB4_111
; %bb.103:                              ;   in Loop: Header=BB4_49 Depth=1
	s_mov_b32 s28, 0
	s_mov_b32 s41, 0
                                        ; implicit-def: $sgpr29
                                        ; implicit-def: $sgpr40
	s_inst_prefetch 0x1
	s_branch .LBB4_105
	.p2align	6
.LBB4_104:                              ;   in Loop: Header=BB4_105 Depth=2
	s_or_b32 exec_lo, exec_lo, s43
	s_and_b32 s42, exec_lo, s44
	s_or_b32 s28, s42, s28
	s_andn2_b32 s29, s29, exec_lo
	s_and_b32 s42, s40, exec_lo
	s_or_b32 s29, s29, s42
	s_andn2_b32 exec_lo, exec_lo, s28
	s_cbranch_execz .LBB4_109
.LBB4_105:                              ;   Parent Loop BB4_49 Depth=1
                                        ; =>  This Inner Loop Header: Depth=2
	s_add_i32 s41, s41, 1
	s_cmpk_lg_i32 s41, 0x2710
	s_cselect_b32 s42, -1, 0
	s_and_b32 vcc_lo, exec_lo, s42
	s_cbranch_vccz .LBB4_107
; %bb.106:                              ;   in Loop: Header=BB4_105 Depth=2
	s_mov_b32 s44, -1
	s_or_b32 s40, s40, exec_lo
	s_and_saveexec_b32 s43, s42
	s_cbranch_execz .LBB4_104
	s_branch .LBB4_108
	.p2align	6
.LBB4_107:                              ;   in Loop: Header=BB4_105 Depth=2
	s_trap 2
	ds_read_b64 v[11:12], v0
	s_andn2_b32 s42, s42, exec_lo
	s_mov_b32 s41, 0
	s_waitcnt lgkmcnt(0)
	flat_load_dword v11, v[11:12] glc dlc
	s_waitcnt vmcnt(0) lgkmcnt(0)
	buffer_gl1_inv
	buffer_gl0_inv
	v_cmp_eq_u32_e32 vcc_lo, 0, v11
	s_and_b32 s43, vcc_lo, exec_lo
	s_or_b32 s42, s42, s43
	s_mov_b32 s44, -1
	s_or_b32 s40, s40, exec_lo
	s_and_saveexec_b32 s43, s42
	s_cbranch_execz .LBB4_104
.LBB4_108:                              ;   in Loop: Header=BB4_105 Depth=2
	s_sleep 1
	s_trap 2
	ds_read_b64 v[11:12], v0
	s_waitcnt lgkmcnt(0)
	buffer_gl0_inv
	s_andn2_b32 s40, s40, exec_lo
	v_cmp_ge_u64_e32 vcc_lo, v[11:12], v[36:37]
	s_orn2_b32 s44, vcc_lo, exec_lo
	s_branch .LBB4_104
.LBB4_109:                              ;   in Loop: Header=BB4_49 Depth=1
	s_inst_prefetch 0x2
	s_or_b32 exec_lo, exec_lo, s28
	s_and_saveexec_b32 s28, s29
	s_xor_b32 s28, exec_lo, s28
	s_cbranch_execz .LBB4_111
; %bb.110:                              ;   in Loop: Header=BB4_49 Depth=1
	ds_write_b32 v0, v102
	s_trap 2
.LBB4_111:                              ;   in Loop: Header=BB4_49 Depth=1
	s_or_b32 exec_lo, exec_lo, s27
	;;#ASMSTART
	s_wakeup
	;;#ASMEND
.LBB4_112:                              ;   in Loop: Header=BB4_49 Depth=1
	s_or_b32 exec_lo, exec_lo, s26
.LBB4_113:                              ;   in Loop: Header=BB4_49 Depth=1
	s_andn2_saveexec_b32 s14, s14
	s_cbranch_execz .LBB4_115
; %bb.114:                              ;   in Loop: Header=BB4_49 Depth=1
	s_waitcnt vmcnt(0) lgkmcnt(0)
	s_waitcnt_vscnt null, 0x0
	buffer_gl1_inv
	buffer_gl0_inv
	s_barrier
.LBB4_115:                              ;   in Loop: Header=BB4_49 Depth=1
	s_or_b32 exec_lo, exec_lo, s14
.LBB4_116:                              ;   in Loop: Header=BB4_49 Depth=1
	s_or_b32 exec_lo, exec_lo, s13
	s_trap 2
	ds_read_b64 v[66:67], v0
	s_waitcnt lgkmcnt(0)
	v_cmp_eq_u64_e32 vcc_lo, 0, v[66:67]
	s_cbranch_vccnz .LBB4_124
; %bb.117:                              ;   in Loop: Header=BB4_49 Depth=1
	s_trap 2
	ds_read_b64 v[68:69], v0
	s_waitcnt lgkmcnt(0)
	v_cmp_eq_u64_e32 vcc_lo, 0, v[68:69]
	s_cbranch_vccnz .LBB4_124
; %bb.118:                              ;   in Loop: Header=BB4_49 Depth=1
	s_trap 2
	ds_read_b64 v[11:12], v0
	s_mov_b32 s13, -1
	s_waitcnt lgkmcnt(0)
	v_readfirstlane_b32 s26, v11
	s_and_saveexec_b32 s14, s10
	s_cbranch_execz .LBB4_120
; %bb.119:                              ;   in Loop: Header=BB4_49 Depth=1
	ds_read_b32 v11, v0 offset:720
	s_waitcnt lgkmcnt(0)
	v_and_b32_e32 v11, 15, v11
	v_cmp_eq_u32_e32 vcc_lo, 0, v11
	s_orn2_b32 s13, vcc_lo, exec_lo
.LBB4_120:                              ;   in Loop: Header=BB4_49 Depth=1
	s_or_b32 exec_lo, exec_lo, s14
	s_and_saveexec_b32 s14, s11
	s_cbranch_execz .LBB4_122
; %bb.121:                              ;   in Loop: Header=BB4_49 Depth=1
	ds_read_b32 v11, v0 offset:784
	s_waitcnt lgkmcnt(0)
	v_and_b32_e32 v11, 15, v11
	v_cmp_eq_u32_e32 vcc_lo, 0, v11
	s_and_b32 s27, s13, vcc_lo
	s_andn2_b32 s13, s13, exec_lo
	s_and_b32 s27, s27, exec_lo
	s_or_b32 s13, s13, s27
.LBB4_122:                              ;   in Loop: Header=BB4_49 Depth=1
	s_or_b32 exec_lo, exec_lo, s14
	v_cmp_eq_u32_e32 vcc_lo, 0, v10
	s_xor_b32 s13, s13, -1
	v_mov_b32_e32 v16, 0
	v_cndmask_b32_e64 v11, 0, 1, s13
	v_mov_b32_e32 v18, v0
	v_cndmask_b32_e32 v53, 0, v65, vcc_lo
	s_mov_b32 s13, -1
	v_cmp_ne_u32_e32 vcc_lo, 0, v11
	v_mov_b32_e32 v17, v53
	s_cbranch_vccz .LBB4_125
; %bb.123:                              ;   in Loop: Header=BB4_49 Depth=1
	s_and_saveexec_b32 s14, s13
	s_cbranch_execnz .LBB4_2248
	s_branch .LBB4_3004
.LBB4_124:                              ;   in Loop: Header=BB4_49 Depth=1
	s_mov_b32 s13, 0
	s_and_saveexec_b32 s14, s6
	s_cbranch_execnz .LBB4_3005
	s_branch .LBB4_3023
.LBB4_125:                              ;   in Loop: Header=BB4_49 Depth=1
	v_lshrrev_b32_e32 v10, 10, v53
	s_mov_b32 s14, exec_lo
	v_sub_nc_u32_e32 v117, v10, v87
	v_cmpx_lt_i32_e32 0, v117
	s_cbranch_execz .LBB4_1537
; %bb.126:                              ;   in Loop: Header=BB4_49 Depth=1
	s_trap 2
	ds_read_b64 v[10:11], v0
	v_add_co_u32 v70, vcc_lo, v66, v98
	v_add_co_ci_u32_e64 v71, null, 0, v67, vcc_lo
	s_bitcmp1_b32 s26, 0
	s_mov_b32 s27, 0
	s_cselect_b32 s28, -1, 0
	s_waitcnt lgkmcnt(0)
	v_add_co_u32 v80, vcc_lo, v10, v98
	v_add_co_ci_u32_e64 v81, null, 0, v11, vcc_lo
	v_add_co_u32 v82, vcc_lo, v68, v98
	v_add_co_ci_u32_e64 v83, null, 0, v69, vcc_lo
	s_branch .LBB4_130
.LBB4_127:                              ;   in Loop: Header=BB4_130 Depth=2
	s_or_b32 exec_lo, exec_lo, s13
	v_lshrrev_b32_e32 v17, 21, v17
	v_min_i32_e32 v72, 31, v13
	v_cmp_gt_i32_e32 vcc_lo, 32, v13
	v_and_b32_sdwa v63, v63, v113 dst_sel:DWORD dst_unused:UNUSED_PAD src0_sel:BYTE_3 src1_sel:DWORD
	v_lshlrev_b32_e32 v72, 2, v72
	v_cndmask_b32_e32 v17, 3, v17, vcc_lo
	v_and_b32_e32 v72, 0xfc, v72
	v_and_b32_e32 v73, 3, v17
	v_or_b32_e32 v13, v13, v17
	v_or3_b32 v63, v63, v72, v73
	v_cmp_ne_u32_e32 vcc_lo, 0, v13
	v_lshlrev_b32_e32 v17, 8, v63
	v_cndmask_b32_e32 v13, 0, v17, vcc_lo
.LBB4_128:                              ;   in Loop: Header=BB4_130 Depth=2
	s_or_b32 exec_lo, exec_lo, s40
.LBB4_129:                              ;   in Loop: Header=BB4_130 Depth=2
	s_or_b32 exec_lo, exec_lo, s29
	v_or_b32_sdwa v17, v19, v42 dst_sel:WORD_1 dst_unused:UNUSED_PAD src0_sel:DWORD src1_sel:DWORD
	v_or_b32_sdwa v19, v18, v40 dst_sel:WORD_1 dst_unused:UNUSED_PAD src0_sel:DWORD src1_sel:DWORD
	;; [unrolled: 1-line block ×5, first 2 shown]
	v_or3_b32 v18, v41, v22, v17
	v_or3_b32 v17, v119, v118, v19
	;; [unrolled: 1-line block ×3, first 2 shown]
	v_or_b32_sdwa v20, v21, v46 dst_sel:WORD_1 dst_unused:UNUSED_PAD src0_sel:DWORD src1_sel:DWORD
	v_or_b32_sdwa v12, v12, v60 dst_sel:WORD_1 dst_unused:UNUSED_PAD src0_sel:DWORD src1_sel:DWORD
	;; [unrolled: 1-line block ×3, first 2 shown]
	v_sub_nc_u32_e32 v117, v117, v97
	v_or3_b32 v11, v57, v14, v11
	v_or3_b32 v20, v45, v24, v20
	v_or3_b32 v10, v47, v25, v10
	v_or3_b32 v12, v59, v15, v12
	v_or3_b32 v13, v61, v16, v13
	v_add_co_u32 v70, vcc_lo, v70, v99
	v_add_co_ci_u32_e64 v71, null, 0, v71, vcc_lo
	v_add_co_u32 v80, vcc_lo, v80, v99
	global_store_dwordx4 v[82:83], v[17:20], off glc slc
	global_store_dwordx4 v[82:83], v[10:13], off offset:512 glc slc
	v_add_co_ci_u32_e64 v81, null, 0, v81, vcc_lo
	v_cmp_gt_i32_e32 vcc_lo, 1, v117
	v_add_co_u32 v82, s13, v82, v99
	v_add_co_ci_u32_e64 v83, null, 0, v83, s13
	s_or_b32 s27, vcc_lo, s27
	s_andn2_b32 exec_lo, exec_lo, s27
	s_cbranch_execz .LBB4_1536
.LBB4_130:                              ;   Parent Loop BB4_49 Depth=1
                                        ; =>  This Inner Loop Header: Depth=2
	s_clause 0x1
	global_load_dwordx4 v[22:25], v[70:71], off slc
	global_load_dwordx4 v[14:17], v[70:71], off offset:512 slc
	s_clause 0x1
	global_load_dwordx4 v[18:21], v[80:81], off slc
	global_load_dwordx4 v[10:13], v[80:81], off offset:512 slc
	s_and_b32 vcc_lo, exec_lo, s28
	s_mov_b32 s13, -1
                                        ; implicit-def: $vgpr119
	s_waitcnt vmcnt(3)
	v_cmp_gt_i16_sdwa s29, v22, v112 src0_sel:BYTE_0 src1_sel:DWORD
	s_cbranch_vccz .LBB4_144
; %bb.131:                              ;   in Loop: Header=BB4_130 Depth=2
	s_mov_b32 s13, 0
	s_and_saveexec_b32 s40, s29
	s_xor_b32 s29, exec_lo, s40
	s_cbranch_execz .LBB4_1280
; %bb.132:                              ;   in Loop: Header=BB4_130 Depth=2
	v_cmp_eq_u16_sdwa s41, v22, v113 src0_sel:BYTE_0 src1_sel:DWORD
	s_mov_b32 s13, -1
	s_and_saveexec_b32 s40, s41
; %bb.133:                              ;   in Loop: Header=BB4_130 Depth=2
	s_xor_b32 s13, exec_lo, -1
; %bb.134:                              ;   in Loop: Header=BB4_130 Depth=2
	s_or_b32 exec_lo, exec_lo, s40
	s_and_b32 s13, s13, exec_lo
	s_or_saveexec_b32 s29, s29
	v_mov_b32_e32 v118, 0x7f800001
	s_xor_b32 exec_lo, exec_lo, s29
	s_cbranch_execnz .LBB4_1281
.LBB4_135:                              ;   in Loop: Header=BB4_130 Depth=2
	s_or_b32 exec_lo, exec_lo, s29
	s_and_saveexec_b32 s29, s13
	s_cbranch_execz .LBB4_137
.LBB4_136:                              ;   in Loop: Header=BB4_130 Depth=2
	v_and_b32_e32 v118, 3, v22
	v_bfe_u32 v41, v22, 2, 5
	v_lshlrev_b32_e32 v42, 24, v22
	v_ffbh_u32_e32 v119, v118
	v_cmp_eq_u32_e32 vcc_lo, 0, v41
	v_min_u32_e32 v119, 32, v119
	v_subrev_nc_u32_e32 v40, 29, v119
	v_sub_nc_u32_e32 v119, 30, v119
	v_lshlrev_b32_e32 v40, v40, v22
	v_cndmask_b32_e32 v119, v41, v119, vcc_lo
	v_and_b32_e32 v40, 3, v40
	v_lshl_add_u32 v119, v119, 23, 0x37800000
	v_cndmask_b32_e32 v118, v118, v40, vcc_lo
	v_and_b32_e32 v40, 0x80000000, v42
	v_lshlrev_b32_e32 v118, 21, v118
	v_or3_b32 v118, v40, v119, v118
.LBB4_137:                              ;   in Loop: Header=BB4_130 Depth=2
	s_or_b32 exec_lo, exec_lo, s29
	s_waitcnt vmcnt(1)
	v_cmp_gt_i16_sdwa s29, v18, v112 src0_sel:BYTE_0 src1_sel:DWORD
	s_mov_b32 s13, 0
	s_and_saveexec_b32 s40, s29
	s_xor_b32 s29, exec_lo, s40
	s_cbranch_execz .LBB4_1282
; %bb.138:                              ;   in Loop: Header=BB4_130 Depth=2
	v_cmp_eq_u16_sdwa s41, v18, v113 src0_sel:BYTE_0 src1_sel:DWORD
	s_mov_b32 s13, -1
	s_and_saveexec_b32 s40, s41
; %bb.139:                              ;   in Loop: Header=BB4_130 Depth=2
	s_xor_b32 s13, exec_lo, -1
; %bb.140:                              ;   in Loop: Header=BB4_130 Depth=2
	s_or_b32 exec_lo, exec_lo, s40
	s_and_b32 s13, s13, exec_lo
	s_or_saveexec_b32 s29, s29
	v_mov_b32_e32 v119, 0x7f800001
	s_xor_b32 exec_lo, exec_lo, s29
	s_cbranch_execnz .LBB4_1283
.LBB4_141:                              ;   in Loop: Header=BB4_130 Depth=2
	s_or_b32 exec_lo, exec_lo, s29
	s_and_saveexec_b32 s29, s13
	s_cbranch_execz .LBB4_143
.LBB4_142:                              ;   in Loop: Header=BB4_130 Depth=2
	v_and_b32_e32 v119, 3, v18
	v_bfe_u32 v42, v18, 2, 5
	v_lshlrev_b32_e32 v43, 24, v18
	v_ffbh_u32_e32 v40, v119
	v_cmp_eq_u32_e32 vcc_lo, 0, v42
	v_min_u32_e32 v40, 32, v40
	v_subrev_nc_u32_e32 v41, 29, v40
	v_sub_nc_u32_e32 v40, 30, v40
	v_lshlrev_b32_e32 v41, v41, v18
	v_cndmask_b32_e32 v40, v42, v40, vcc_lo
	v_and_b32_e32 v41, 3, v41
	v_lshl_add_u32 v40, v40, 23, 0x37800000
	v_cndmask_b32_e32 v119, v119, v41, vcc_lo
	v_and_b32_e32 v41, 0x80000000, v43
	v_lshlrev_b32_e32 v119, 21, v119
	v_or3_b32 v119, v41, v40, v119
.LBB4_143:                              ;   in Loop: Header=BB4_130 Depth=2
	s_or_b32 exec_lo, exec_lo, s29
	v_max_f32_e32 v119, v119, v119
	v_max_f32_e32 v118, v118, v118
	s_mov_b32 s13, 0
	v_max_f32_e32 v119, v118, v119
.LBB4_144:                              ;   in Loop: Header=BB4_130 Depth=2
	s_and_b32 vcc_lo, exec_lo, s13
	s_cbranch_vccz .LBB4_158
; %bb.145:                              ;   in Loop: Header=BB4_130 Depth=2
	v_cmp_gt_i16_sdwa s29, v22, v112 src0_sel:BYTE_0 src1_sel:DWORD
	s_mov_b32 s13, 0
	s_and_saveexec_b32 s40, s29
	s_xor_b32 s29, exec_lo, s40
	s_cbranch_execz .LBB4_1284
; %bb.146:                              ;   in Loop: Header=BB4_130 Depth=2
	v_cmp_eq_u16_sdwa s41, v22, v113 src0_sel:BYTE_0 src1_sel:DWORD
	s_mov_b32 s13, -1
	s_and_saveexec_b32 s40, s41
; %bb.147:                              ;   in Loop: Header=BB4_130 Depth=2
	s_xor_b32 s13, exec_lo, -1
; %bb.148:                              ;   in Loop: Header=BB4_130 Depth=2
	s_or_b32 exec_lo, exec_lo, s40
	s_and_b32 s13, s13, exec_lo
	s_or_saveexec_b32 s29, s29
	v_mov_b32_e32 v118, 0x7f800001
	s_xor_b32 exec_lo, exec_lo, s29
	s_cbranch_execnz .LBB4_1285
.LBB4_149:                              ;   in Loop: Header=BB4_130 Depth=2
	s_or_b32 exec_lo, exec_lo, s29
	s_and_saveexec_b32 s29, s13
	s_cbranch_execz .LBB4_151
.LBB4_150:                              ;   in Loop: Header=BB4_130 Depth=2
	v_and_b32_e32 v118, 3, v22
	v_bfe_u32 v41, v22, 2, 5
	v_lshlrev_b32_e32 v42, 24, v22
	v_ffbh_u32_e32 v119, v118
	v_cmp_eq_u32_e32 vcc_lo, 0, v41
	v_min_u32_e32 v119, 32, v119
	v_subrev_nc_u32_e32 v40, 29, v119
	v_sub_nc_u32_e32 v119, 30, v119
	v_lshlrev_b32_e32 v40, v40, v22
	v_cndmask_b32_e32 v119, v41, v119, vcc_lo
	v_and_b32_e32 v40, 3, v40
	v_lshl_add_u32 v119, v119, 23, 0x37800000
	v_cndmask_b32_e32 v118, v118, v40, vcc_lo
	v_and_b32_e32 v40, 0x80000000, v42
	v_lshlrev_b32_e32 v118, 21, v118
	v_or3_b32 v118, v40, v119, v118
.LBB4_151:                              ;   in Loop: Header=BB4_130 Depth=2
	s_or_b32 exec_lo, exec_lo, s29
	s_waitcnt vmcnt(1)
	v_cmp_gt_i16_sdwa s29, v18, v112 src0_sel:BYTE_0 src1_sel:DWORD
	s_mov_b32 s13, 0
	s_and_saveexec_b32 s40, s29
	s_xor_b32 s29, exec_lo, s40
	s_cbranch_execz .LBB4_1286
; %bb.152:                              ;   in Loop: Header=BB4_130 Depth=2
	v_cmp_eq_u16_sdwa s41, v18, v113 src0_sel:BYTE_0 src1_sel:DWORD
	s_mov_b32 s13, -1
	s_and_saveexec_b32 s40, s41
; %bb.153:                              ;   in Loop: Header=BB4_130 Depth=2
	s_xor_b32 s13, exec_lo, -1
; %bb.154:                              ;   in Loop: Header=BB4_130 Depth=2
	s_or_b32 exec_lo, exec_lo, s40
	s_and_b32 s13, s13, exec_lo
	s_or_saveexec_b32 s29, s29
	v_mov_b32_e32 v119, 0x7f800001
	s_xor_b32 exec_lo, exec_lo, s29
	s_cbranch_execnz .LBB4_1287
.LBB4_155:                              ;   in Loop: Header=BB4_130 Depth=2
	s_or_b32 exec_lo, exec_lo, s29
	s_and_saveexec_b32 s29, s13
	s_cbranch_execz .LBB4_157
.LBB4_156:                              ;   in Loop: Header=BB4_130 Depth=2
	v_and_b32_e32 v119, 3, v18
	v_bfe_u32 v42, v18, 2, 5
	v_lshlrev_b32_e32 v43, 24, v18
	v_ffbh_u32_e32 v40, v119
	v_cmp_eq_u32_e32 vcc_lo, 0, v42
	v_min_u32_e32 v40, 32, v40
	v_subrev_nc_u32_e32 v41, 29, v40
	v_sub_nc_u32_e32 v40, 30, v40
	v_lshlrev_b32_e32 v41, v41, v18
	v_cndmask_b32_e32 v40, v42, v40, vcc_lo
	v_and_b32_e32 v41, 3, v41
	v_lshl_add_u32 v40, v40, 23, 0x37800000
	v_cndmask_b32_e32 v119, v119, v41, vcc_lo
	v_and_b32_e32 v41, 0x80000000, v43
	v_lshlrev_b32_e32 v119, 21, v119
	v_or3_b32 v119, v41, v40, v119
.LBB4_157:                              ;   in Loop: Header=BB4_130 Depth=2
	s_or_b32 exec_lo, exec_lo, s29
	v_max_f32_e32 v119, v119, v119
	v_max_f32_e32 v118, v118, v118
	v_min_f32_e32 v119, v118, v119
.LBB4_158:                              ;   in Loop: Header=BB4_130 Depth=2
	v_and_b32_e32 v118, 0x7f800000, v119
	v_cmp_ne_u32_e32 vcc_lo, 0x7f800000, v118
	v_mov_b32_e32 v118, 0x80
	s_and_saveexec_b32 s29, vcc_lo
	s_cbranch_execz .LBB4_166
; %bb.159:                              ;   in Loop: Header=BB4_130 Depth=2
	v_mov_b32_e32 v118, 0
	s_mov_b32 s40, exec_lo
	v_cmpx_ne_u32_e32 0, v119
	s_cbranch_execz .LBB4_165
; %bb.160:                              ;   in Loop: Header=BB4_130 Depth=2
	v_bfe_u32 v118, v119, 23, 8
	v_and_b32_e32 v40, 0x7fffff, v119
	v_sub_nc_u32_e32 v41, 0x70, v118
	v_cmp_gt_u32_e32 vcc_lo, 0x71, v118
	v_or_b32_e32 v42, 0x800000, v40
	v_cndmask_b32_e32 v41, 0, v41, vcc_lo
	v_cmp_eq_u32_e32 vcc_lo, 0, v118
	v_add_nc_u32_e32 v118, 0xffffff91, v118
	v_cndmask_b32_e64 v41, v41, 0x6f, vcc_lo
	v_cndmask_b32_e32 v40, v42, v40, vcc_lo
	v_cndmask_b32_e64 v118, v118, 0xffffff92, vcc_lo
	v_lshl_add_u32 v42, 0x200000, v41, -1
	v_lshrrev_b32_e32 v43, v41, v40
	v_lshlrev_b32_e64 v45, v41, 0x100000
	v_add_nc_u32_e32 v41, v41, v118
	v_and_b32_e32 v40, v42, v40
	v_bfe_u32 v44, v43, 21, 1
	v_cmp_eq_u32_e64 s13, v40, v45
	v_add_nc_u32_e32 v42, -1, v44
	v_cndmask_b32_e64 v40, 0, v42, s13
	v_lshrrev_b32_e32 v42, 23, v43
	s_mov_b32 s13, exec_lo
	v_add_nc_u32_e32 v40, v40, v43
	v_xor_b32_e32 v42, 1, v42
	v_and_b32_e32 v118, 0x1fffff, v40
	v_add_nc_u32_e32 v40, v118, v43
                                        ; implicit-def: $vgpr118
	v_cmpx_ne_u32_e64 v41, v42
	s_xor_b32 s13, exec_lo, s13
; %bb.161:                              ;   in Loop: Header=BB4_130 Depth=2
	v_cmp_lt_u32_e32 vcc_lo, 0xffffff, v40
	v_sub_nc_u32_e32 v118, v41, v42
	v_cndmask_b32_e64 v41, 0, 1, vcc_lo
	v_add_co_ci_u32_e64 v118, null, 0, v118, vcc_lo
	v_lshrrev_b32_e32 v40, v41, v40
; %bb.162:                              ;   in Loop: Header=BB4_130 Depth=2
	s_andn2_saveexec_b32 s13, s13
; %bb.163:                              ;   in Loop: Header=BB4_130 Depth=2
	v_bfe_u32 v118, v40, 23, 1
; %bb.164:                              ;   in Loop: Header=BB4_130 Depth=2
	s_or_b32 exec_lo, exec_lo, s13
	v_lshrrev_b32_e32 v40, 21, v40
	v_min_i32_e32 v41, 31, v118
	v_cmp_gt_i32_e32 vcc_lo, 32, v118
	v_and_b32_sdwa v119, v119, v113 dst_sel:DWORD dst_unused:UNUSED_PAD src0_sel:BYTE_3 src1_sel:DWORD
	v_lshlrev_b32_e32 v41, 2, v41
	v_cndmask_b32_e32 v40, 3, v40, vcc_lo
	v_and_b32_e32 v41, 0xfc, v41
	v_and_b32_e32 v42, 3, v40
	v_or_b32_e32 v118, v118, v40
	v_or3_b32 v119, v41, v119, v42
	v_cmp_ne_u32_e32 vcc_lo, 0, v118
	v_cndmask_b32_e32 v118, 0, v119, vcc_lo
.LBB4_165:                              ;   in Loop: Header=BB4_130 Depth=2
	s_or_b32 exec_lo, exec_lo, s40
.LBB4_166:                              ;   in Loop: Header=BB4_130 Depth=2
	s_or_b32 exec_lo, exec_lo, s29
	v_cmp_gt_i16_sdwa s29, v22, v112 src0_sel:BYTE_1 src1_sel:DWORD
	s_and_b32 vcc_lo, exec_lo, s28
	s_mov_b32 s13, -1
                                        ; implicit-def: $vgpr40
	s_cbranch_vccz .LBB4_180
; %bb.167:                              ;   in Loop: Header=BB4_130 Depth=2
	s_mov_b32 s13, 0
	s_and_saveexec_b32 s40, s29
	s_xor_b32 s29, exec_lo, s40
	s_cbranch_execz .LBB4_1288
; %bb.168:                              ;   in Loop: Header=BB4_130 Depth=2
	v_cmp_eq_u16_sdwa s41, v22, v113 src0_sel:BYTE_1 src1_sel:DWORD
	s_mov_b32 s13, -1
	s_and_saveexec_b32 s40, s41
; %bb.169:                              ;   in Loop: Header=BB4_130 Depth=2
	s_xor_b32 s13, exec_lo, -1
; %bb.170:                              ;   in Loop: Header=BB4_130 Depth=2
	s_or_b32 exec_lo, exec_lo, s40
	s_and_b32 s13, s13, exec_lo
	s_or_saveexec_b32 s29, s29
	v_mov_b32_e32 v119, 0x7f800001
	s_xor_b32 exec_lo, exec_lo, s29
	s_cbranch_execnz .LBB4_1289
.LBB4_171:                              ;   in Loop: Header=BB4_130 Depth=2
	s_or_b32 exec_lo, exec_lo, s29
	s_and_saveexec_b32 s29, s13
	s_cbranch_execz .LBB4_173
.LBB4_172:                              ;   in Loop: Header=BB4_130 Depth=2
	v_and_b32_sdwa v119, v114, v22 dst_sel:DWORD dst_unused:UNUSED_PAD src0_sel:DWORD src1_sel:BYTE_1
	v_and_b32_e32 v40, 3, v119
	v_bfe_u32 v43, v119, 2, 5
	v_ffbh_u32_e32 v41, v40
	v_cmp_eq_u32_e32 vcc_lo, 0, v43
	v_min_u32_e32 v41, 32, v41
	v_subrev_nc_u32_e32 v42, 29, v41
	v_sub_nc_u32_e32 v41, 30, v41
	v_lshlrev_b32_e32 v119, v42, v119
	v_lshlrev_b32_e32 v42, 16, v22
	v_cndmask_b32_e32 v41, v43, v41, vcc_lo
	v_and_b32_e32 v119, 3, v119
	v_lshl_add_u32 v41, v41, 23, 0x37800000
	v_cndmask_b32_e32 v119, v40, v119, vcc_lo
	v_and_b32_e32 v40, 0x80000000, v42
	v_lshlrev_b32_e32 v119, 21, v119
	v_or3_b32 v119, v40, v41, v119
.LBB4_173:                              ;   in Loop: Header=BB4_130 Depth=2
	s_or_b32 exec_lo, exec_lo, s29
	s_waitcnt vmcnt(1)
	v_cmp_gt_i16_sdwa s29, v18, v112 src0_sel:BYTE_1 src1_sel:DWORD
	s_mov_b32 s13, 0
	s_and_saveexec_b32 s40, s29
	s_xor_b32 s29, exec_lo, s40
	s_cbranch_execz .LBB4_1290
; %bb.174:                              ;   in Loop: Header=BB4_130 Depth=2
	v_cmp_eq_u16_sdwa s41, v18, v113 src0_sel:BYTE_1 src1_sel:DWORD
	s_mov_b32 s13, -1
	s_and_saveexec_b32 s40, s41
; %bb.175:                              ;   in Loop: Header=BB4_130 Depth=2
	s_xor_b32 s13, exec_lo, -1
; %bb.176:                              ;   in Loop: Header=BB4_130 Depth=2
	s_or_b32 exec_lo, exec_lo, s40
	s_and_b32 s13, s13, exec_lo
	s_or_saveexec_b32 s29, s29
	v_mov_b32_e32 v40, 0x7f800001
	s_xor_b32 exec_lo, exec_lo, s29
	s_cbranch_execnz .LBB4_1291
.LBB4_177:                              ;   in Loop: Header=BB4_130 Depth=2
	s_or_b32 exec_lo, exec_lo, s29
	s_and_saveexec_b32 s29, s13
	s_cbranch_execz .LBB4_179
.LBB4_178:                              ;   in Loop: Header=BB4_130 Depth=2
	v_and_b32_sdwa v40, v114, v18 dst_sel:DWORD dst_unused:UNUSED_PAD src0_sel:DWORD src1_sel:BYTE_1
	v_and_b32_e32 v41, 3, v40
	v_bfe_u32 v44, v40, 2, 5
	v_ffbh_u32_e32 v42, v41
	v_cmp_eq_u32_e32 vcc_lo, 0, v44
	v_min_u32_e32 v42, 32, v42
	v_subrev_nc_u32_e32 v43, 29, v42
	v_sub_nc_u32_e32 v42, 30, v42
	v_lshlrev_b32_e32 v40, v43, v40
	v_lshlrev_b32_e32 v43, 16, v18
	v_cndmask_b32_e32 v42, v44, v42, vcc_lo
	v_and_b32_e32 v40, 3, v40
	v_lshl_add_u32 v42, v42, 23, 0x37800000
	v_cndmask_b32_e32 v40, v41, v40, vcc_lo
	v_and_b32_e32 v41, 0x80000000, v43
	v_lshlrev_b32_e32 v40, 21, v40
	v_or3_b32 v40, v41, v42, v40
.LBB4_179:                              ;   in Loop: Header=BB4_130 Depth=2
	s_or_b32 exec_lo, exec_lo, s29
	v_max_f32_e32 v40, v40, v40
	v_max_f32_e32 v119, v119, v119
	s_mov_b32 s13, 0
	v_max_f32_e32 v40, v119, v40
.LBB4_180:                              ;   in Loop: Header=BB4_130 Depth=2
	s_and_b32 vcc_lo, exec_lo, s13
	s_cbranch_vccz .LBB4_194
; %bb.181:                              ;   in Loop: Header=BB4_130 Depth=2
	v_cmp_gt_i16_sdwa s29, v22, v112 src0_sel:BYTE_1 src1_sel:DWORD
	s_mov_b32 s13, 0
	s_and_saveexec_b32 s40, s29
	s_xor_b32 s29, exec_lo, s40
	s_cbranch_execz .LBB4_1292
; %bb.182:                              ;   in Loop: Header=BB4_130 Depth=2
	v_cmp_eq_u16_sdwa s41, v22, v113 src0_sel:BYTE_1 src1_sel:DWORD
	s_mov_b32 s13, -1
	s_and_saveexec_b32 s40, s41
; %bb.183:                              ;   in Loop: Header=BB4_130 Depth=2
	s_xor_b32 s13, exec_lo, -1
; %bb.184:                              ;   in Loop: Header=BB4_130 Depth=2
	s_or_b32 exec_lo, exec_lo, s40
	s_and_b32 s13, s13, exec_lo
	s_or_saveexec_b32 s29, s29
	v_mov_b32_e32 v119, 0x7f800001
	s_xor_b32 exec_lo, exec_lo, s29
	s_cbranch_execnz .LBB4_1293
.LBB4_185:                              ;   in Loop: Header=BB4_130 Depth=2
	s_or_b32 exec_lo, exec_lo, s29
	s_and_saveexec_b32 s29, s13
	s_cbranch_execz .LBB4_187
.LBB4_186:                              ;   in Loop: Header=BB4_130 Depth=2
	v_and_b32_sdwa v119, v114, v22 dst_sel:DWORD dst_unused:UNUSED_PAD src0_sel:DWORD src1_sel:BYTE_1
	v_and_b32_e32 v40, 3, v119
	v_bfe_u32 v43, v119, 2, 5
	v_ffbh_u32_e32 v41, v40
	v_cmp_eq_u32_e32 vcc_lo, 0, v43
	v_min_u32_e32 v41, 32, v41
	v_subrev_nc_u32_e32 v42, 29, v41
	v_sub_nc_u32_e32 v41, 30, v41
	v_lshlrev_b32_e32 v119, v42, v119
	v_lshlrev_b32_e32 v42, 16, v22
	v_cndmask_b32_e32 v41, v43, v41, vcc_lo
	v_and_b32_e32 v119, 3, v119
	v_lshl_add_u32 v41, v41, 23, 0x37800000
	v_cndmask_b32_e32 v119, v40, v119, vcc_lo
	v_and_b32_e32 v40, 0x80000000, v42
	v_lshlrev_b32_e32 v119, 21, v119
	v_or3_b32 v119, v40, v41, v119
.LBB4_187:                              ;   in Loop: Header=BB4_130 Depth=2
	s_or_b32 exec_lo, exec_lo, s29
	s_waitcnt vmcnt(1)
	v_cmp_gt_i16_sdwa s29, v18, v112 src0_sel:BYTE_1 src1_sel:DWORD
	s_mov_b32 s13, 0
	s_and_saveexec_b32 s40, s29
	s_xor_b32 s29, exec_lo, s40
	s_cbranch_execz .LBB4_1294
; %bb.188:                              ;   in Loop: Header=BB4_130 Depth=2
	v_cmp_eq_u16_sdwa s41, v18, v113 src0_sel:BYTE_1 src1_sel:DWORD
	s_mov_b32 s13, -1
	s_and_saveexec_b32 s40, s41
; %bb.189:                              ;   in Loop: Header=BB4_130 Depth=2
	s_xor_b32 s13, exec_lo, -1
; %bb.190:                              ;   in Loop: Header=BB4_130 Depth=2
	s_or_b32 exec_lo, exec_lo, s40
	s_and_b32 s13, s13, exec_lo
	s_or_saveexec_b32 s29, s29
	v_mov_b32_e32 v40, 0x7f800001
	s_xor_b32 exec_lo, exec_lo, s29
	s_cbranch_execnz .LBB4_1295
.LBB4_191:                              ;   in Loop: Header=BB4_130 Depth=2
	s_or_b32 exec_lo, exec_lo, s29
	s_and_saveexec_b32 s29, s13
	s_cbranch_execz .LBB4_193
.LBB4_192:                              ;   in Loop: Header=BB4_130 Depth=2
	v_and_b32_sdwa v40, v114, v18 dst_sel:DWORD dst_unused:UNUSED_PAD src0_sel:DWORD src1_sel:BYTE_1
	v_and_b32_e32 v41, 3, v40
	v_bfe_u32 v44, v40, 2, 5
	v_ffbh_u32_e32 v42, v41
	v_cmp_eq_u32_e32 vcc_lo, 0, v44
	v_min_u32_e32 v42, 32, v42
	v_subrev_nc_u32_e32 v43, 29, v42
	v_sub_nc_u32_e32 v42, 30, v42
	v_lshlrev_b32_e32 v40, v43, v40
	v_lshlrev_b32_e32 v43, 16, v18
	v_cndmask_b32_e32 v42, v44, v42, vcc_lo
	v_and_b32_e32 v40, 3, v40
	v_lshl_add_u32 v42, v42, 23, 0x37800000
	v_cndmask_b32_e32 v40, v41, v40, vcc_lo
	v_and_b32_e32 v41, 0x80000000, v43
	v_lshlrev_b32_e32 v40, 21, v40
	v_or3_b32 v40, v41, v42, v40
.LBB4_193:                              ;   in Loop: Header=BB4_130 Depth=2
	s_or_b32 exec_lo, exec_lo, s29
	v_max_f32_e32 v40, v40, v40
	v_max_f32_e32 v119, v119, v119
	v_min_f32_e32 v40, v119, v40
.LBB4_194:                              ;   in Loop: Header=BB4_130 Depth=2
	v_and_b32_e32 v119, 0x7f800000, v40
	v_cmp_ne_u32_e32 vcc_lo, 0x7f800000, v119
	v_mov_b32_e32 v119, 0x8000
	s_and_saveexec_b32 s29, vcc_lo
	s_cbranch_execz .LBB4_202
; %bb.195:                              ;   in Loop: Header=BB4_130 Depth=2
	v_mov_b32_e32 v119, 0
	s_mov_b32 s40, exec_lo
	v_cmpx_ne_u32_e32 0, v40
	s_cbranch_execz .LBB4_201
; %bb.196:                              ;   in Loop: Header=BB4_130 Depth=2
	v_bfe_u32 v119, v40, 23, 8
	v_and_b32_e32 v41, 0x7fffff, v40
	v_sub_nc_u32_e32 v42, 0x70, v119
	v_cmp_gt_u32_e32 vcc_lo, 0x71, v119
	v_or_b32_e32 v43, 0x800000, v41
	v_cndmask_b32_e32 v42, 0, v42, vcc_lo
	v_cmp_eq_u32_e32 vcc_lo, 0, v119
	v_add_nc_u32_e32 v119, 0xffffff91, v119
	v_cndmask_b32_e64 v42, v42, 0x6f, vcc_lo
	v_cndmask_b32_e32 v41, v43, v41, vcc_lo
	v_cndmask_b32_e64 v119, v119, 0xffffff92, vcc_lo
	v_lshl_add_u32 v43, 0x200000, v42, -1
	v_lshrrev_b32_e32 v44, v42, v41
	v_lshlrev_b32_e64 v46, v42, 0x100000
	v_add_nc_u32_e32 v42, v42, v119
	v_and_b32_e32 v41, v43, v41
	v_bfe_u32 v45, v44, 21, 1
	v_cmp_eq_u32_e64 s13, v41, v46
	v_add_nc_u32_e32 v43, -1, v45
	v_cndmask_b32_e64 v41, 0, v43, s13
	v_lshrrev_b32_e32 v43, 23, v44
	s_mov_b32 s13, exec_lo
	v_add_nc_u32_e32 v41, v41, v44
	v_xor_b32_e32 v43, 1, v43
	v_and_b32_e32 v119, 0x1fffff, v41
	v_add_nc_u32_e32 v41, v119, v44
                                        ; implicit-def: $vgpr119
	v_cmpx_ne_u32_e64 v42, v43
	s_xor_b32 s13, exec_lo, s13
; %bb.197:                              ;   in Loop: Header=BB4_130 Depth=2
	v_cmp_lt_u32_e32 vcc_lo, 0xffffff, v41
	v_sub_nc_u32_e32 v119, v42, v43
	v_cndmask_b32_e64 v42, 0, 1, vcc_lo
	v_add_co_ci_u32_e64 v119, null, 0, v119, vcc_lo
	v_lshrrev_b32_e32 v41, v42, v41
; %bb.198:                              ;   in Loop: Header=BB4_130 Depth=2
	s_andn2_saveexec_b32 s13, s13
; %bb.199:                              ;   in Loop: Header=BB4_130 Depth=2
	v_bfe_u32 v119, v41, 23, 1
; %bb.200:                              ;   in Loop: Header=BB4_130 Depth=2
	s_or_b32 exec_lo, exec_lo, s13
	v_lshrrev_b32_e32 v41, 21, v41
	v_min_i32_e32 v42, 31, v119
	v_cmp_gt_i32_e32 vcc_lo, 32, v119
	v_and_b32_sdwa v40, v40, v113 dst_sel:DWORD dst_unused:UNUSED_PAD src0_sel:BYTE_3 src1_sel:DWORD
	v_lshlrev_b32_e32 v42, 2, v42
	v_cndmask_b32_e32 v41, 3, v41, vcc_lo
	v_and_b32_e32 v42, 0xfc, v42
	v_and_b32_e32 v43, 3, v41
	v_or_b32_e32 v119, v119, v41
	v_or3_b32 v40, v40, v42, v43
	v_cmp_ne_u32_e32 vcc_lo, 0, v119
	v_lshlrev_b32_e32 v40, 8, v40
	v_cndmask_b32_e32 v119, 0, v40, vcc_lo
.LBB4_201:                              ;   in Loop: Header=BB4_130 Depth=2
	s_or_b32 exec_lo, exec_lo, s40
.LBB4_202:                              ;   in Loop: Header=BB4_130 Depth=2
	s_or_b32 exec_lo, exec_lo, s29
	v_and_b32_sdwa v40, v22, v115 dst_sel:DWORD dst_unused:UNUSED_PAD src0_sel:WORD_1 src1_sel:DWORD
	s_and_b32 vcc_lo, exec_lo, s28
	s_mov_b32 s29, -1
                                        ; implicit-def: $vgpr41
	v_cmp_lt_i16_e64 s13, 0x7f, v40
	s_cbranch_vccz .LBB4_216
; %bb.203:                              ;   in Loop: Header=BB4_130 Depth=2
	s_mov_b32 s29, 0
	s_and_saveexec_b32 s40, s13
	s_xor_b32 s13, exec_lo, s40
	s_cbranch_execz .LBB4_1296
; %bb.204:                              ;   in Loop: Header=BB4_130 Depth=2
	s_mov_b32 s29, -1
	s_mov_b32 s40, exec_lo
	v_cmpx_eq_u16_e32 0x80, v40
; %bb.205:                              ;   in Loop: Header=BB4_130 Depth=2
	s_xor_b32 s29, exec_lo, -1
; %bb.206:                              ;   in Loop: Header=BB4_130 Depth=2
	s_or_b32 exec_lo, exec_lo, s40
	s_and_b32 s29, s29, exec_lo
	s_or_saveexec_b32 s13, s13
	v_mov_b32_e32 v41, 0x7f800001
	s_xor_b32 exec_lo, exec_lo, s13
	s_cbranch_execnz .LBB4_1297
.LBB4_207:                              ;   in Loop: Header=BB4_130 Depth=2
	s_or_b32 exec_lo, exec_lo, s13
	s_and_saveexec_b32 s13, s29
	s_cbranch_execz .LBB4_209
.LBB4_208:                              ;   in Loop: Header=BB4_130 Depth=2
	v_bfe_u32 v41, v22, 16, 2
	v_bfe_u32 v44, v22, 18, 5
	v_lshlrev_b32_sdwa v45, v116, v22 dst_sel:DWORD dst_unused:UNUSED_PAD src0_sel:DWORD src1_sel:WORD_1
	v_ffbh_u32_e32 v42, v41
	v_cmp_eq_u32_e32 vcc_lo, 0, v44
	v_min_u32_e32 v42, 32, v42
	v_subrev_nc_u32_e32 v43, 29, v42
	v_sub_nc_u32_e32 v42, 30, v42
	v_lshlrev_b32_sdwa v43, v43, v22 dst_sel:DWORD dst_unused:UNUSED_PAD src0_sel:DWORD src1_sel:WORD_1
	v_cndmask_b32_e32 v42, v44, v42, vcc_lo
	v_and_b32_e32 v43, 3, v43
	v_lshl_add_u32 v42, v42, 23, 0x37800000
	v_cndmask_b32_e32 v41, v41, v43, vcc_lo
	v_and_b32_e32 v43, 0x80000000, v45
	v_lshlrev_b32_e32 v41, 21, v41
	v_or3_b32 v41, v43, v42, v41
.LBB4_209:                              ;   in Loop: Header=BB4_130 Depth=2
	s_or_b32 exec_lo, exec_lo, s13
	s_waitcnt vmcnt(1)
	v_and_b32_sdwa v43, v18, v115 dst_sel:DWORD dst_unused:UNUSED_PAD src0_sel:WORD_1 src1_sel:DWORD
	s_mov_b32 s13, 0
	s_mov_b32 s29, exec_lo
	v_cmpx_lt_i16_e32 0x7f, v43
	s_xor_b32 s29, exec_lo, s29
	s_cbranch_execz .LBB4_1298
; %bb.210:                              ;   in Loop: Header=BB4_130 Depth=2
	s_mov_b32 s13, -1
	s_mov_b32 s40, exec_lo
	v_cmpx_eq_u16_e32 0x80, v43
; %bb.211:                              ;   in Loop: Header=BB4_130 Depth=2
	s_xor_b32 s13, exec_lo, -1
; %bb.212:                              ;   in Loop: Header=BB4_130 Depth=2
	s_or_b32 exec_lo, exec_lo, s40
	s_and_b32 s13, s13, exec_lo
                                        ; implicit-def: $vgpr43
	s_or_saveexec_b32 s29, s29
	v_mov_b32_e32 v42, 0x7f800001
	s_xor_b32 exec_lo, exec_lo, s29
	s_cbranch_execnz .LBB4_1299
.LBB4_213:                              ;   in Loop: Header=BB4_130 Depth=2
	s_or_b32 exec_lo, exec_lo, s29
	s_and_saveexec_b32 s29, s13
	s_cbranch_execz .LBB4_215
.LBB4_214:                              ;   in Loop: Header=BB4_130 Depth=2
	v_bfe_u32 v42, v18, 16, 2
	v_bfe_u32 v45, v18, 18, 5
	v_lshlrev_b32_sdwa v46, v116, v18 dst_sel:DWORD dst_unused:UNUSED_PAD src0_sel:DWORD src1_sel:WORD_1
	v_ffbh_u32_e32 v43, v42
	v_cmp_eq_u32_e32 vcc_lo, 0, v45
	v_min_u32_e32 v43, 32, v43
	v_subrev_nc_u32_e32 v44, 29, v43
	v_sub_nc_u32_e32 v43, 30, v43
	v_lshlrev_b32_sdwa v44, v44, v18 dst_sel:DWORD dst_unused:UNUSED_PAD src0_sel:DWORD src1_sel:WORD_1
	v_cndmask_b32_e32 v43, v45, v43, vcc_lo
	v_and_b32_e32 v44, 3, v44
	v_lshl_add_u32 v43, v43, 23, 0x37800000
	v_cndmask_b32_e32 v42, v42, v44, vcc_lo
	v_and_b32_e32 v44, 0x80000000, v46
	v_lshlrev_b32_e32 v42, 21, v42
	v_or3_b32 v42, v44, v43, v42
.LBB4_215:                              ;   in Loop: Header=BB4_130 Depth=2
	s_or_b32 exec_lo, exec_lo, s29
	v_max_f32_e32 v42, v42, v42
	v_max_f32_e32 v41, v41, v41
	s_mov_b32 s29, 0
	v_max_f32_e32 v41, v41, v42
.LBB4_216:                              ;   in Loop: Header=BB4_130 Depth=2
	s_and_b32 vcc_lo, exec_lo, s29
	s_cbranch_vccz .LBB4_230
; %bb.217:                              ;   in Loop: Header=BB4_130 Depth=2
	s_mov_b32 s13, 0
	s_mov_b32 s29, exec_lo
	v_cmpx_lt_i16_e32 0x7f, v40
	s_xor_b32 s29, exec_lo, s29
	s_cbranch_execz .LBB4_1300
; %bb.218:                              ;   in Loop: Header=BB4_130 Depth=2
	s_mov_b32 s13, -1
	s_mov_b32 s40, exec_lo
	v_cmpx_eq_u16_e32 0x80, v40
; %bb.219:                              ;   in Loop: Header=BB4_130 Depth=2
	s_xor_b32 s13, exec_lo, -1
; %bb.220:                              ;   in Loop: Header=BB4_130 Depth=2
	s_or_b32 exec_lo, exec_lo, s40
	s_and_b32 s13, s13, exec_lo
                                        ; implicit-def: $vgpr40
	s_or_saveexec_b32 s29, s29
	v_mov_b32_e32 v41, 0x7f800001
	s_xor_b32 exec_lo, exec_lo, s29
	s_cbranch_execnz .LBB4_1301
.LBB4_221:                              ;   in Loop: Header=BB4_130 Depth=2
	s_or_b32 exec_lo, exec_lo, s29
	s_and_saveexec_b32 s29, s13
	s_cbranch_execz .LBB4_223
.LBB4_222:                              ;   in Loop: Header=BB4_130 Depth=2
	v_bfe_u32 v40, v22, 16, 2
	v_bfe_u32 v43, v22, 18, 5
	v_lshlrev_b32_sdwa v44, v116, v22 dst_sel:DWORD dst_unused:UNUSED_PAD src0_sel:DWORD src1_sel:WORD_1
	v_ffbh_u32_e32 v41, v40
	v_cmp_eq_u32_e32 vcc_lo, 0, v43
	v_min_u32_e32 v41, 32, v41
	v_subrev_nc_u32_e32 v42, 29, v41
	v_sub_nc_u32_e32 v41, 30, v41
	v_lshlrev_b32_sdwa v42, v42, v22 dst_sel:DWORD dst_unused:UNUSED_PAD src0_sel:DWORD src1_sel:WORD_1
	v_cndmask_b32_e32 v41, v43, v41, vcc_lo
	v_and_b32_e32 v42, 3, v42
	v_lshl_add_u32 v41, v41, 23, 0x37800000
	v_cndmask_b32_e32 v40, v40, v42, vcc_lo
	v_and_b32_e32 v42, 0x80000000, v44
	v_lshlrev_b32_e32 v40, 21, v40
	v_or3_b32 v41, v42, v41, v40
.LBB4_223:                              ;   in Loop: Header=BB4_130 Depth=2
	s_or_b32 exec_lo, exec_lo, s29
	s_waitcnt vmcnt(1)
	v_and_b32_sdwa v42, v18, v115 dst_sel:DWORD dst_unused:UNUSED_PAD src0_sel:WORD_1 src1_sel:DWORD
	s_mov_b32 s13, 0
	s_mov_b32 s29, exec_lo
	v_cmpx_lt_i16_e32 0x7f, v42
	s_xor_b32 s29, exec_lo, s29
	s_cbranch_execz .LBB4_1302
; %bb.224:                              ;   in Loop: Header=BB4_130 Depth=2
	s_mov_b32 s13, -1
	s_mov_b32 s40, exec_lo
	v_cmpx_eq_u16_e32 0x80, v42
; %bb.225:                              ;   in Loop: Header=BB4_130 Depth=2
	s_xor_b32 s13, exec_lo, -1
; %bb.226:                              ;   in Loop: Header=BB4_130 Depth=2
	s_or_b32 exec_lo, exec_lo, s40
	s_and_b32 s13, s13, exec_lo
                                        ; implicit-def: $vgpr42
	s_or_saveexec_b32 s29, s29
	v_mov_b32_e32 v40, 0x7f800001
	s_xor_b32 exec_lo, exec_lo, s29
	s_cbranch_execnz .LBB4_1303
.LBB4_227:                              ;   in Loop: Header=BB4_130 Depth=2
	s_or_b32 exec_lo, exec_lo, s29
	s_and_saveexec_b32 s29, s13
	s_cbranch_execz .LBB4_229
.LBB4_228:                              ;   in Loop: Header=BB4_130 Depth=2
	v_bfe_u32 v40, v18, 16, 2
	v_bfe_u32 v44, v18, 18, 5
	v_lshlrev_b32_sdwa v45, v116, v18 dst_sel:DWORD dst_unused:UNUSED_PAD src0_sel:DWORD src1_sel:WORD_1
	v_ffbh_u32_e32 v42, v40
	v_cmp_eq_u32_e32 vcc_lo, 0, v44
	v_min_u32_e32 v42, 32, v42
	v_subrev_nc_u32_e32 v43, 29, v42
	v_sub_nc_u32_e32 v42, 30, v42
	v_lshlrev_b32_sdwa v43, v43, v18 dst_sel:DWORD dst_unused:UNUSED_PAD src0_sel:DWORD src1_sel:WORD_1
	v_cndmask_b32_e32 v42, v44, v42, vcc_lo
	v_and_b32_e32 v43, 3, v43
	v_lshl_add_u32 v42, v42, 23, 0x37800000
	v_cndmask_b32_e32 v40, v40, v43, vcc_lo
	v_and_b32_e32 v43, 0x80000000, v45
	v_lshlrev_b32_e32 v40, 21, v40
	v_or3_b32 v40, v43, v42, v40
.LBB4_229:                              ;   in Loop: Header=BB4_130 Depth=2
	s_or_b32 exec_lo, exec_lo, s29
	v_max_f32_e32 v40, v40, v40
	v_max_f32_e32 v41, v41, v41
	v_min_f32_e32 v41, v41, v40
.LBB4_230:                              ;   in Loop: Header=BB4_130 Depth=2
	v_and_b32_e32 v40, 0x7f800000, v41
	v_cmp_ne_u32_e32 vcc_lo, 0x7f800000, v40
	v_mov_b32_e32 v40, 0x80
	s_and_saveexec_b32 s29, vcc_lo
	s_cbranch_execz .LBB4_238
; %bb.231:                              ;   in Loop: Header=BB4_130 Depth=2
	v_mov_b32_e32 v40, 0
	s_mov_b32 s40, exec_lo
	v_cmpx_ne_u32_e32 0, v41
	s_cbranch_execz .LBB4_237
; %bb.232:                              ;   in Loop: Header=BB4_130 Depth=2
	v_bfe_u32 v40, v41, 23, 8
	v_and_b32_e32 v42, 0x7fffff, v41
	v_sub_nc_u32_e32 v43, 0x70, v40
	v_cmp_gt_u32_e32 vcc_lo, 0x71, v40
	v_or_b32_e32 v44, 0x800000, v42
	v_cndmask_b32_e32 v43, 0, v43, vcc_lo
	v_cmp_eq_u32_e32 vcc_lo, 0, v40
	v_add_nc_u32_e32 v40, 0xffffff91, v40
	v_cndmask_b32_e64 v43, v43, 0x6f, vcc_lo
	v_cndmask_b32_e32 v42, v44, v42, vcc_lo
	v_cndmask_b32_e64 v40, v40, 0xffffff92, vcc_lo
	v_lshl_add_u32 v44, 0x200000, v43, -1
	v_lshrrev_b32_e32 v45, v43, v42
	v_lshlrev_b32_e64 v47, v43, 0x100000
	v_add_nc_u32_e32 v43, v43, v40
	v_and_b32_e32 v42, v44, v42
	v_bfe_u32 v46, v45, 21, 1
	v_cmp_eq_u32_e64 s13, v42, v47
	v_add_nc_u32_e32 v44, -1, v46
	v_cndmask_b32_e64 v42, 0, v44, s13
	v_lshrrev_b32_e32 v44, 23, v45
	s_mov_b32 s13, exec_lo
	v_add_nc_u32_e32 v42, v42, v45
	v_xor_b32_e32 v44, 1, v44
	v_and_b32_e32 v40, 0x1fffff, v42
	v_add_nc_u32_e32 v42, v40, v45
                                        ; implicit-def: $vgpr40
	v_cmpx_ne_u32_e64 v43, v44
	s_xor_b32 s13, exec_lo, s13
; %bb.233:                              ;   in Loop: Header=BB4_130 Depth=2
	v_cmp_lt_u32_e32 vcc_lo, 0xffffff, v42
	v_sub_nc_u32_e32 v40, v43, v44
	v_cndmask_b32_e64 v43, 0, 1, vcc_lo
	v_add_co_ci_u32_e64 v40, null, 0, v40, vcc_lo
	v_lshrrev_b32_e32 v42, v43, v42
; %bb.234:                              ;   in Loop: Header=BB4_130 Depth=2
	s_andn2_saveexec_b32 s13, s13
; %bb.235:                              ;   in Loop: Header=BB4_130 Depth=2
	v_bfe_u32 v40, v42, 23, 1
; %bb.236:                              ;   in Loop: Header=BB4_130 Depth=2
	s_or_b32 exec_lo, exec_lo, s13
	v_lshrrev_b32_e32 v42, 21, v42
	v_min_i32_e32 v43, 31, v40
	v_cmp_gt_i32_e32 vcc_lo, 32, v40
	v_and_b32_sdwa v41, v41, v113 dst_sel:DWORD dst_unused:UNUSED_PAD src0_sel:BYTE_3 src1_sel:DWORD
	v_lshlrev_b32_e32 v43, 2, v43
	v_cndmask_b32_e32 v42, 3, v42, vcc_lo
	v_and_b32_e32 v43, 0xfc, v43
	v_and_b32_e32 v44, 3, v42
	v_or_b32_e32 v40, v40, v42
	v_or3_b32 v41, v43, v41, v44
	v_cmp_ne_u32_e32 vcc_lo, 0, v40
	v_cndmask_b32_e32 v40, 0, v41, vcc_lo
.LBB4_237:                              ;   in Loop: Header=BB4_130 Depth=2
	s_or_b32 exec_lo, exec_lo, s40
.LBB4_238:                              ;   in Loop: Header=BB4_130 Depth=2
	s_or_b32 exec_lo, exec_lo, s29
	v_cmp_gt_i16_sdwa s29, v22, v112 src0_sel:BYTE_3 src1_sel:DWORD
	s_and_b32 vcc_lo, exec_lo, s28
	s_mov_b32 s13, -1
                                        ; implicit-def: $vgpr41
	s_cbranch_vccz .LBB4_252
; %bb.239:                              ;   in Loop: Header=BB4_130 Depth=2
	s_mov_b32 s13, 0
	s_and_saveexec_b32 s40, s29
	s_xor_b32 s29, exec_lo, s40
	s_cbranch_execz .LBB4_1304
; %bb.240:                              ;   in Loop: Header=BB4_130 Depth=2
	v_cmp_eq_u16_sdwa s41, v22, v113 src0_sel:BYTE_3 src1_sel:DWORD
	s_mov_b32 s13, -1
	s_and_saveexec_b32 s40, s41
; %bb.241:                              ;   in Loop: Header=BB4_130 Depth=2
	s_xor_b32 s13, exec_lo, -1
; %bb.242:                              ;   in Loop: Header=BB4_130 Depth=2
	s_or_b32 exec_lo, exec_lo, s40
	s_and_b32 s13, s13, exec_lo
	s_or_saveexec_b32 s29, s29
	v_mov_b32_e32 v41, 0x7f800001
	s_xor_b32 exec_lo, exec_lo, s29
	s_cbranch_execnz .LBB4_1305
.LBB4_243:                              ;   in Loop: Header=BB4_130 Depth=2
	s_or_b32 exec_lo, exec_lo, s29
	s_and_saveexec_b32 s29, s13
	s_cbranch_execz .LBB4_245
.LBB4_244:                              ;   in Loop: Header=BB4_130 Depth=2
	v_bfe_u32 v41, v22, 24, 2
	v_bfe_u32 v44, v22, 26, 5
	v_ffbh_u32_e32 v42, v41
	v_cmp_eq_u32_e32 vcc_lo, 0, v44
	v_min_u32_e32 v42, 32, v42
	v_subrev_nc_u32_e32 v43, 29, v42
	v_sub_nc_u32_e32 v42, 30, v42
	v_lshlrev_b32_sdwa v43, v43, v22 dst_sel:DWORD dst_unused:UNUSED_PAD src0_sel:DWORD src1_sel:BYTE_3
	v_cndmask_b32_e32 v42, v44, v42, vcc_lo
	v_and_b32_e32 v43, 3, v43
	v_lshl_add_u32 v42, v42, 23, 0x37800000
	v_cndmask_b32_e32 v41, v41, v43, vcc_lo
	v_and_b32_e32 v43, 0x80000000, v22
	v_lshlrev_b32_e32 v41, 21, v41
	v_or3_b32 v41, v43, v42, v41
.LBB4_245:                              ;   in Loop: Header=BB4_130 Depth=2
	s_or_b32 exec_lo, exec_lo, s29
	s_waitcnt vmcnt(1)
	v_cmp_gt_i16_sdwa s29, v18, v112 src0_sel:BYTE_3 src1_sel:DWORD
	s_mov_b32 s13, 0
	s_and_saveexec_b32 s40, s29
	s_xor_b32 s29, exec_lo, s40
	s_cbranch_execz .LBB4_1306
; %bb.246:                              ;   in Loop: Header=BB4_130 Depth=2
	v_cmp_eq_u16_sdwa s41, v18, v113 src0_sel:BYTE_3 src1_sel:DWORD
	s_mov_b32 s13, -1
	s_and_saveexec_b32 s40, s41
; %bb.247:                              ;   in Loop: Header=BB4_130 Depth=2
	s_xor_b32 s13, exec_lo, -1
; %bb.248:                              ;   in Loop: Header=BB4_130 Depth=2
	s_or_b32 exec_lo, exec_lo, s40
	s_and_b32 s13, s13, exec_lo
	s_or_saveexec_b32 s29, s29
	v_mov_b32_e32 v42, 0x7f800001
	s_xor_b32 exec_lo, exec_lo, s29
	s_cbranch_execnz .LBB4_1307
.LBB4_249:                              ;   in Loop: Header=BB4_130 Depth=2
	s_or_b32 exec_lo, exec_lo, s29
	s_and_saveexec_b32 s29, s13
	s_cbranch_execz .LBB4_251
.LBB4_250:                              ;   in Loop: Header=BB4_130 Depth=2
	v_bfe_u32 v42, v18, 24, 2
	v_bfe_u32 v45, v18, 26, 5
	v_ffbh_u32_e32 v43, v42
	v_cmp_eq_u32_e32 vcc_lo, 0, v45
	v_min_u32_e32 v43, 32, v43
	v_subrev_nc_u32_e32 v44, 29, v43
	v_sub_nc_u32_e32 v43, 30, v43
	v_lshlrev_b32_sdwa v44, v44, v18 dst_sel:DWORD dst_unused:UNUSED_PAD src0_sel:DWORD src1_sel:BYTE_3
	v_cndmask_b32_e32 v43, v45, v43, vcc_lo
	v_and_b32_e32 v44, 3, v44
	v_lshl_add_u32 v43, v43, 23, 0x37800000
	v_cndmask_b32_e32 v42, v42, v44, vcc_lo
	v_and_b32_e32 v44, 0x80000000, v18
	v_lshlrev_b32_e32 v42, 21, v42
	v_or3_b32 v42, v44, v43, v42
.LBB4_251:                              ;   in Loop: Header=BB4_130 Depth=2
	s_or_b32 exec_lo, exec_lo, s29
	v_max_f32_e32 v42, v42, v42
	v_max_f32_e32 v41, v41, v41
	s_mov_b32 s13, 0
	v_max_f32_e32 v41, v41, v42
.LBB4_252:                              ;   in Loop: Header=BB4_130 Depth=2
	s_and_b32 vcc_lo, exec_lo, s13
	s_cbranch_vccz .LBB4_266
; %bb.253:                              ;   in Loop: Header=BB4_130 Depth=2
	v_cmp_gt_i16_sdwa s29, v22, v112 src0_sel:BYTE_3 src1_sel:DWORD
	s_mov_b32 s13, 0
	s_and_saveexec_b32 s40, s29
	s_xor_b32 s29, exec_lo, s40
	s_cbranch_execz .LBB4_1308
; %bb.254:                              ;   in Loop: Header=BB4_130 Depth=2
	v_cmp_eq_u16_sdwa s41, v22, v113 src0_sel:BYTE_3 src1_sel:DWORD
	s_mov_b32 s13, -1
	s_and_saveexec_b32 s40, s41
; %bb.255:                              ;   in Loop: Header=BB4_130 Depth=2
	s_xor_b32 s13, exec_lo, -1
; %bb.256:                              ;   in Loop: Header=BB4_130 Depth=2
	s_or_b32 exec_lo, exec_lo, s40
	s_and_b32 s13, s13, exec_lo
	s_or_saveexec_b32 s29, s29
	v_mov_b32_e32 v41, 0x7f800001
	s_xor_b32 exec_lo, exec_lo, s29
	s_cbranch_execnz .LBB4_1309
.LBB4_257:                              ;   in Loop: Header=BB4_130 Depth=2
	s_or_b32 exec_lo, exec_lo, s29
	s_and_saveexec_b32 s29, s13
	s_cbranch_execz .LBB4_259
.LBB4_258:                              ;   in Loop: Header=BB4_130 Depth=2
	v_bfe_u32 v41, v22, 24, 2
	v_bfe_u32 v44, v22, 26, 5
	v_ffbh_u32_e32 v42, v41
	v_cmp_eq_u32_e32 vcc_lo, 0, v44
	v_min_u32_e32 v42, 32, v42
	v_subrev_nc_u32_e32 v43, 29, v42
	v_sub_nc_u32_e32 v42, 30, v42
	v_lshlrev_b32_sdwa v43, v43, v22 dst_sel:DWORD dst_unused:UNUSED_PAD src0_sel:DWORD src1_sel:BYTE_3
	v_cndmask_b32_e32 v42, v44, v42, vcc_lo
	v_and_b32_e32 v22, 0x80000000, v22
	v_and_b32_e32 v43, 3, v43
	v_lshl_add_u32 v42, v42, 23, 0x37800000
	v_cndmask_b32_e32 v41, v41, v43, vcc_lo
	v_lshlrev_b32_e32 v41, 21, v41
	v_or3_b32 v41, v22, v42, v41
.LBB4_259:                              ;   in Loop: Header=BB4_130 Depth=2
	s_or_b32 exec_lo, exec_lo, s29
	s_waitcnt vmcnt(1)
	v_cmp_gt_i16_sdwa s29, v18, v112 src0_sel:BYTE_3 src1_sel:DWORD
	s_mov_b32 s13, 0
	s_and_saveexec_b32 s40, s29
	s_xor_b32 s29, exec_lo, s40
	s_cbranch_execz .LBB4_1310
; %bb.260:                              ;   in Loop: Header=BB4_130 Depth=2
	v_cmp_eq_u16_sdwa s41, v18, v113 src0_sel:BYTE_3 src1_sel:DWORD
	s_mov_b32 s13, -1
	s_and_saveexec_b32 s40, s41
; %bb.261:                              ;   in Loop: Header=BB4_130 Depth=2
	s_xor_b32 s13, exec_lo, -1
; %bb.262:                              ;   in Loop: Header=BB4_130 Depth=2
	s_or_b32 exec_lo, exec_lo, s40
	s_and_b32 s13, s13, exec_lo
	s_or_saveexec_b32 s29, s29
	v_mov_b32_e32 v22, 0x7f800001
	s_xor_b32 exec_lo, exec_lo, s29
	s_cbranch_execnz .LBB4_1311
.LBB4_263:                              ;   in Loop: Header=BB4_130 Depth=2
	s_or_b32 exec_lo, exec_lo, s29
	s_and_saveexec_b32 s29, s13
	s_cbranch_execz .LBB4_265
.LBB4_264:                              ;   in Loop: Header=BB4_130 Depth=2
	v_bfe_u32 v22, v18, 24, 2
	v_bfe_u32 v44, v18, 26, 5
	v_ffbh_u32_e32 v42, v22
	v_cmp_eq_u32_e32 vcc_lo, 0, v44
	v_min_u32_e32 v42, 32, v42
	v_subrev_nc_u32_e32 v43, 29, v42
	v_sub_nc_u32_e32 v42, 30, v42
	v_lshlrev_b32_sdwa v43, v43, v18 dst_sel:DWORD dst_unused:UNUSED_PAD src0_sel:DWORD src1_sel:BYTE_3
	v_cndmask_b32_e32 v42, v44, v42, vcc_lo
	v_and_b32_e32 v18, 0x80000000, v18
	v_and_b32_e32 v43, 3, v43
	v_lshl_add_u32 v42, v42, 23, 0x37800000
	v_cndmask_b32_e32 v22, v22, v43, vcc_lo
	v_lshlrev_b32_e32 v22, 21, v22
	v_or3_b32 v22, v18, v42, v22
.LBB4_265:                              ;   in Loop: Header=BB4_130 Depth=2
	s_or_b32 exec_lo, exec_lo, s29
	v_max_f32_e32 v18, v22, v22
	v_max_f32_e32 v22, v41, v41
	v_min_f32_e32 v41, v22, v18
.LBB4_266:                              ;   in Loop: Header=BB4_130 Depth=2
	s_waitcnt vmcnt(1)
	v_and_b32_e32 v18, 0x7f800000, v41
	v_cmp_ne_u32_e32 vcc_lo, 0x7f800000, v18
	v_mov_b32_e32 v18, 0x8000
	s_and_saveexec_b32 s29, vcc_lo
	s_cbranch_execz .LBB4_274
; %bb.267:                              ;   in Loop: Header=BB4_130 Depth=2
	v_mov_b32_e32 v18, 0
	s_mov_b32 s40, exec_lo
	v_cmpx_ne_u32_e32 0, v41
	s_cbranch_execz .LBB4_273
; %bb.268:                              ;   in Loop: Header=BB4_130 Depth=2
	v_bfe_u32 v18, v41, 23, 8
	v_and_b32_e32 v22, 0x7fffff, v41
	v_sub_nc_u32_e32 v42, 0x70, v18
	v_cmp_gt_u32_e32 vcc_lo, 0x71, v18
	v_or_b32_e32 v43, 0x800000, v22
	v_cndmask_b32_e32 v42, 0, v42, vcc_lo
	v_cmp_eq_u32_e32 vcc_lo, 0, v18
	v_add_nc_u32_e32 v18, 0xffffff91, v18
	v_cndmask_b32_e64 v42, v42, 0x6f, vcc_lo
	v_cndmask_b32_e32 v22, v43, v22, vcc_lo
	v_cndmask_b32_e64 v18, v18, 0xffffff92, vcc_lo
	v_lshl_add_u32 v43, 0x200000, v42, -1
	v_lshrrev_b32_e32 v44, v42, v22
	v_lshlrev_b32_e64 v46, v42, 0x100000
	v_add_nc_u32_e32 v42, v42, v18
	v_and_b32_e32 v22, v43, v22
	v_bfe_u32 v45, v44, 21, 1
	v_cmp_eq_u32_e64 s13, v22, v46
	v_add_nc_u32_e32 v43, -1, v45
	v_cndmask_b32_e64 v22, 0, v43, s13
	v_lshrrev_b32_e32 v43, 23, v44
	s_mov_b32 s13, exec_lo
	v_add_nc_u32_e32 v22, v22, v44
	v_xor_b32_e32 v43, 1, v43
	v_and_b32_e32 v18, 0x1fffff, v22
	v_add_nc_u32_e32 v22, v18, v44
                                        ; implicit-def: $vgpr18
	v_cmpx_ne_u32_e64 v42, v43
	s_xor_b32 s13, exec_lo, s13
; %bb.269:                              ;   in Loop: Header=BB4_130 Depth=2
	v_cmp_lt_u32_e32 vcc_lo, 0xffffff, v22
	v_sub_nc_u32_e32 v18, v42, v43
	v_cndmask_b32_e64 v42, 0, 1, vcc_lo
	v_add_co_ci_u32_e64 v18, null, 0, v18, vcc_lo
	v_lshrrev_b32_e32 v22, v42, v22
; %bb.270:                              ;   in Loop: Header=BB4_130 Depth=2
	s_andn2_saveexec_b32 s13, s13
; %bb.271:                              ;   in Loop: Header=BB4_130 Depth=2
	v_bfe_u32 v18, v22, 23, 1
; %bb.272:                              ;   in Loop: Header=BB4_130 Depth=2
	s_or_b32 exec_lo, exec_lo, s13
	v_lshrrev_b32_e32 v22, 21, v22
	v_min_i32_e32 v42, 31, v18
	v_cmp_gt_i32_e32 vcc_lo, 32, v18
	v_and_b32_sdwa v41, v41, v113 dst_sel:DWORD dst_unused:UNUSED_PAD src0_sel:BYTE_3 src1_sel:DWORD
	v_lshlrev_b32_e32 v42, 2, v42
	v_cndmask_b32_e32 v22, 3, v22, vcc_lo
	v_and_b32_e32 v42, 0xfc, v42
	v_and_b32_e32 v43, 3, v22
	v_or_b32_e32 v18, v18, v22
	v_or3_b32 v41, v41, v42, v43
	v_cmp_ne_u32_e32 vcc_lo, 0, v18
	v_lshlrev_b32_e32 v22, 8, v41
	v_cndmask_b32_e32 v18, 0, v22, vcc_lo
.LBB4_273:                              ;   in Loop: Header=BB4_130 Depth=2
	s_or_b32 exec_lo, exec_lo, s40
.LBB4_274:                              ;   in Loop: Header=BB4_130 Depth=2
	s_or_b32 exec_lo, exec_lo, s29
	v_cmp_gt_i16_sdwa s29, v23, v112 src0_sel:BYTE_0 src1_sel:DWORD
	s_and_b32 vcc_lo, exec_lo, s28
	s_mov_b32 s13, -1
                                        ; implicit-def: $vgpr41
	s_cbranch_vccz .LBB4_288
; %bb.275:                              ;   in Loop: Header=BB4_130 Depth=2
	s_mov_b32 s13, 0
	s_and_saveexec_b32 s40, s29
	s_xor_b32 s29, exec_lo, s40
	s_cbranch_execz .LBB4_1312
; %bb.276:                              ;   in Loop: Header=BB4_130 Depth=2
	v_cmp_eq_u16_sdwa s41, v23, v113 src0_sel:BYTE_0 src1_sel:DWORD
	s_mov_b32 s13, -1
	s_and_saveexec_b32 s40, s41
; %bb.277:                              ;   in Loop: Header=BB4_130 Depth=2
	s_xor_b32 s13, exec_lo, -1
; %bb.278:                              ;   in Loop: Header=BB4_130 Depth=2
	s_or_b32 exec_lo, exec_lo, s40
	s_and_b32 s13, s13, exec_lo
	s_or_saveexec_b32 s29, s29
	v_mov_b32_e32 v22, 0x7f800001
	s_xor_b32 exec_lo, exec_lo, s29
	s_cbranch_execnz .LBB4_1313
.LBB4_279:                              ;   in Loop: Header=BB4_130 Depth=2
	s_or_b32 exec_lo, exec_lo, s29
	s_and_saveexec_b32 s29, s13
	s_cbranch_execz .LBB4_281
.LBB4_280:                              ;   in Loop: Header=BB4_130 Depth=2
	v_and_b32_e32 v22, 3, v23
	v_bfe_u32 v43, v23, 2, 5
	v_lshlrev_b32_e32 v44, 24, v23
	v_ffbh_u32_e32 v41, v22
	v_cmp_eq_u32_e32 vcc_lo, 0, v43
	v_min_u32_e32 v41, 32, v41
	v_subrev_nc_u32_e32 v42, 29, v41
	v_sub_nc_u32_e32 v41, 30, v41
	v_lshlrev_b32_e32 v42, v42, v23
	v_cndmask_b32_e32 v41, v43, v41, vcc_lo
	v_and_b32_e32 v42, 3, v42
	v_lshl_add_u32 v41, v41, 23, 0x37800000
	v_cndmask_b32_e32 v22, v22, v42, vcc_lo
	v_and_b32_e32 v42, 0x80000000, v44
	v_lshlrev_b32_e32 v22, 21, v22
	v_or3_b32 v22, v42, v41, v22
.LBB4_281:                              ;   in Loop: Header=BB4_130 Depth=2
	s_or_b32 exec_lo, exec_lo, s29
	v_cmp_gt_i16_sdwa s29, v19, v112 src0_sel:BYTE_0 src1_sel:DWORD
	s_mov_b32 s13, 0
	s_and_saveexec_b32 s40, s29
	s_xor_b32 s29, exec_lo, s40
	s_cbranch_execz .LBB4_1314
; %bb.282:                              ;   in Loop: Header=BB4_130 Depth=2
	v_cmp_eq_u16_sdwa s41, v19, v113 src0_sel:BYTE_0 src1_sel:DWORD
	s_mov_b32 s13, -1
	s_and_saveexec_b32 s40, s41
; %bb.283:                              ;   in Loop: Header=BB4_130 Depth=2
	s_xor_b32 s13, exec_lo, -1
; %bb.284:                              ;   in Loop: Header=BB4_130 Depth=2
	s_or_b32 exec_lo, exec_lo, s40
	s_and_b32 s13, s13, exec_lo
	s_or_saveexec_b32 s29, s29
	v_mov_b32_e32 v41, 0x7f800001
	s_xor_b32 exec_lo, exec_lo, s29
	s_cbranch_execnz .LBB4_1315
.LBB4_285:                              ;   in Loop: Header=BB4_130 Depth=2
	s_or_b32 exec_lo, exec_lo, s29
	s_and_saveexec_b32 s29, s13
	s_cbranch_execz .LBB4_287
.LBB4_286:                              ;   in Loop: Header=BB4_130 Depth=2
	v_and_b32_e32 v41, 3, v19
	v_bfe_u32 v44, v19, 2, 5
	v_lshlrev_b32_e32 v45, 24, v19
	v_ffbh_u32_e32 v42, v41
	v_cmp_eq_u32_e32 vcc_lo, 0, v44
	v_min_u32_e32 v42, 32, v42
	v_subrev_nc_u32_e32 v43, 29, v42
	v_sub_nc_u32_e32 v42, 30, v42
	v_lshlrev_b32_e32 v43, v43, v19
	v_cndmask_b32_e32 v42, v44, v42, vcc_lo
	v_and_b32_e32 v43, 3, v43
	v_lshl_add_u32 v42, v42, 23, 0x37800000
	v_cndmask_b32_e32 v41, v41, v43, vcc_lo
	v_and_b32_e32 v43, 0x80000000, v45
	v_lshlrev_b32_e32 v41, 21, v41
	v_or3_b32 v41, v43, v42, v41
.LBB4_287:                              ;   in Loop: Header=BB4_130 Depth=2
	s_or_b32 exec_lo, exec_lo, s29
	v_max_f32_e32 v41, v41, v41
	v_max_f32_e32 v22, v22, v22
	s_mov_b32 s13, 0
	v_max_f32_e32 v41, v22, v41
.LBB4_288:                              ;   in Loop: Header=BB4_130 Depth=2
	s_and_b32 vcc_lo, exec_lo, s13
	s_cbranch_vccz .LBB4_302
; %bb.289:                              ;   in Loop: Header=BB4_130 Depth=2
	v_cmp_gt_i16_sdwa s29, v23, v112 src0_sel:BYTE_0 src1_sel:DWORD
	s_mov_b32 s13, 0
	s_and_saveexec_b32 s40, s29
	s_xor_b32 s29, exec_lo, s40
	s_cbranch_execz .LBB4_1316
; %bb.290:                              ;   in Loop: Header=BB4_130 Depth=2
	v_cmp_eq_u16_sdwa s41, v23, v113 src0_sel:BYTE_0 src1_sel:DWORD
	s_mov_b32 s13, -1
	s_and_saveexec_b32 s40, s41
; %bb.291:                              ;   in Loop: Header=BB4_130 Depth=2
	s_xor_b32 s13, exec_lo, -1
; %bb.292:                              ;   in Loop: Header=BB4_130 Depth=2
	s_or_b32 exec_lo, exec_lo, s40
	s_and_b32 s13, s13, exec_lo
	s_or_saveexec_b32 s29, s29
	v_mov_b32_e32 v22, 0x7f800001
	s_xor_b32 exec_lo, exec_lo, s29
	s_cbranch_execnz .LBB4_1317
.LBB4_293:                              ;   in Loop: Header=BB4_130 Depth=2
	s_or_b32 exec_lo, exec_lo, s29
	s_and_saveexec_b32 s29, s13
	s_cbranch_execz .LBB4_295
.LBB4_294:                              ;   in Loop: Header=BB4_130 Depth=2
	v_and_b32_e32 v22, 3, v23
	v_bfe_u32 v43, v23, 2, 5
	v_lshlrev_b32_e32 v44, 24, v23
	v_ffbh_u32_e32 v41, v22
	v_cmp_eq_u32_e32 vcc_lo, 0, v43
	v_min_u32_e32 v41, 32, v41
	v_subrev_nc_u32_e32 v42, 29, v41
	v_sub_nc_u32_e32 v41, 30, v41
	v_lshlrev_b32_e32 v42, v42, v23
	v_cndmask_b32_e32 v41, v43, v41, vcc_lo
	v_and_b32_e32 v42, 3, v42
	v_lshl_add_u32 v41, v41, 23, 0x37800000
	v_cndmask_b32_e32 v22, v22, v42, vcc_lo
	v_and_b32_e32 v42, 0x80000000, v44
	v_lshlrev_b32_e32 v22, 21, v22
	v_or3_b32 v22, v42, v41, v22
.LBB4_295:                              ;   in Loop: Header=BB4_130 Depth=2
	s_or_b32 exec_lo, exec_lo, s29
	v_cmp_gt_i16_sdwa s29, v19, v112 src0_sel:BYTE_0 src1_sel:DWORD
	s_mov_b32 s13, 0
	s_and_saveexec_b32 s40, s29
	s_xor_b32 s29, exec_lo, s40
	s_cbranch_execz .LBB4_1318
; %bb.296:                              ;   in Loop: Header=BB4_130 Depth=2
	v_cmp_eq_u16_sdwa s41, v19, v113 src0_sel:BYTE_0 src1_sel:DWORD
	s_mov_b32 s13, -1
	s_and_saveexec_b32 s40, s41
; %bb.297:                              ;   in Loop: Header=BB4_130 Depth=2
	s_xor_b32 s13, exec_lo, -1
; %bb.298:                              ;   in Loop: Header=BB4_130 Depth=2
	s_or_b32 exec_lo, exec_lo, s40
	s_and_b32 s13, s13, exec_lo
	s_or_saveexec_b32 s29, s29
	v_mov_b32_e32 v41, 0x7f800001
	s_xor_b32 exec_lo, exec_lo, s29
	s_cbranch_execnz .LBB4_1319
.LBB4_299:                              ;   in Loop: Header=BB4_130 Depth=2
	s_or_b32 exec_lo, exec_lo, s29
	s_and_saveexec_b32 s29, s13
	s_cbranch_execz .LBB4_301
.LBB4_300:                              ;   in Loop: Header=BB4_130 Depth=2
	v_and_b32_e32 v41, 3, v19
	v_bfe_u32 v44, v19, 2, 5
	v_lshlrev_b32_e32 v45, 24, v19
	v_ffbh_u32_e32 v42, v41
	v_cmp_eq_u32_e32 vcc_lo, 0, v44
	v_min_u32_e32 v42, 32, v42
	v_subrev_nc_u32_e32 v43, 29, v42
	v_sub_nc_u32_e32 v42, 30, v42
	v_lshlrev_b32_e32 v43, v43, v19
	v_cndmask_b32_e32 v42, v44, v42, vcc_lo
	v_and_b32_e32 v43, 3, v43
	v_lshl_add_u32 v42, v42, 23, 0x37800000
	v_cndmask_b32_e32 v41, v41, v43, vcc_lo
	v_and_b32_e32 v43, 0x80000000, v45
	v_lshlrev_b32_e32 v41, 21, v41
	v_or3_b32 v41, v43, v42, v41
.LBB4_301:                              ;   in Loop: Header=BB4_130 Depth=2
	s_or_b32 exec_lo, exec_lo, s29
	v_max_f32_e32 v41, v41, v41
	v_max_f32_e32 v22, v22, v22
	v_min_f32_e32 v41, v22, v41
.LBB4_302:                              ;   in Loop: Header=BB4_130 Depth=2
	v_and_b32_e32 v22, 0x7f800000, v41
	v_cmp_ne_u32_e32 vcc_lo, 0x7f800000, v22
	v_mov_b32_e32 v22, 0x80
	s_and_saveexec_b32 s29, vcc_lo
	s_cbranch_execz .LBB4_310
; %bb.303:                              ;   in Loop: Header=BB4_130 Depth=2
	v_mov_b32_e32 v22, 0
	s_mov_b32 s40, exec_lo
	v_cmpx_ne_u32_e32 0, v41
	s_cbranch_execz .LBB4_309
; %bb.304:                              ;   in Loop: Header=BB4_130 Depth=2
	v_bfe_u32 v22, v41, 23, 8
	v_and_b32_e32 v42, 0x7fffff, v41
	v_sub_nc_u32_e32 v43, 0x70, v22
	v_cmp_gt_u32_e32 vcc_lo, 0x71, v22
	v_or_b32_e32 v44, 0x800000, v42
	v_cndmask_b32_e32 v43, 0, v43, vcc_lo
	v_cmp_eq_u32_e32 vcc_lo, 0, v22
	v_add_nc_u32_e32 v22, 0xffffff91, v22
	v_cndmask_b32_e64 v43, v43, 0x6f, vcc_lo
	v_cndmask_b32_e32 v42, v44, v42, vcc_lo
	v_cndmask_b32_e64 v22, v22, 0xffffff92, vcc_lo
	v_lshl_add_u32 v44, 0x200000, v43, -1
	v_lshrrev_b32_e32 v45, v43, v42
	v_lshlrev_b32_e64 v47, v43, 0x100000
	v_add_nc_u32_e32 v43, v43, v22
	v_and_b32_e32 v42, v44, v42
	v_bfe_u32 v46, v45, 21, 1
	v_cmp_eq_u32_e64 s13, v42, v47
	v_add_nc_u32_e32 v44, -1, v46
	v_cndmask_b32_e64 v42, 0, v44, s13
	v_lshrrev_b32_e32 v44, 23, v45
	s_mov_b32 s13, exec_lo
	v_add_nc_u32_e32 v42, v42, v45
	v_xor_b32_e32 v44, 1, v44
	v_and_b32_e32 v22, 0x1fffff, v42
	v_add_nc_u32_e32 v42, v22, v45
                                        ; implicit-def: $vgpr22
	v_cmpx_ne_u32_e64 v43, v44
	s_xor_b32 s13, exec_lo, s13
; %bb.305:                              ;   in Loop: Header=BB4_130 Depth=2
	v_cmp_lt_u32_e32 vcc_lo, 0xffffff, v42
	v_sub_nc_u32_e32 v22, v43, v44
	v_cndmask_b32_e64 v43, 0, 1, vcc_lo
	v_add_co_ci_u32_e64 v22, null, 0, v22, vcc_lo
	v_lshrrev_b32_e32 v42, v43, v42
; %bb.306:                              ;   in Loop: Header=BB4_130 Depth=2
	s_andn2_saveexec_b32 s13, s13
; %bb.307:                              ;   in Loop: Header=BB4_130 Depth=2
	v_bfe_u32 v22, v42, 23, 1
; %bb.308:                              ;   in Loop: Header=BB4_130 Depth=2
	s_or_b32 exec_lo, exec_lo, s13
	v_lshrrev_b32_e32 v42, 21, v42
	v_min_i32_e32 v43, 31, v22
	v_cmp_gt_i32_e32 vcc_lo, 32, v22
	v_and_b32_sdwa v41, v41, v113 dst_sel:DWORD dst_unused:UNUSED_PAD src0_sel:BYTE_3 src1_sel:DWORD
	v_lshlrev_b32_e32 v43, 2, v43
	v_cndmask_b32_e32 v42, 3, v42, vcc_lo
	v_and_b32_e32 v43, 0xfc, v43
	v_and_b32_e32 v44, 3, v42
	v_or_b32_e32 v22, v22, v42
	v_or3_b32 v41, v43, v41, v44
	v_cmp_ne_u32_e32 vcc_lo, 0, v22
	v_cndmask_b32_e32 v22, 0, v41, vcc_lo
.LBB4_309:                              ;   in Loop: Header=BB4_130 Depth=2
	s_or_b32 exec_lo, exec_lo, s40
.LBB4_310:                              ;   in Loop: Header=BB4_130 Depth=2
	s_or_b32 exec_lo, exec_lo, s29
	v_cmp_gt_i16_sdwa s29, v23, v112 src0_sel:BYTE_1 src1_sel:DWORD
	s_and_b32 vcc_lo, exec_lo, s28
	s_mov_b32 s13, -1
                                        ; implicit-def: $vgpr42
	s_cbranch_vccz .LBB4_324
; %bb.311:                              ;   in Loop: Header=BB4_130 Depth=2
	s_mov_b32 s13, 0
	s_and_saveexec_b32 s40, s29
	s_xor_b32 s29, exec_lo, s40
	s_cbranch_execz .LBB4_1320
; %bb.312:                              ;   in Loop: Header=BB4_130 Depth=2
	v_cmp_eq_u16_sdwa s41, v23, v113 src0_sel:BYTE_1 src1_sel:DWORD
	s_mov_b32 s13, -1
	s_and_saveexec_b32 s40, s41
; %bb.313:                              ;   in Loop: Header=BB4_130 Depth=2
	s_xor_b32 s13, exec_lo, -1
; %bb.314:                              ;   in Loop: Header=BB4_130 Depth=2
	s_or_b32 exec_lo, exec_lo, s40
	s_and_b32 s13, s13, exec_lo
	s_or_saveexec_b32 s29, s29
	v_mov_b32_e32 v41, 0x7f800001
	s_xor_b32 exec_lo, exec_lo, s29
	s_cbranch_execnz .LBB4_1321
.LBB4_315:                              ;   in Loop: Header=BB4_130 Depth=2
	s_or_b32 exec_lo, exec_lo, s29
	s_and_saveexec_b32 s29, s13
	s_cbranch_execz .LBB4_317
.LBB4_316:                              ;   in Loop: Header=BB4_130 Depth=2
	v_and_b32_sdwa v41, v114, v23 dst_sel:DWORD dst_unused:UNUSED_PAD src0_sel:DWORD src1_sel:BYTE_1
	v_and_b32_e32 v42, 3, v41
	v_bfe_u32 v45, v41, 2, 5
	v_ffbh_u32_e32 v43, v42
	v_cmp_eq_u32_e32 vcc_lo, 0, v45
	v_min_u32_e32 v43, 32, v43
	v_subrev_nc_u32_e32 v44, 29, v43
	v_sub_nc_u32_e32 v43, 30, v43
	v_lshlrev_b32_e32 v41, v44, v41
	v_lshlrev_b32_e32 v44, 16, v23
	v_cndmask_b32_e32 v43, v45, v43, vcc_lo
	v_and_b32_e32 v41, 3, v41
	v_lshl_add_u32 v43, v43, 23, 0x37800000
	v_cndmask_b32_e32 v41, v42, v41, vcc_lo
	v_and_b32_e32 v42, 0x80000000, v44
	v_lshlrev_b32_e32 v41, 21, v41
	v_or3_b32 v41, v42, v43, v41
.LBB4_317:                              ;   in Loop: Header=BB4_130 Depth=2
	s_or_b32 exec_lo, exec_lo, s29
	v_cmp_gt_i16_sdwa s29, v19, v112 src0_sel:BYTE_1 src1_sel:DWORD
	s_mov_b32 s13, 0
	s_and_saveexec_b32 s40, s29
	s_xor_b32 s29, exec_lo, s40
	s_cbranch_execz .LBB4_1322
; %bb.318:                              ;   in Loop: Header=BB4_130 Depth=2
	v_cmp_eq_u16_sdwa s41, v19, v113 src0_sel:BYTE_1 src1_sel:DWORD
	s_mov_b32 s13, -1
	s_and_saveexec_b32 s40, s41
; %bb.319:                              ;   in Loop: Header=BB4_130 Depth=2
	s_xor_b32 s13, exec_lo, -1
; %bb.320:                              ;   in Loop: Header=BB4_130 Depth=2
	s_or_b32 exec_lo, exec_lo, s40
	s_and_b32 s13, s13, exec_lo
	s_or_saveexec_b32 s29, s29
	v_mov_b32_e32 v42, 0x7f800001
	s_xor_b32 exec_lo, exec_lo, s29
	s_cbranch_execnz .LBB4_1323
.LBB4_321:                              ;   in Loop: Header=BB4_130 Depth=2
	s_or_b32 exec_lo, exec_lo, s29
	s_and_saveexec_b32 s29, s13
	s_cbranch_execz .LBB4_323
.LBB4_322:                              ;   in Loop: Header=BB4_130 Depth=2
	v_and_b32_sdwa v42, v114, v19 dst_sel:DWORD dst_unused:UNUSED_PAD src0_sel:DWORD src1_sel:BYTE_1
	v_and_b32_e32 v43, 3, v42
	v_bfe_u32 v46, v42, 2, 5
	v_ffbh_u32_e32 v44, v43
	v_cmp_eq_u32_e32 vcc_lo, 0, v46
	v_min_u32_e32 v44, 32, v44
	v_subrev_nc_u32_e32 v45, 29, v44
	v_sub_nc_u32_e32 v44, 30, v44
	v_lshlrev_b32_e32 v42, v45, v42
	v_lshlrev_b32_e32 v45, 16, v19
	v_cndmask_b32_e32 v44, v46, v44, vcc_lo
	v_and_b32_e32 v42, 3, v42
	v_lshl_add_u32 v44, v44, 23, 0x37800000
	v_cndmask_b32_e32 v42, v43, v42, vcc_lo
	v_and_b32_e32 v43, 0x80000000, v45
	v_lshlrev_b32_e32 v42, 21, v42
	v_or3_b32 v42, v43, v44, v42
.LBB4_323:                              ;   in Loop: Header=BB4_130 Depth=2
	s_or_b32 exec_lo, exec_lo, s29
	v_max_f32_e32 v42, v42, v42
	v_max_f32_e32 v41, v41, v41
	s_mov_b32 s13, 0
	v_max_f32_e32 v42, v41, v42
.LBB4_324:                              ;   in Loop: Header=BB4_130 Depth=2
	s_and_b32 vcc_lo, exec_lo, s13
	s_cbranch_vccz .LBB4_338
; %bb.325:                              ;   in Loop: Header=BB4_130 Depth=2
	v_cmp_gt_i16_sdwa s29, v23, v112 src0_sel:BYTE_1 src1_sel:DWORD
	s_mov_b32 s13, 0
	s_and_saveexec_b32 s40, s29
	s_xor_b32 s29, exec_lo, s40
	s_cbranch_execz .LBB4_1324
; %bb.326:                              ;   in Loop: Header=BB4_130 Depth=2
	v_cmp_eq_u16_sdwa s41, v23, v113 src0_sel:BYTE_1 src1_sel:DWORD
	s_mov_b32 s13, -1
	s_and_saveexec_b32 s40, s41
; %bb.327:                              ;   in Loop: Header=BB4_130 Depth=2
	s_xor_b32 s13, exec_lo, -1
; %bb.328:                              ;   in Loop: Header=BB4_130 Depth=2
	s_or_b32 exec_lo, exec_lo, s40
	s_and_b32 s13, s13, exec_lo
	s_or_saveexec_b32 s29, s29
	v_mov_b32_e32 v41, 0x7f800001
	s_xor_b32 exec_lo, exec_lo, s29
	s_cbranch_execnz .LBB4_1325
.LBB4_329:                              ;   in Loop: Header=BB4_130 Depth=2
	s_or_b32 exec_lo, exec_lo, s29
	s_and_saveexec_b32 s29, s13
	s_cbranch_execz .LBB4_331
.LBB4_330:                              ;   in Loop: Header=BB4_130 Depth=2
	v_and_b32_sdwa v41, v114, v23 dst_sel:DWORD dst_unused:UNUSED_PAD src0_sel:DWORD src1_sel:BYTE_1
	v_and_b32_e32 v42, 3, v41
	v_bfe_u32 v45, v41, 2, 5
	v_ffbh_u32_e32 v43, v42
	v_cmp_eq_u32_e32 vcc_lo, 0, v45
	v_min_u32_e32 v43, 32, v43
	v_subrev_nc_u32_e32 v44, 29, v43
	v_sub_nc_u32_e32 v43, 30, v43
	v_lshlrev_b32_e32 v41, v44, v41
	v_lshlrev_b32_e32 v44, 16, v23
	v_cndmask_b32_e32 v43, v45, v43, vcc_lo
	v_and_b32_e32 v41, 3, v41
	v_lshl_add_u32 v43, v43, 23, 0x37800000
	v_cndmask_b32_e32 v41, v42, v41, vcc_lo
	v_and_b32_e32 v42, 0x80000000, v44
	v_lshlrev_b32_e32 v41, 21, v41
	v_or3_b32 v41, v42, v43, v41
.LBB4_331:                              ;   in Loop: Header=BB4_130 Depth=2
	s_or_b32 exec_lo, exec_lo, s29
	v_cmp_gt_i16_sdwa s29, v19, v112 src0_sel:BYTE_1 src1_sel:DWORD
	s_mov_b32 s13, 0
	s_and_saveexec_b32 s40, s29
	s_xor_b32 s29, exec_lo, s40
	s_cbranch_execz .LBB4_1326
; %bb.332:                              ;   in Loop: Header=BB4_130 Depth=2
	v_cmp_eq_u16_sdwa s41, v19, v113 src0_sel:BYTE_1 src1_sel:DWORD
	s_mov_b32 s13, -1
	s_and_saveexec_b32 s40, s41
; %bb.333:                              ;   in Loop: Header=BB4_130 Depth=2
	s_xor_b32 s13, exec_lo, -1
; %bb.334:                              ;   in Loop: Header=BB4_130 Depth=2
	s_or_b32 exec_lo, exec_lo, s40
	s_and_b32 s13, s13, exec_lo
	s_or_saveexec_b32 s29, s29
	v_mov_b32_e32 v42, 0x7f800001
	s_xor_b32 exec_lo, exec_lo, s29
	s_cbranch_execnz .LBB4_1327
.LBB4_335:                              ;   in Loop: Header=BB4_130 Depth=2
	s_or_b32 exec_lo, exec_lo, s29
	s_and_saveexec_b32 s29, s13
	s_cbranch_execz .LBB4_337
.LBB4_336:                              ;   in Loop: Header=BB4_130 Depth=2
	v_and_b32_sdwa v42, v114, v19 dst_sel:DWORD dst_unused:UNUSED_PAD src0_sel:DWORD src1_sel:BYTE_1
	v_and_b32_e32 v43, 3, v42
	v_bfe_u32 v46, v42, 2, 5
	v_ffbh_u32_e32 v44, v43
	v_cmp_eq_u32_e32 vcc_lo, 0, v46
	v_min_u32_e32 v44, 32, v44
	v_subrev_nc_u32_e32 v45, 29, v44
	v_sub_nc_u32_e32 v44, 30, v44
	v_lshlrev_b32_e32 v42, v45, v42
	v_lshlrev_b32_e32 v45, 16, v19
	v_cndmask_b32_e32 v44, v46, v44, vcc_lo
	v_and_b32_e32 v42, 3, v42
	v_lshl_add_u32 v44, v44, 23, 0x37800000
	v_cndmask_b32_e32 v42, v43, v42, vcc_lo
	v_and_b32_e32 v43, 0x80000000, v45
	v_lshlrev_b32_e32 v42, 21, v42
	v_or3_b32 v42, v43, v44, v42
.LBB4_337:                              ;   in Loop: Header=BB4_130 Depth=2
	s_or_b32 exec_lo, exec_lo, s29
	v_max_f32_e32 v42, v42, v42
	v_max_f32_e32 v41, v41, v41
	v_min_f32_e32 v42, v41, v42
.LBB4_338:                              ;   in Loop: Header=BB4_130 Depth=2
	v_and_b32_e32 v41, 0x7f800000, v42
	v_cmp_ne_u32_e32 vcc_lo, 0x7f800000, v41
	v_mov_b32_e32 v41, 0x8000
	s_and_saveexec_b32 s29, vcc_lo
	s_cbranch_execz .LBB4_346
; %bb.339:                              ;   in Loop: Header=BB4_130 Depth=2
	v_mov_b32_e32 v41, 0
	s_mov_b32 s40, exec_lo
	v_cmpx_ne_u32_e32 0, v42
	s_cbranch_execz .LBB4_345
; %bb.340:                              ;   in Loop: Header=BB4_130 Depth=2
	v_bfe_u32 v41, v42, 23, 8
	v_and_b32_e32 v43, 0x7fffff, v42
	v_sub_nc_u32_e32 v44, 0x70, v41
	v_cmp_gt_u32_e32 vcc_lo, 0x71, v41
	v_or_b32_e32 v45, 0x800000, v43
	v_cndmask_b32_e32 v44, 0, v44, vcc_lo
	v_cmp_eq_u32_e32 vcc_lo, 0, v41
	v_add_nc_u32_e32 v41, 0xffffff91, v41
	v_cndmask_b32_e64 v44, v44, 0x6f, vcc_lo
	v_cndmask_b32_e32 v43, v45, v43, vcc_lo
	v_cndmask_b32_e64 v41, v41, 0xffffff92, vcc_lo
	v_lshl_add_u32 v45, 0x200000, v44, -1
	v_lshrrev_b32_e32 v46, v44, v43
	v_lshlrev_b32_e64 v56, v44, 0x100000
	v_add_nc_u32_e32 v44, v44, v41
	v_and_b32_e32 v43, v45, v43
	v_bfe_u32 v47, v46, 21, 1
	v_cmp_eq_u32_e64 s13, v43, v56
	v_add_nc_u32_e32 v45, -1, v47
	v_cndmask_b32_e64 v43, 0, v45, s13
	v_lshrrev_b32_e32 v45, 23, v46
	s_mov_b32 s13, exec_lo
	v_add_nc_u32_e32 v43, v43, v46
	v_xor_b32_e32 v45, 1, v45
	v_and_b32_e32 v41, 0x1fffff, v43
	v_add_nc_u32_e32 v43, v41, v46
                                        ; implicit-def: $vgpr41
	v_cmpx_ne_u32_e64 v44, v45
	s_xor_b32 s13, exec_lo, s13
; %bb.341:                              ;   in Loop: Header=BB4_130 Depth=2
	v_cmp_lt_u32_e32 vcc_lo, 0xffffff, v43
	v_sub_nc_u32_e32 v41, v44, v45
	v_cndmask_b32_e64 v44, 0, 1, vcc_lo
	v_add_co_ci_u32_e64 v41, null, 0, v41, vcc_lo
	v_lshrrev_b32_e32 v43, v44, v43
; %bb.342:                              ;   in Loop: Header=BB4_130 Depth=2
	s_andn2_saveexec_b32 s13, s13
; %bb.343:                              ;   in Loop: Header=BB4_130 Depth=2
	v_bfe_u32 v41, v43, 23, 1
; %bb.344:                              ;   in Loop: Header=BB4_130 Depth=2
	s_or_b32 exec_lo, exec_lo, s13
	v_lshrrev_b32_e32 v43, 21, v43
	v_min_i32_e32 v44, 31, v41
	v_cmp_gt_i32_e32 vcc_lo, 32, v41
	v_and_b32_sdwa v42, v42, v113 dst_sel:DWORD dst_unused:UNUSED_PAD src0_sel:BYTE_3 src1_sel:DWORD
	v_lshlrev_b32_e32 v44, 2, v44
	v_cndmask_b32_e32 v43, 3, v43, vcc_lo
	v_and_b32_e32 v44, 0xfc, v44
	v_and_b32_e32 v45, 3, v43
	v_or_b32_e32 v41, v41, v43
	v_or3_b32 v42, v42, v44, v45
	v_cmp_ne_u32_e32 vcc_lo, 0, v41
	v_lshlrev_b32_e32 v42, 8, v42
	v_cndmask_b32_e32 v41, 0, v42, vcc_lo
.LBB4_345:                              ;   in Loop: Header=BB4_130 Depth=2
	s_or_b32 exec_lo, exec_lo, s40
.LBB4_346:                              ;   in Loop: Header=BB4_130 Depth=2
	s_or_b32 exec_lo, exec_lo, s29
	v_and_b32_sdwa v42, v23, v115 dst_sel:DWORD dst_unused:UNUSED_PAD src0_sel:WORD_1 src1_sel:DWORD
	s_and_b32 vcc_lo, exec_lo, s28
	s_mov_b32 s29, -1
                                        ; implicit-def: $vgpr43
	v_cmp_lt_i16_e64 s13, 0x7f, v42
	s_cbranch_vccz .LBB4_360
; %bb.347:                              ;   in Loop: Header=BB4_130 Depth=2
	s_mov_b32 s29, 0
	s_and_saveexec_b32 s40, s13
	s_xor_b32 s13, exec_lo, s40
	s_cbranch_execz .LBB4_1328
; %bb.348:                              ;   in Loop: Header=BB4_130 Depth=2
	s_mov_b32 s29, -1
	s_mov_b32 s40, exec_lo
	v_cmpx_eq_u16_e32 0x80, v42
; %bb.349:                              ;   in Loop: Header=BB4_130 Depth=2
	s_xor_b32 s29, exec_lo, -1
; %bb.350:                              ;   in Loop: Header=BB4_130 Depth=2
	s_or_b32 exec_lo, exec_lo, s40
	s_and_b32 s29, s29, exec_lo
	s_or_saveexec_b32 s13, s13
	v_mov_b32_e32 v43, 0x7f800001
	s_xor_b32 exec_lo, exec_lo, s13
	s_cbranch_execnz .LBB4_1329
.LBB4_351:                              ;   in Loop: Header=BB4_130 Depth=2
	s_or_b32 exec_lo, exec_lo, s13
	s_and_saveexec_b32 s13, s29
	s_cbranch_execz .LBB4_353
.LBB4_352:                              ;   in Loop: Header=BB4_130 Depth=2
	v_bfe_u32 v43, v23, 16, 2
	v_bfe_u32 v46, v23, 18, 5
	v_lshlrev_b32_sdwa v47, v116, v23 dst_sel:DWORD dst_unused:UNUSED_PAD src0_sel:DWORD src1_sel:WORD_1
	v_ffbh_u32_e32 v44, v43
	v_cmp_eq_u32_e32 vcc_lo, 0, v46
	v_min_u32_e32 v44, 32, v44
	v_subrev_nc_u32_e32 v45, 29, v44
	v_sub_nc_u32_e32 v44, 30, v44
	v_lshlrev_b32_sdwa v45, v45, v23 dst_sel:DWORD dst_unused:UNUSED_PAD src0_sel:DWORD src1_sel:WORD_1
	v_cndmask_b32_e32 v44, v46, v44, vcc_lo
	v_and_b32_e32 v45, 3, v45
	v_lshl_add_u32 v44, v44, 23, 0x37800000
	v_cndmask_b32_e32 v43, v43, v45, vcc_lo
	v_and_b32_e32 v45, 0x80000000, v47
	v_lshlrev_b32_e32 v43, 21, v43
	v_or3_b32 v43, v45, v44, v43
.LBB4_353:                              ;   in Loop: Header=BB4_130 Depth=2
	s_or_b32 exec_lo, exec_lo, s13
	v_and_b32_sdwa v45, v19, v115 dst_sel:DWORD dst_unused:UNUSED_PAD src0_sel:WORD_1 src1_sel:DWORD
	s_mov_b32 s13, 0
	s_mov_b32 s29, exec_lo
	v_cmpx_lt_i16_e32 0x7f, v45
	s_xor_b32 s29, exec_lo, s29
	s_cbranch_execz .LBB4_1330
; %bb.354:                              ;   in Loop: Header=BB4_130 Depth=2
	s_mov_b32 s13, -1
	s_mov_b32 s40, exec_lo
	v_cmpx_eq_u16_e32 0x80, v45
; %bb.355:                              ;   in Loop: Header=BB4_130 Depth=2
	s_xor_b32 s13, exec_lo, -1
; %bb.356:                              ;   in Loop: Header=BB4_130 Depth=2
	s_or_b32 exec_lo, exec_lo, s40
	s_and_b32 s13, s13, exec_lo
                                        ; implicit-def: $vgpr45
	s_or_saveexec_b32 s29, s29
	v_mov_b32_e32 v44, 0x7f800001
	s_xor_b32 exec_lo, exec_lo, s29
	s_cbranch_execnz .LBB4_1331
.LBB4_357:                              ;   in Loop: Header=BB4_130 Depth=2
	s_or_b32 exec_lo, exec_lo, s29
	s_and_saveexec_b32 s29, s13
	s_cbranch_execz .LBB4_359
.LBB4_358:                              ;   in Loop: Header=BB4_130 Depth=2
	v_bfe_u32 v44, v19, 16, 2
	v_bfe_u32 v47, v19, 18, 5
	v_lshlrev_b32_sdwa v56, v116, v19 dst_sel:DWORD dst_unused:UNUSED_PAD src0_sel:DWORD src1_sel:WORD_1
	v_ffbh_u32_e32 v45, v44
	v_cmp_eq_u32_e32 vcc_lo, 0, v47
	v_min_u32_e32 v45, 32, v45
	v_subrev_nc_u32_e32 v46, 29, v45
	v_sub_nc_u32_e32 v45, 30, v45
	v_lshlrev_b32_sdwa v46, v46, v19 dst_sel:DWORD dst_unused:UNUSED_PAD src0_sel:DWORD src1_sel:WORD_1
	v_cndmask_b32_e32 v45, v47, v45, vcc_lo
	v_and_b32_e32 v46, 3, v46
	v_lshl_add_u32 v45, v45, 23, 0x37800000
	v_cndmask_b32_e32 v44, v44, v46, vcc_lo
	v_and_b32_e32 v46, 0x80000000, v56
	v_lshlrev_b32_e32 v44, 21, v44
	v_or3_b32 v44, v46, v45, v44
.LBB4_359:                              ;   in Loop: Header=BB4_130 Depth=2
	s_or_b32 exec_lo, exec_lo, s29
	v_max_f32_e32 v44, v44, v44
	v_max_f32_e32 v43, v43, v43
	s_mov_b32 s29, 0
	v_max_f32_e32 v43, v43, v44
.LBB4_360:                              ;   in Loop: Header=BB4_130 Depth=2
	s_and_b32 vcc_lo, exec_lo, s29
	s_cbranch_vccz .LBB4_374
; %bb.361:                              ;   in Loop: Header=BB4_130 Depth=2
	s_mov_b32 s13, 0
	s_mov_b32 s29, exec_lo
	v_cmpx_lt_i16_e32 0x7f, v42
	s_xor_b32 s29, exec_lo, s29
	s_cbranch_execz .LBB4_1332
; %bb.362:                              ;   in Loop: Header=BB4_130 Depth=2
	s_mov_b32 s13, -1
	s_mov_b32 s40, exec_lo
	v_cmpx_eq_u16_e32 0x80, v42
; %bb.363:                              ;   in Loop: Header=BB4_130 Depth=2
	s_xor_b32 s13, exec_lo, -1
; %bb.364:                              ;   in Loop: Header=BB4_130 Depth=2
	s_or_b32 exec_lo, exec_lo, s40
	s_and_b32 s13, s13, exec_lo
                                        ; implicit-def: $vgpr42
	s_or_saveexec_b32 s29, s29
	v_mov_b32_e32 v43, 0x7f800001
	s_xor_b32 exec_lo, exec_lo, s29
	s_cbranch_execnz .LBB4_1333
.LBB4_365:                              ;   in Loop: Header=BB4_130 Depth=2
	s_or_b32 exec_lo, exec_lo, s29
	s_and_saveexec_b32 s29, s13
	s_cbranch_execz .LBB4_367
.LBB4_366:                              ;   in Loop: Header=BB4_130 Depth=2
	v_bfe_u32 v42, v23, 16, 2
	v_bfe_u32 v45, v23, 18, 5
	v_lshlrev_b32_sdwa v46, v116, v23 dst_sel:DWORD dst_unused:UNUSED_PAD src0_sel:DWORD src1_sel:WORD_1
	v_ffbh_u32_e32 v43, v42
	v_cmp_eq_u32_e32 vcc_lo, 0, v45
	v_min_u32_e32 v43, 32, v43
	v_subrev_nc_u32_e32 v44, 29, v43
	v_sub_nc_u32_e32 v43, 30, v43
	v_lshlrev_b32_sdwa v44, v44, v23 dst_sel:DWORD dst_unused:UNUSED_PAD src0_sel:DWORD src1_sel:WORD_1
	v_cndmask_b32_e32 v43, v45, v43, vcc_lo
	v_and_b32_e32 v44, 3, v44
	v_lshl_add_u32 v43, v43, 23, 0x37800000
	v_cndmask_b32_e32 v42, v42, v44, vcc_lo
	v_and_b32_e32 v44, 0x80000000, v46
	v_lshlrev_b32_e32 v42, 21, v42
	v_or3_b32 v43, v44, v43, v42
.LBB4_367:                              ;   in Loop: Header=BB4_130 Depth=2
	s_or_b32 exec_lo, exec_lo, s29
	v_and_b32_sdwa v44, v19, v115 dst_sel:DWORD dst_unused:UNUSED_PAD src0_sel:WORD_1 src1_sel:DWORD
	s_mov_b32 s13, 0
	s_mov_b32 s29, exec_lo
	v_cmpx_lt_i16_e32 0x7f, v44
	s_xor_b32 s29, exec_lo, s29
	s_cbranch_execz .LBB4_1334
; %bb.368:                              ;   in Loop: Header=BB4_130 Depth=2
	s_mov_b32 s13, -1
	s_mov_b32 s40, exec_lo
	v_cmpx_eq_u16_e32 0x80, v44
; %bb.369:                              ;   in Loop: Header=BB4_130 Depth=2
	s_xor_b32 s13, exec_lo, -1
; %bb.370:                              ;   in Loop: Header=BB4_130 Depth=2
	s_or_b32 exec_lo, exec_lo, s40
	s_and_b32 s13, s13, exec_lo
                                        ; implicit-def: $vgpr44
	s_or_saveexec_b32 s29, s29
	v_mov_b32_e32 v42, 0x7f800001
	s_xor_b32 exec_lo, exec_lo, s29
	s_cbranch_execnz .LBB4_1335
.LBB4_371:                              ;   in Loop: Header=BB4_130 Depth=2
	s_or_b32 exec_lo, exec_lo, s29
	s_and_saveexec_b32 s29, s13
	s_cbranch_execz .LBB4_373
.LBB4_372:                              ;   in Loop: Header=BB4_130 Depth=2
	v_bfe_u32 v42, v19, 16, 2
	v_bfe_u32 v46, v19, 18, 5
	v_lshlrev_b32_sdwa v47, v116, v19 dst_sel:DWORD dst_unused:UNUSED_PAD src0_sel:DWORD src1_sel:WORD_1
	v_ffbh_u32_e32 v44, v42
	v_cmp_eq_u32_e32 vcc_lo, 0, v46
	v_min_u32_e32 v44, 32, v44
	v_subrev_nc_u32_e32 v45, 29, v44
	v_sub_nc_u32_e32 v44, 30, v44
	v_lshlrev_b32_sdwa v45, v45, v19 dst_sel:DWORD dst_unused:UNUSED_PAD src0_sel:DWORD src1_sel:WORD_1
	v_cndmask_b32_e32 v44, v46, v44, vcc_lo
	v_and_b32_e32 v45, 3, v45
	v_lshl_add_u32 v44, v44, 23, 0x37800000
	v_cndmask_b32_e32 v42, v42, v45, vcc_lo
	v_and_b32_e32 v45, 0x80000000, v47
	v_lshlrev_b32_e32 v42, 21, v42
	v_or3_b32 v42, v45, v44, v42
.LBB4_373:                              ;   in Loop: Header=BB4_130 Depth=2
	s_or_b32 exec_lo, exec_lo, s29
	v_max_f32_e32 v42, v42, v42
	v_max_f32_e32 v43, v43, v43
	v_min_f32_e32 v43, v43, v42
.LBB4_374:                              ;   in Loop: Header=BB4_130 Depth=2
	v_and_b32_e32 v42, 0x7f800000, v43
	v_cmp_ne_u32_e32 vcc_lo, 0x7f800000, v42
	v_mov_b32_e32 v42, 0x80
	s_and_saveexec_b32 s29, vcc_lo
	s_cbranch_execz .LBB4_382
; %bb.375:                              ;   in Loop: Header=BB4_130 Depth=2
	v_mov_b32_e32 v42, 0
	s_mov_b32 s40, exec_lo
	v_cmpx_ne_u32_e32 0, v43
	s_cbranch_execz .LBB4_381
; %bb.376:                              ;   in Loop: Header=BB4_130 Depth=2
	v_bfe_u32 v42, v43, 23, 8
	v_and_b32_e32 v44, 0x7fffff, v43
	v_sub_nc_u32_e32 v45, 0x70, v42
	v_cmp_gt_u32_e32 vcc_lo, 0x71, v42
	v_or_b32_e32 v46, 0x800000, v44
	v_cndmask_b32_e32 v45, 0, v45, vcc_lo
	v_cmp_eq_u32_e32 vcc_lo, 0, v42
	v_add_nc_u32_e32 v42, 0xffffff91, v42
	v_cndmask_b32_e64 v45, v45, 0x6f, vcc_lo
	v_cndmask_b32_e32 v44, v46, v44, vcc_lo
	v_cndmask_b32_e64 v42, v42, 0xffffff92, vcc_lo
	v_lshl_add_u32 v46, 0x200000, v45, -1
	v_lshrrev_b32_e32 v47, v45, v44
	v_lshlrev_b32_e64 v57, v45, 0x100000
	v_add_nc_u32_e32 v45, v45, v42
	v_and_b32_e32 v44, v46, v44
	v_bfe_u32 v56, v47, 21, 1
	v_cmp_eq_u32_e64 s13, v44, v57
	v_add_nc_u32_e32 v46, -1, v56
	v_cndmask_b32_e64 v44, 0, v46, s13
	v_lshrrev_b32_e32 v46, 23, v47
	s_mov_b32 s13, exec_lo
	v_add_nc_u32_e32 v44, v44, v47
	v_xor_b32_e32 v46, 1, v46
	v_and_b32_e32 v42, 0x1fffff, v44
	v_add_nc_u32_e32 v44, v42, v47
                                        ; implicit-def: $vgpr42
	v_cmpx_ne_u32_e64 v45, v46
	s_xor_b32 s13, exec_lo, s13
; %bb.377:                              ;   in Loop: Header=BB4_130 Depth=2
	v_cmp_lt_u32_e32 vcc_lo, 0xffffff, v44
	v_sub_nc_u32_e32 v42, v45, v46
	v_cndmask_b32_e64 v45, 0, 1, vcc_lo
	v_add_co_ci_u32_e64 v42, null, 0, v42, vcc_lo
	v_lshrrev_b32_e32 v44, v45, v44
; %bb.378:                              ;   in Loop: Header=BB4_130 Depth=2
	s_andn2_saveexec_b32 s13, s13
; %bb.379:                              ;   in Loop: Header=BB4_130 Depth=2
	v_bfe_u32 v42, v44, 23, 1
; %bb.380:                              ;   in Loop: Header=BB4_130 Depth=2
	s_or_b32 exec_lo, exec_lo, s13
	v_lshrrev_b32_e32 v44, 21, v44
	v_min_i32_e32 v45, 31, v42
	v_cmp_gt_i32_e32 vcc_lo, 32, v42
	v_and_b32_sdwa v43, v43, v113 dst_sel:DWORD dst_unused:UNUSED_PAD src0_sel:BYTE_3 src1_sel:DWORD
	v_lshlrev_b32_e32 v45, 2, v45
	v_cndmask_b32_e32 v44, 3, v44, vcc_lo
	v_and_b32_e32 v45, 0xfc, v45
	v_and_b32_e32 v46, 3, v44
	v_or_b32_e32 v42, v42, v44
	v_or3_b32 v43, v45, v43, v46
	v_cmp_ne_u32_e32 vcc_lo, 0, v42
	v_cndmask_b32_e32 v42, 0, v43, vcc_lo
.LBB4_381:                              ;   in Loop: Header=BB4_130 Depth=2
	s_or_b32 exec_lo, exec_lo, s40
.LBB4_382:                              ;   in Loop: Header=BB4_130 Depth=2
	s_or_b32 exec_lo, exec_lo, s29
	v_cmp_gt_i16_sdwa s29, v23, v112 src0_sel:BYTE_3 src1_sel:DWORD
	s_and_b32 vcc_lo, exec_lo, s28
	s_mov_b32 s13, -1
                                        ; implicit-def: $vgpr43
	s_cbranch_vccz .LBB4_396
; %bb.383:                              ;   in Loop: Header=BB4_130 Depth=2
	s_mov_b32 s13, 0
	s_and_saveexec_b32 s40, s29
	s_xor_b32 s29, exec_lo, s40
	s_cbranch_execz .LBB4_1336
; %bb.384:                              ;   in Loop: Header=BB4_130 Depth=2
	v_cmp_eq_u16_sdwa s41, v23, v113 src0_sel:BYTE_3 src1_sel:DWORD
	s_mov_b32 s13, -1
	s_and_saveexec_b32 s40, s41
; %bb.385:                              ;   in Loop: Header=BB4_130 Depth=2
	s_xor_b32 s13, exec_lo, -1
; %bb.386:                              ;   in Loop: Header=BB4_130 Depth=2
	s_or_b32 exec_lo, exec_lo, s40
	s_and_b32 s13, s13, exec_lo
	s_or_saveexec_b32 s29, s29
	v_mov_b32_e32 v43, 0x7f800001
	s_xor_b32 exec_lo, exec_lo, s29
	s_cbranch_execnz .LBB4_1337
.LBB4_387:                              ;   in Loop: Header=BB4_130 Depth=2
	s_or_b32 exec_lo, exec_lo, s29
	s_and_saveexec_b32 s29, s13
	s_cbranch_execz .LBB4_389
.LBB4_388:                              ;   in Loop: Header=BB4_130 Depth=2
	v_bfe_u32 v43, v23, 24, 2
	v_bfe_u32 v46, v23, 26, 5
	v_ffbh_u32_e32 v44, v43
	v_cmp_eq_u32_e32 vcc_lo, 0, v46
	v_min_u32_e32 v44, 32, v44
	v_subrev_nc_u32_e32 v45, 29, v44
	v_sub_nc_u32_e32 v44, 30, v44
	v_lshlrev_b32_sdwa v45, v45, v23 dst_sel:DWORD dst_unused:UNUSED_PAD src0_sel:DWORD src1_sel:BYTE_3
	v_cndmask_b32_e32 v44, v46, v44, vcc_lo
	v_and_b32_e32 v45, 3, v45
	v_lshl_add_u32 v44, v44, 23, 0x37800000
	v_cndmask_b32_e32 v43, v43, v45, vcc_lo
	v_and_b32_e32 v45, 0x80000000, v23
	v_lshlrev_b32_e32 v43, 21, v43
	v_or3_b32 v43, v45, v44, v43
.LBB4_389:                              ;   in Loop: Header=BB4_130 Depth=2
	s_or_b32 exec_lo, exec_lo, s29
	v_cmp_gt_i16_sdwa s29, v19, v112 src0_sel:BYTE_3 src1_sel:DWORD
	s_mov_b32 s13, 0
	s_and_saveexec_b32 s40, s29
	s_xor_b32 s29, exec_lo, s40
	s_cbranch_execz .LBB4_1338
; %bb.390:                              ;   in Loop: Header=BB4_130 Depth=2
	v_cmp_eq_u16_sdwa s41, v19, v113 src0_sel:BYTE_3 src1_sel:DWORD
	s_mov_b32 s13, -1
	s_and_saveexec_b32 s40, s41
; %bb.391:                              ;   in Loop: Header=BB4_130 Depth=2
	s_xor_b32 s13, exec_lo, -1
; %bb.392:                              ;   in Loop: Header=BB4_130 Depth=2
	s_or_b32 exec_lo, exec_lo, s40
	s_and_b32 s13, s13, exec_lo
	s_or_saveexec_b32 s29, s29
	v_mov_b32_e32 v44, 0x7f800001
	s_xor_b32 exec_lo, exec_lo, s29
	s_cbranch_execnz .LBB4_1339
.LBB4_393:                              ;   in Loop: Header=BB4_130 Depth=2
	s_or_b32 exec_lo, exec_lo, s29
	s_and_saveexec_b32 s29, s13
	s_cbranch_execz .LBB4_395
.LBB4_394:                              ;   in Loop: Header=BB4_130 Depth=2
	v_bfe_u32 v44, v19, 24, 2
	v_bfe_u32 v47, v19, 26, 5
	v_ffbh_u32_e32 v45, v44
	v_cmp_eq_u32_e32 vcc_lo, 0, v47
	v_min_u32_e32 v45, 32, v45
	v_subrev_nc_u32_e32 v46, 29, v45
	v_sub_nc_u32_e32 v45, 30, v45
	v_lshlrev_b32_sdwa v46, v46, v19 dst_sel:DWORD dst_unused:UNUSED_PAD src0_sel:DWORD src1_sel:BYTE_3
	v_cndmask_b32_e32 v45, v47, v45, vcc_lo
	v_and_b32_e32 v46, 3, v46
	v_lshl_add_u32 v45, v45, 23, 0x37800000
	v_cndmask_b32_e32 v44, v44, v46, vcc_lo
	v_and_b32_e32 v46, 0x80000000, v19
	v_lshlrev_b32_e32 v44, 21, v44
	v_or3_b32 v44, v46, v45, v44
.LBB4_395:                              ;   in Loop: Header=BB4_130 Depth=2
	s_or_b32 exec_lo, exec_lo, s29
	v_max_f32_e32 v44, v44, v44
	v_max_f32_e32 v43, v43, v43
	s_mov_b32 s13, 0
	v_max_f32_e32 v43, v43, v44
.LBB4_396:                              ;   in Loop: Header=BB4_130 Depth=2
	s_and_b32 vcc_lo, exec_lo, s13
	s_cbranch_vccz .LBB4_410
; %bb.397:                              ;   in Loop: Header=BB4_130 Depth=2
	v_cmp_gt_i16_sdwa s29, v23, v112 src0_sel:BYTE_3 src1_sel:DWORD
	s_mov_b32 s13, 0
	s_and_saveexec_b32 s40, s29
	s_xor_b32 s29, exec_lo, s40
	s_cbranch_execz .LBB4_1340
; %bb.398:                              ;   in Loop: Header=BB4_130 Depth=2
	v_cmp_eq_u16_sdwa s41, v23, v113 src0_sel:BYTE_3 src1_sel:DWORD
	s_mov_b32 s13, -1
	s_and_saveexec_b32 s40, s41
; %bb.399:                              ;   in Loop: Header=BB4_130 Depth=2
	s_xor_b32 s13, exec_lo, -1
; %bb.400:                              ;   in Loop: Header=BB4_130 Depth=2
	s_or_b32 exec_lo, exec_lo, s40
	s_and_b32 s13, s13, exec_lo
	s_or_saveexec_b32 s29, s29
	v_mov_b32_e32 v43, 0x7f800001
	s_xor_b32 exec_lo, exec_lo, s29
	s_cbranch_execnz .LBB4_1341
.LBB4_401:                              ;   in Loop: Header=BB4_130 Depth=2
	s_or_b32 exec_lo, exec_lo, s29
	s_and_saveexec_b32 s29, s13
	s_cbranch_execz .LBB4_403
.LBB4_402:                              ;   in Loop: Header=BB4_130 Depth=2
	v_bfe_u32 v43, v23, 24, 2
	v_bfe_u32 v46, v23, 26, 5
	v_ffbh_u32_e32 v44, v43
	v_cmp_eq_u32_e32 vcc_lo, 0, v46
	v_min_u32_e32 v44, 32, v44
	v_subrev_nc_u32_e32 v45, 29, v44
	v_sub_nc_u32_e32 v44, 30, v44
	v_lshlrev_b32_sdwa v45, v45, v23 dst_sel:DWORD dst_unused:UNUSED_PAD src0_sel:DWORD src1_sel:BYTE_3
	v_cndmask_b32_e32 v44, v46, v44, vcc_lo
	v_and_b32_e32 v23, 0x80000000, v23
	v_and_b32_e32 v45, 3, v45
	v_lshl_add_u32 v44, v44, 23, 0x37800000
	v_cndmask_b32_e32 v43, v43, v45, vcc_lo
	v_lshlrev_b32_e32 v43, 21, v43
	v_or3_b32 v43, v23, v44, v43
.LBB4_403:                              ;   in Loop: Header=BB4_130 Depth=2
	s_or_b32 exec_lo, exec_lo, s29
	v_cmp_gt_i16_sdwa s29, v19, v112 src0_sel:BYTE_3 src1_sel:DWORD
	s_mov_b32 s13, 0
	s_and_saveexec_b32 s40, s29
	s_xor_b32 s29, exec_lo, s40
	s_cbranch_execz .LBB4_1342
; %bb.404:                              ;   in Loop: Header=BB4_130 Depth=2
	v_cmp_eq_u16_sdwa s41, v19, v113 src0_sel:BYTE_3 src1_sel:DWORD
	s_mov_b32 s13, -1
	s_and_saveexec_b32 s40, s41
; %bb.405:                              ;   in Loop: Header=BB4_130 Depth=2
	s_xor_b32 s13, exec_lo, -1
; %bb.406:                              ;   in Loop: Header=BB4_130 Depth=2
	s_or_b32 exec_lo, exec_lo, s40
	s_and_b32 s13, s13, exec_lo
	s_or_saveexec_b32 s29, s29
	v_mov_b32_e32 v23, 0x7f800001
	s_xor_b32 exec_lo, exec_lo, s29
	s_cbranch_execnz .LBB4_1343
.LBB4_407:                              ;   in Loop: Header=BB4_130 Depth=2
	s_or_b32 exec_lo, exec_lo, s29
	s_and_saveexec_b32 s29, s13
	s_cbranch_execz .LBB4_409
.LBB4_408:                              ;   in Loop: Header=BB4_130 Depth=2
	v_bfe_u32 v23, v19, 24, 2
	v_bfe_u32 v46, v19, 26, 5
	v_ffbh_u32_e32 v44, v23
	v_cmp_eq_u32_e32 vcc_lo, 0, v46
	v_min_u32_e32 v44, 32, v44
	v_subrev_nc_u32_e32 v45, 29, v44
	v_sub_nc_u32_e32 v44, 30, v44
	v_lshlrev_b32_sdwa v45, v45, v19 dst_sel:DWORD dst_unused:UNUSED_PAD src0_sel:DWORD src1_sel:BYTE_3
	v_cndmask_b32_e32 v44, v46, v44, vcc_lo
	v_and_b32_e32 v19, 0x80000000, v19
	v_and_b32_e32 v45, 3, v45
	v_lshl_add_u32 v44, v44, 23, 0x37800000
	v_cndmask_b32_e32 v23, v23, v45, vcc_lo
	v_lshlrev_b32_e32 v23, 21, v23
	v_or3_b32 v23, v19, v44, v23
.LBB4_409:                              ;   in Loop: Header=BB4_130 Depth=2
	s_or_b32 exec_lo, exec_lo, s29
	v_max_f32_e32 v19, v23, v23
	v_max_f32_e32 v23, v43, v43
	v_min_f32_e32 v43, v23, v19
.LBB4_410:                              ;   in Loop: Header=BB4_130 Depth=2
	v_and_b32_e32 v19, 0x7f800000, v43
	v_cmp_ne_u32_e32 vcc_lo, 0x7f800000, v19
	v_mov_b32_e32 v19, 0x8000
	s_and_saveexec_b32 s29, vcc_lo
	s_cbranch_execz .LBB4_418
; %bb.411:                              ;   in Loop: Header=BB4_130 Depth=2
	v_mov_b32_e32 v19, 0
	s_mov_b32 s40, exec_lo
	v_cmpx_ne_u32_e32 0, v43
	s_cbranch_execz .LBB4_417
; %bb.412:                              ;   in Loop: Header=BB4_130 Depth=2
	v_bfe_u32 v19, v43, 23, 8
	v_and_b32_e32 v23, 0x7fffff, v43
	v_sub_nc_u32_e32 v44, 0x70, v19
	v_cmp_gt_u32_e32 vcc_lo, 0x71, v19
	v_or_b32_e32 v45, 0x800000, v23
	v_cndmask_b32_e32 v44, 0, v44, vcc_lo
	v_cmp_eq_u32_e32 vcc_lo, 0, v19
	v_add_nc_u32_e32 v19, 0xffffff91, v19
	v_cndmask_b32_e64 v44, v44, 0x6f, vcc_lo
	v_cndmask_b32_e32 v23, v45, v23, vcc_lo
	v_cndmask_b32_e64 v19, v19, 0xffffff92, vcc_lo
	v_lshl_add_u32 v45, 0x200000, v44, -1
	v_lshrrev_b32_e32 v46, v44, v23
	v_lshlrev_b32_e64 v56, v44, 0x100000
	v_add_nc_u32_e32 v44, v44, v19
	v_and_b32_e32 v23, v45, v23
	v_bfe_u32 v47, v46, 21, 1
	v_cmp_eq_u32_e64 s13, v23, v56
	v_add_nc_u32_e32 v45, -1, v47
	v_cndmask_b32_e64 v23, 0, v45, s13
	v_lshrrev_b32_e32 v45, 23, v46
	s_mov_b32 s13, exec_lo
	v_add_nc_u32_e32 v23, v23, v46
	v_xor_b32_e32 v45, 1, v45
	v_and_b32_e32 v19, 0x1fffff, v23
	v_add_nc_u32_e32 v23, v19, v46
                                        ; implicit-def: $vgpr19
	v_cmpx_ne_u32_e64 v44, v45
	s_xor_b32 s13, exec_lo, s13
; %bb.413:                              ;   in Loop: Header=BB4_130 Depth=2
	v_cmp_lt_u32_e32 vcc_lo, 0xffffff, v23
	v_sub_nc_u32_e32 v19, v44, v45
	v_cndmask_b32_e64 v44, 0, 1, vcc_lo
	v_add_co_ci_u32_e64 v19, null, 0, v19, vcc_lo
	v_lshrrev_b32_e32 v23, v44, v23
; %bb.414:                              ;   in Loop: Header=BB4_130 Depth=2
	s_andn2_saveexec_b32 s13, s13
; %bb.415:                              ;   in Loop: Header=BB4_130 Depth=2
	v_bfe_u32 v19, v23, 23, 1
; %bb.416:                              ;   in Loop: Header=BB4_130 Depth=2
	s_or_b32 exec_lo, exec_lo, s13
	v_lshrrev_b32_e32 v23, 21, v23
	v_min_i32_e32 v44, 31, v19
	v_cmp_gt_i32_e32 vcc_lo, 32, v19
	v_and_b32_sdwa v43, v43, v113 dst_sel:DWORD dst_unused:UNUSED_PAD src0_sel:BYTE_3 src1_sel:DWORD
	v_lshlrev_b32_e32 v44, 2, v44
	v_cndmask_b32_e32 v23, 3, v23, vcc_lo
	v_and_b32_e32 v44, 0xfc, v44
	v_and_b32_e32 v45, 3, v23
	v_or_b32_e32 v19, v19, v23
	v_or3_b32 v43, v43, v44, v45
	v_cmp_ne_u32_e32 vcc_lo, 0, v19
	v_lshlrev_b32_e32 v23, 8, v43
	v_cndmask_b32_e32 v19, 0, v23, vcc_lo
.LBB4_417:                              ;   in Loop: Header=BB4_130 Depth=2
	s_or_b32 exec_lo, exec_lo, s40
.LBB4_418:                              ;   in Loop: Header=BB4_130 Depth=2
	s_or_b32 exec_lo, exec_lo, s29
	v_cmp_gt_i16_sdwa s29, v24, v112 src0_sel:BYTE_0 src1_sel:DWORD
	s_and_b32 vcc_lo, exec_lo, s28
	s_mov_b32 s13, -1
                                        ; implicit-def: $vgpr43
	s_cbranch_vccz .LBB4_432
; %bb.419:                              ;   in Loop: Header=BB4_130 Depth=2
	s_mov_b32 s13, 0
	s_and_saveexec_b32 s40, s29
	s_xor_b32 s29, exec_lo, s40
	s_cbranch_execz .LBB4_1344
; %bb.420:                              ;   in Loop: Header=BB4_130 Depth=2
	v_cmp_eq_u16_sdwa s41, v24, v113 src0_sel:BYTE_0 src1_sel:DWORD
	s_mov_b32 s13, -1
	s_and_saveexec_b32 s40, s41
; %bb.421:                              ;   in Loop: Header=BB4_130 Depth=2
	s_xor_b32 s13, exec_lo, -1
; %bb.422:                              ;   in Loop: Header=BB4_130 Depth=2
	s_or_b32 exec_lo, exec_lo, s40
	s_and_b32 s13, s13, exec_lo
	s_or_saveexec_b32 s29, s29
	v_mov_b32_e32 v23, 0x7f800001
	s_xor_b32 exec_lo, exec_lo, s29
	s_cbranch_execnz .LBB4_1345
.LBB4_423:                              ;   in Loop: Header=BB4_130 Depth=2
	s_or_b32 exec_lo, exec_lo, s29
	s_and_saveexec_b32 s29, s13
	s_cbranch_execz .LBB4_425
.LBB4_424:                              ;   in Loop: Header=BB4_130 Depth=2
	v_and_b32_e32 v23, 3, v24
	v_bfe_u32 v45, v24, 2, 5
	v_lshlrev_b32_e32 v46, 24, v24
	v_ffbh_u32_e32 v43, v23
	v_cmp_eq_u32_e32 vcc_lo, 0, v45
	v_min_u32_e32 v43, 32, v43
	v_subrev_nc_u32_e32 v44, 29, v43
	v_sub_nc_u32_e32 v43, 30, v43
	v_lshlrev_b32_e32 v44, v44, v24
	v_cndmask_b32_e32 v43, v45, v43, vcc_lo
	v_and_b32_e32 v44, 3, v44
	v_lshl_add_u32 v43, v43, 23, 0x37800000
	v_cndmask_b32_e32 v23, v23, v44, vcc_lo
	v_and_b32_e32 v44, 0x80000000, v46
	v_lshlrev_b32_e32 v23, 21, v23
	v_or3_b32 v23, v44, v43, v23
.LBB4_425:                              ;   in Loop: Header=BB4_130 Depth=2
	s_or_b32 exec_lo, exec_lo, s29
	v_cmp_gt_i16_sdwa s29, v20, v112 src0_sel:BYTE_0 src1_sel:DWORD
	s_mov_b32 s13, 0
	s_and_saveexec_b32 s40, s29
	s_xor_b32 s29, exec_lo, s40
	s_cbranch_execz .LBB4_1346
; %bb.426:                              ;   in Loop: Header=BB4_130 Depth=2
	v_cmp_eq_u16_sdwa s41, v20, v113 src0_sel:BYTE_0 src1_sel:DWORD
	s_mov_b32 s13, -1
	s_and_saveexec_b32 s40, s41
; %bb.427:                              ;   in Loop: Header=BB4_130 Depth=2
	s_xor_b32 s13, exec_lo, -1
; %bb.428:                              ;   in Loop: Header=BB4_130 Depth=2
	s_or_b32 exec_lo, exec_lo, s40
	s_and_b32 s13, s13, exec_lo
	s_or_saveexec_b32 s29, s29
	v_mov_b32_e32 v43, 0x7f800001
	s_xor_b32 exec_lo, exec_lo, s29
	s_cbranch_execnz .LBB4_1347
.LBB4_429:                              ;   in Loop: Header=BB4_130 Depth=2
	s_or_b32 exec_lo, exec_lo, s29
	s_and_saveexec_b32 s29, s13
	s_cbranch_execz .LBB4_431
.LBB4_430:                              ;   in Loop: Header=BB4_130 Depth=2
	v_and_b32_e32 v43, 3, v20
	v_bfe_u32 v46, v20, 2, 5
	v_lshlrev_b32_e32 v47, 24, v20
	v_ffbh_u32_e32 v44, v43
	v_cmp_eq_u32_e32 vcc_lo, 0, v46
	v_min_u32_e32 v44, 32, v44
	v_subrev_nc_u32_e32 v45, 29, v44
	v_sub_nc_u32_e32 v44, 30, v44
	v_lshlrev_b32_e32 v45, v45, v20
	v_cndmask_b32_e32 v44, v46, v44, vcc_lo
	v_and_b32_e32 v45, 3, v45
	v_lshl_add_u32 v44, v44, 23, 0x37800000
	v_cndmask_b32_e32 v43, v43, v45, vcc_lo
	v_and_b32_e32 v45, 0x80000000, v47
	v_lshlrev_b32_e32 v43, 21, v43
	v_or3_b32 v43, v45, v44, v43
.LBB4_431:                              ;   in Loop: Header=BB4_130 Depth=2
	s_or_b32 exec_lo, exec_lo, s29
	v_max_f32_e32 v43, v43, v43
	v_max_f32_e32 v23, v23, v23
	s_mov_b32 s13, 0
	v_max_f32_e32 v43, v23, v43
.LBB4_432:                              ;   in Loop: Header=BB4_130 Depth=2
	s_and_b32 vcc_lo, exec_lo, s13
	s_cbranch_vccz .LBB4_446
; %bb.433:                              ;   in Loop: Header=BB4_130 Depth=2
	v_cmp_gt_i16_sdwa s29, v24, v112 src0_sel:BYTE_0 src1_sel:DWORD
	s_mov_b32 s13, 0
	s_and_saveexec_b32 s40, s29
	s_xor_b32 s29, exec_lo, s40
	s_cbranch_execz .LBB4_1348
; %bb.434:                              ;   in Loop: Header=BB4_130 Depth=2
	v_cmp_eq_u16_sdwa s41, v24, v113 src0_sel:BYTE_0 src1_sel:DWORD
	s_mov_b32 s13, -1
	s_and_saveexec_b32 s40, s41
; %bb.435:                              ;   in Loop: Header=BB4_130 Depth=2
	s_xor_b32 s13, exec_lo, -1
; %bb.436:                              ;   in Loop: Header=BB4_130 Depth=2
	s_or_b32 exec_lo, exec_lo, s40
	s_and_b32 s13, s13, exec_lo
	s_or_saveexec_b32 s29, s29
	v_mov_b32_e32 v23, 0x7f800001
	s_xor_b32 exec_lo, exec_lo, s29
	s_cbranch_execnz .LBB4_1349
.LBB4_437:                              ;   in Loop: Header=BB4_130 Depth=2
	s_or_b32 exec_lo, exec_lo, s29
	s_and_saveexec_b32 s29, s13
	s_cbranch_execz .LBB4_439
.LBB4_438:                              ;   in Loop: Header=BB4_130 Depth=2
	v_and_b32_e32 v23, 3, v24
	v_bfe_u32 v45, v24, 2, 5
	v_lshlrev_b32_e32 v46, 24, v24
	v_ffbh_u32_e32 v43, v23
	v_cmp_eq_u32_e32 vcc_lo, 0, v45
	v_min_u32_e32 v43, 32, v43
	v_subrev_nc_u32_e32 v44, 29, v43
	v_sub_nc_u32_e32 v43, 30, v43
	v_lshlrev_b32_e32 v44, v44, v24
	v_cndmask_b32_e32 v43, v45, v43, vcc_lo
	v_and_b32_e32 v44, 3, v44
	v_lshl_add_u32 v43, v43, 23, 0x37800000
	v_cndmask_b32_e32 v23, v23, v44, vcc_lo
	v_and_b32_e32 v44, 0x80000000, v46
	v_lshlrev_b32_e32 v23, 21, v23
	v_or3_b32 v23, v44, v43, v23
.LBB4_439:                              ;   in Loop: Header=BB4_130 Depth=2
	s_or_b32 exec_lo, exec_lo, s29
	v_cmp_gt_i16_sdwa s29, v20, v112 src0_sel:BYTE_0 src1_sel:DWORD
	s_mov_b32 s13, 0
	s_and_saveexec_b32 s40, s29
	s_xor_b32 s29, exec_lo, s40
	s_cbranch_execz .LBB4_1350
; %bb.440:                              ;   in Loop: Header=BB4_130 Depth=2
	v_cmp_eq_u16_sdwa s41, v20, v113 src0_sel:BYTE_0 src1_sel:DWORD
	s_mov_b32 s13, -1
	s_and_saveexec_b32 s40, s41
; %bb.441:                              ;   in Loop: Header=BB4_130 Depth=2
	s_xor_b32 s13, exec_lo, -1
; %bb.442:                              ;   in Loop: Header=BB4_130 Depth=2
	s_or_b32 exec_lo, exec_lo, s40
	s_and_b32 s13, s13, exec_lo
	s_or_saveexec_b32 s29, s29
	v_mov_b32_e32 v43, 0x7f800001
	s_xor_b32 exec_lo, exec_lo, s29
	s_cbranch_execnz .LBB4_1351
.LBB4_443:                              ;   in Loop: Header=BB4_130 Depth=2
	s_or_b32 exec_lo, exec_lo, s29
	s_and_saveexec_b32 s29, s13
	s_cbranch_execz .LBB4_445
.LBB4_444:                              ;   in Loop: Header=BB4_130 Depth=2
	v_and_b32_e32 v43, 3, v20
	v_bfe_u32 v46, v20, 2, 5
	v_lshlrev_b32_e32 v47, 24, v20
	v_ffbh_u32_e32 v44, v43
	v_cmp_eq_u32_e32 vcc_lo, 0, v46
	v_min_u32_e32 v44, 32, v44
	v_subrev_nc_u32_e32 v45, 29, v44
	v_sub_nc_u32_e32 v44, 30, v44
	v_lshlrev_b32_e32 v45, v45, v20
	v_cndmask_b32_e32 v44, v46, v44, vcc_lo
	v_and_b32_e32 v45, 3, v45
	v_lshl_add_u32 v44, v44, 23, 0x37800000
	v_cndmask_b32_e32 v43, v43, v45, vcc_lo
	v_and_b32_e32 v45, 0x80000000, v47
	v_lshlrev_b32_e32 v43, 21, v43
	v_or3_b32 v43, v45, v44, v43
.LBB4_445:                              ;   in Loop: Header=BB4_130 Depth=2
	s_or_b32 exec_lo, exec_lo, s29
	v_max_f32_e32 v43, v43, v43
	v_max_f32_e32 v23, v23, v23
	v_min_f32_e32 v43, v23, v43
.LBB4_446:                              ;   in Loop: Header=BB4_130 Depth=2
	v_and_b32_e32 v23, 0x7f800000, v43
	v_cmp_ne_u32_e32 vcc_lo, 0x7f800000, v23
	v_mov_b32_e32 v23, 0x80
	s_and_saveexec_b32 s29, vcc_lo
	s_cbranch_execz .LBB4_454
; %bb.447:                              ;   in Loop: Header=BB4_130 Depth=2
	v_mov_b32_e32 v23, 0
	s_mov_b32 s40, exec_lo
	v_cmpx_ne_u32_e32 0, v43
	s_cbranch_execz .LBB4_453
; %bb.448:                              ;   in Loop: Header=BB4_130 Depth=2
	v_bfe_u32 v23, v43, 23, 8
	v_and_b32_e32 v44, 0x7fffff, v43
	v_sub_nc_u32_e32 v45, 0x70, v23
	v_cmp_gt_u32_e32 vcc_lo, 0x71, v23
	v_or_b32_e32 v46, 0x800000, v44
	v_cndmask_b32_e32 v45, 0, v45, vcc_lo
	v_cmp_eq_u32_e32 vcc_lo, 0, v23
	v_add_nc_u32_e32 v23, 0xffffff91, v23
	v_cndmask_b32_e64 v45, v45, 0x6f, vcc_lo
	v_cndmask_b32_e32 v44, v46, v44, vcc_lo
	v_cndmask_b32_e64 v23, v23, 0xffffff92, vcc_lo
	v_lshl_add_u32 v46, 0x200000, v45, -1
	v_lshrrev_b32_e32 v47, v45, v44
	v_lshlrev_b32_e64 v57, v45, 0x100000
	v_add_nc_u32_e32 v45, v45, v23
	v_and_b32_e32 v44, v46, v44
	v_bfe_u32 v56, v47, 21, 1
	v_cmp_eq_u32_e64 s13, v44, v57
	v_add_nc_u32_e32 v46, -1, v56
	v_cndmask_b32_e64 v44, 0, v46, s13
	v_lshrrev_b32_e32 v46, 23, v47
	s_mov_b32 s13, exec_lo
	v_add_nc_u32_e32 v44, v44, v47
	v_xor_b32_e32 v46, 1, v46
	v_and_b32_e32 v23, 0x1fffff, v44
	v_add_nc_u32_e32 v44, v23, v47
                                        ; implicit-def: $vgpr23
	v_cmpx_ne_u32_e64 v45, v46
	s_xor_b32 s13, exec_lo, s13
; %bb.449:                              ;   in Loop: Header=BB4_130 Depth=2
	v_cmp_lt_u32_e32 vcc_lo, 0xffffff, v44
	v_sub_nc_u32_e32 v23, v45, v46
	v_cndmask_b32_e64 v45, 0, 1, vcc_lo
	v_add_co_ci_u32_e64 v23, null, 0, v23, vcc_lo
	v_lshrrev_b32_e32 v44, v45, v44
; %bb.450:                              ;   in Loop: Header=BB4_130 Depth=2
	s_andn2_saveexec_b32 s13, s13
; %bb.451:                              ;   in Loop: Header=BB4_130 Depth=2
	v_bfe_u32 v23, v44, 23, 1
; %bb.452:                              ;   in Loop: Header=BB4_130 Depth=2
	s_or_b32 exec_lo, exec_lo, s13
	v_lshrrev_b32_e32 v44, 21, v44
	v_min_i32_e32 v45, 31, v23
	v_cmp_gt_i32_e32 vcc_lo, 32, v23
	v_and_b32_sdwa v43, v43, v113 dst_sel:DWORD dst_unused:UNUSED_PAD src0_sel:BYTE_3 src1_sel:DWORD
	v_lshlrev_b32_e32 v45, 2, v45
	v_cndmask_b32_e32 v44, 3, v44, vcc_lo
	v_and_b32_e32 v45, 0xfc, v45
	v_and_b32_e32 v46, 3, v44
	v_or_b32_e32 v23, v23, v44
	v_or3_b32 v43, v45, v43, v46
	v_cmp_ne_u32_e32 vcc_lo, 0, v23
	v_cndmask_b32_e32 v23, 0, v43, vcc_lo
.LBB4_453:                              ;   in Loop: Header=BB4_130 Depth=2
	s_or_b32 exec_lo, exec_lo, s40
.LBB4_454:                              ;   in Loop: Header=BB4_130 Depth=2
	s_or_b32 exec_lo, exec_lo, s29
	v_cmp_gt_i16_sdwa s29, v24, v112 src0_sel:BYTE_1 src1_sel:DWORD
	s_and_b32 vcc_lo, exec_lo, s28
	s_mov_b32 s13, -1
                                        ; implicit-def: $vgpr44
	s_cbranch_vccz .LBB4_468
; %bb.455:                              ;   in Loop: Header=BB4_130 Depth=2
	s_mov_b32 s13, 0
	s_and_saveexec_b32 s40, s29
	s_xor_b32 s29, exec_lo, s40
	s_cbranch_execz .LBB4_1352
; %bb.456:                              ;   in Loop: Header=BB4_130 Depth=2
	v_cmp_eq_u16_sdwa s41, v24, v113 src0_sel:BYTE_1 src1_sel:DWORD
	s_mov_b32 s13, -1
	s_and_saveexec_b32 s40, s41
; %bb.457:                              ;   in Loop: Header=BB4_130 Depth=2
	s_xor_b32 s13, exec_lo, -1
; %bb.458:                              ;   in Loop: Header=BB4_130 Depth=2
	s_or_b32 exec_lo, exec_lo, s40
	s_and_b32 s13, s13, exec_lo
	s_or_saveexec_b32 s29, s29
	v_mov_b32_e32 v43, 0x7f800001
	s_xor_b32 exec_lo, exec_lo, s29
	s_cbranch_execnz .LBB4_1353
.LBB4_459:                              ;   in Loop: Header=BB4_130 Depth=2
	s_or_b32 exec_lo, exec_lo, s29
	s_and_saveexec_b32 s29, s13
	s_cbranch_execz .LBB4_461
.LBB4_460:                              ;   in Loop: Header=BB4_130 Depth=2
	v_and_b32_sdwa v43, v114, v24 dst_sel:DWORD dst_unused:UNUSED_PAD src0_sel:DWORD src1_sel:BYTE_1
	v_and_b32_e32 v44, 3, v43
	v_bfe_u32 v47, v43, 2, 5
	v_ffbh_u32_e32 v45, v44
	v_cmp_eq_u32_e32 vcc_lo, 0, v47
	v_min_u32_e32 v45, 32, v45
	v_subrev_nc_u32_e32 v46, 29, v45
	v_sub_nc_u32_e32 v45, 30, v45
	v_lshlrev_b32_e32 v43, v46, v43
	v_lshlrev_b32_e32 v46, 16, v24
	v_cndmask_b32_e32 v45, v47, v45, vcc_lo
	v_and_b32_e32 v43, 3, v43
	v_lshl_add_u32 v45, v45, 23, 0x37800000
	v_cndmask_b32_e32 v43, v44, v43, vcc_lo
	v_and_b32_e32 v44, 0x80000000, v46
	v_lshlrev_b32_e32 v43, 21, v43
	v_or3_b32 v43, v44, v45, v43
.LBB4_461:                              ;   in Loop: Header=BB4_130 Depth=2
	s_or_b32 exec_lo, exec_lo, s29
	v_cmp_gt_i16_sdwa s29, v20, v112 src0_sel:BYTE_1 src1_sel:DWORD
	s_mov_b32 s13, 0
	s_and_saveexec_b32 s40, s29
	s_xor_b32 s29, exec_lo, s40
	s_cbranch_execz .LBB4_1354
; %bb.462:                              ;   in Loop: Header=BB4_130 Depth=2
	v_cmp_eq_u16_sdwa s41, v20, v113 src0_sel:BYTE_1 src1_sel:DWORD
	s_mov_b32 s13, -1
	s_and_saveexec_b32 s40, s41
; %bb.463:                              ;   in Loop: Header=BB4_130 Depth=2
	s_xor_b32 s13, exec_lo, -1
; %bb.464:                              ;   in Loop: Header=BB4_130 Depth=2
	s_or_b32 exec_lo, exec_lo, s40
	s_and_b32 s13, s13, exec_lo
	s_or_saveexec_b32 s29, s29
	v_mov_b32_e32 v44, 0x7f800001
	s_xor_b32 exec_lo, exec_lo, s29
	s_cbranch_execnz .LBB4_1355
.LBB4_465:                              ;   in Loop: Header=BB4_130 Depth=2
	s_or_b32 exec_lo, exec_lo, s29
	s_and_saveexec_b32 s29, s13
	s_cbranch_execz .LBB4_467
.LBB4_466:                              ;   in Loop: Header=BB4_130 Depth=2
	v_and_b32_sdwa v44, v114, v20 dst_sel:DWORD dst_unused:UNUSED_PAD src0_sel:DWORD src1_sel:BYTE_1
	v_and_b32_e32 v45, 3, v44
	v_bfe_u32 v56, v44, 2, 5
	v_ffbh_u32_e32 v46, v45
	v_cmp_eq_u32_e32 vcc_lo, 0, v56
	v_min_u32_e32 v46, 32, v46
	v_subrev_nc_u32_e32 v47, 29, v46
	v_sub_nc_u32_e32 v46, 30, v46
	v_lshlrev_b32_e32 v44, v47, v44
	v_lshlrev_b32_e32 v47, 16, v20
	v_cndmask_b32_e32 v46, v56, v46, vcc_lo
	v_and_b32_e32 v44, 3, v44
	v_lshl_add_u32 v46, v46, 23, 0x37800000
	v_cndmask_b32_e32 v44, v45, v44, vcc_lo
	v_and_b32_e32 v45, 0x80000000, v47
	v_lshlrev_b32_e32 v44, 21, v44
	v_or3_b32 v44, v45, v46, v44
.LBB4_467:                              ;   in Loop: Header=BB4_130 Depth=2
	s_or_b32 exec_lo, exec_lo, s29
	v_max_f32_e32 v44, v44, v44
	v_max_f32_e32 v43, v43, v43
	s_mov_b32 s13, 0
	v_max_f32_e32 v44, v43, v44
.LBB4_468:                              ;   in Loop: Header=BB4_130 Depth=2
	s_and_b32 vcc_lo, exec_lo, s13
	s_cbranch_vccz .LBB4_482
; %bb.469:                              ;   in Loop: Header=BB4_130 Depth=2
	v_cmp_gt_i16_sdwa s29, v24, v112 src0_sel:BYTE_1 src1_sel:DWORD
	s_mov_b32 s13, 0
	s_and_saveexec_b32 s40, s29
	s_xor_b32 s29, exec_lo, s40
	s_cbranch_execz .LBB4_1356
; %bb.470:                              ;   in Loop: Header=BB4_130 Depth=2
	v_cmp_eq_u16_sdwa s41, v24, v113 src0_sel:BYTE_1 src1_sel:DWORD
	s_mov_b32 s13, -1
	s_and_saveexec_b32 s40, s41
; %bb.471:                              ;   in Loop: Header=BB4_130 Depth=2
	s_xor_b32 s13, exec_lo, -1
; %bb.472:                              ;   in Loop: Header=BB4_130 Depth=2
	s_or_b32 exec_lo, exec_lo, s40
	s_and_b32 s13, s13, exec_lo
	s_or_saveexec_b32 s29, s29
	v_mov_b32_e32 v43, 0x7f800001
	s_xor_b32 exec_lo, exec_lo, s29
	s_cbranch_execnz .LBB4_1357
.LBB4_473:                              ;   in Loop: Header=BB4_130 Depth=2
	s_or_b32 exec_lo, exec_lo, s29
	s_and_saveexec_b32 s29, s13
	s_cbranch_execz .LBB4_475
.LBB4_474:                              ;   in Loop: Header=BB4_130 Depth=2
	v_and_b32_sdwa v43, v114, v24 dst_sel:DWORD dst_unused:UNUSED_PAD src0_sel:DWORD src1_sel:BYTE_1
	v_and_b32_e32 v44, 3, v43
	v_bfe_u32 v47, v43, 2, 5
	v_ffbh_u32_e32 v45, v44
	v_cmp_eq_u32_e32 vcc_lo, 0, v47
	v_min_u32_e32 v45, 32, v45
	v_subrev_nc_u32_e32 v46, 29, v45
	v_sub_nc_u32_e32 v45, 30, v45
	v_lshlrev_b32_e32 v43, v46, v43
	v_lshlrev_b32_e32 v46, 16, v24
	v_cndmask_b32_e32 v45, v47, v45, vcc_lo
	v_and_b32_e32 v43, 3, v43
	v_lshl_add_u32 v45, v45, 23, 0x37800000
	v_cndmask_b32_e32 v43, v44, v43, vcc_lo
	v_and_b32_e32 v44, 0x80000000, v46
	v_lshlrev_b32_e32 v43, 21, v43
	v_or3_b32 v43, v44, v45, v43
.LBB4_475:                              ;   in Loop: Header=BB4_130 Depth=2
	s_or_b32 exec_lo, exec_lo, s29
	v_cmp_gt_i16_sdwa s29, v20, v112 src0_sel:BYTE_1 src1_sel:DWORD
	s_mov_b32 s13, 0
	s_and_saveexec_b32 s40, s29
	s_xor_b32 s29, exec_lo, s40
	s_cbranch_execz .LBB4_1358
; %bb.476:                              ;   in Loop: Header=BB4_130 Depth=2
	v_cmp_eq_u16_sdwa s41, v20, v113 src0_sel:BYTE_1 src1_sel:DWORD
	s_mov_b32 s13, -1
	s_and_saveexec_b32 s40, s41
; %bb.477:                              ;   in Loop: Header=BB4_130 Depth=2
	s_xor_b32 s13, exec_lo, -1
; %bb.478:                              ;   in Loop: Header=BB4_130 Depth=2
	s_or_b32 exec_lo, exec_lo, s40
	s_and_b32 s13, s13, exec_lo
	s_or_saveexec_b32 s29, s29
	v_mov_b32_e32 v44, 0x7f800001
	s_xor_b32 exec_lo, exec_lo, s29
	s_cbranch_execnz .LBB4_1359
.LBB4_479:                              ;   in Loop: Header=BB4_130 Depth=2
	s_or_b32 exec_lo, exec_lo, s29
	s_and_saveexec_b32 s29, s13
	s_cbranch_execz .LBB4_481
.LBB4_480:                              ;   in Loop: Header=BB4_130 Depth=2
	v_and_b32_sdwa v44, v114, v20 dst_sel:DWORD dst_unused:UNUSED_PAD src0_sel:DWORD src1_sel:BYTE_1
	v_and_b32_e32 v45, 3, v44
	v_bfe_u32 v56, v44, 2, 5
	v_ffbh_u32_e32 v46, v45
	v_cmp_eq_u32_e32 vcc_lo, 0, v56
	v_min_u32_e32 v46, 32, v46
	v_subrev_nc_u32_e32 v47, 29, v46
	v_sub_nc_u32_e32 v46, 30, v46
	v_lshlrev_b32_e32 v44, v47, v44
	v_lshlrev_b32_e32 v47, 16, v20
	v_cndmask_b32_e32 v46, v56, v46, vcc_lo
	v_and_b32_e32 v44, 3, v44
	v_lshl_add_u32 v46, v46, 23, 0x37800000
	v_cndmask_b32_e32 v44, v45, v44, vcc_lo
	v_and_b32_e32 v45, 0x80000000, v47
	v_lshlrev_b32_e32 v44, 21, v44
	v_or3_b32 v44, v45, v46, v44
.LBB4_481:                              ;   in Loop: Header=BB4_130 Depth=2
	s_or_b32 exec_lo, exec_lo, s29
	v_max_f32_e32 v44, v44, v44
	v_max_f32_e32 v43, v43, v43
	v_min_f32_e32 v44, v43, v44
.LBB4_482:                              ;   in Loop: Header=BB4_130 Depth=2
	v_and_b32_e32 v43, 0x7f800000, v44
	v_cmp_ne_u32_e32 vcc_lo, 0x7f800000, v43
	v_mov_b32_e32 v43, 0x8000
	s_and_saveexec_b32 s29, vcc_lo
	s_cbranch_execz .LBB4_490
; %bb.483:                              ;   in Loop: Header=BB4_130 Depth=2
	v_mov_b32_e32 v43, 0
	s_mov_b32 s40, exec_lo
	v_cmpx_ne_u32_e32 0, v44
	s_cbranch_execz .LBB4_489
; %bb.484:                              ;   in Loop: Header=BB4_130 Depth=2
	v_bfe_u32 v43, v44, 23, 8
	v_and_b32_e32 v45, 0x7fffff, v44
	v_sub_nc_u32_e32 v46, 0x70, v43
	v_cmp_gt_u32_e32 vcc_lo, 0x71, v43
	v_or_b32_e32 v47, 0x800000, v45
	v_cndmask_b32_e32 v46, 0, v46, vcc_lo
	v_cmp_eq_u32_e32 vcc_lo, 0, v43
	v_add_nc_u32_e32 v43, 0xffffff91, v43
	v_cndmask_b32_e64 v46, v46, 0x6f, vcc_lo
	v_cndmask_b32_e32 v45, v47, v45, vcc_lo
	v_cndmask_b32_e64 v43, v43, 0xffffff92, vcc_lo
	v_lshl_add_u32 v47, 0x200000, v46, -1
	v_lshrrev_b32_e32 v56, v46, v45
	v_lshlrev_b32_e64 v58, v46, 0x100000
	v_add_nc_u32_e32 v46, v46, v43
	v_and_b32_e32 v45, v47, v45
	v_bfe_u32 v57, v56, 21, 1
	v_cmp_eq_u32_e64 s13, v45, v58
	v_add_nc_u32_e32 v47, -1, v57
	v_cndmask_b32_e64 v45, 0, v47, s13
	v_lshrrev_b32_e32 v47, 23, v56
	s_mov_b32 s13, exec_lo
	v_add_nc_u32_e32 v45, v45, v56
	v_xor_b32_e32 v47, 1, v47
	v_and_b32_e32 v43, 0x1fffff, v45
	v_add_nc_u32_e32 v45, v43, v56
                                        ; implicit-def: $vgpr43
	v_cmpx_ne_u32_e64 v46, v47
	s_xor_b32 s13, exec_lo, s13
; %bb.485:                              ;   in Loop: Header=BB4_130 Depth=2
	v_cmp_lt_u32_e32 vcc_lo, 0xffffff, v45
	v_sub_nc_u32_e32 v43, v46, v47
	v_cndmask_b32_e64 v46, 0, 1, vcc_lo
	v_add_co_ci_u32_e64 v43, null, 0, v43, vcc_lo
	v_lshrrev_b32_e32 v45, v46, v45
; %bb.486:                              ;   in Loop: Header=BB4_130 Depth=2
	s_andn2_saveexec_b32 s13, s13
; %bb.487:                              ;   in Loop: Header=BB4_130 Depth=2
	v_bfe_u32 v43, v45, 23, 1
; %bb.488:                              ;   in Loop: Header=BB4_130 Depth=2
	s_or_b32 exec_lo, exec_lo, s13
	v_lshrrev_b32_e32 v45, 21, v45
	v_min_i32_e32 v46, 31, v43
	v_cmp_gt_i32_e32 vcc_lo, 32, v43
	v_and_b32_sdwa v44, v44, v113 dst_sel:DWORD dst_unused:UNUSED_PAD src0_sel:BYTE_3 src1_sel:DWORD
	v_lshlrev_b32_e32 v46, 2, v46
	v_cndmask_b32_e32 v45, 3, v45, vcc_lo
	v_and_b32_e32 v46, 0xfc, v46
	v_and_b32_e32 v47, 3, v45
	v_or_b32_e32 v43, v43, v45
	v_or3_b32 v44, v44, v46, v47
	v_cmp_ne_u32_e32 vcc_lo, 0, v43
	v_lshlrev_b32_e32 v44, 8, v44
	v_cndmask_b32_e32 v43, 0, v44, vcc_lo
.LBB4_489:                              ;   in Loop: Header=BB4_130 Depth=2
	s_or_b32 exec_lo, exec_lo, s40
.LBB4_490:                              ;   in Loop: Header=BB4_130 Depth=2
	s_or_b32 exec_lo, exec_lo, s29
	v_and_b32_sdwa v44, v24, v115 dst_sel:DWORD dst_unused:UNUSED_PAD src0_sel:WORD_1 src1_sel:DWORD
	s_and_b32 vcc_lo, exec_lo, s28
	s_mov_b32 s29, -1
                                        ; implicit-def: $vgpr45
	v_cmp_lt_i16_e64 s13, 0x7f, v44
	s_cbranch_vccz .LBB4_504
; %bb.491:                              ;   in Loop: Header=BB4_130 Depth=2
	s_mov_b32 s29, 0
	s_and_saveexec_b32 s40, s13
	s_xor_b32 s13, exec_lo, s40
	s_cbranch_execz .LBB4_1360
; %bb.492:                              ;   in Loop: Header=BB4_130 Depth=2
	s_mov_b32 s29, -1
	s_mov_b32 s40, exec_lo
	v_cmpx_eq_u16_e32 0x80, v44
; %bb.493:                              ;   in Loop: Header=BB4_130 Depth=2
	s_xor_b32 s29, exec_lo, -1
; %bb.494:                              ;   in Loop: Header=BB4_130 Depth=2
	s_or_b32 exec_lo, exec_lo, s40
	s_and_b32 s29, s29, exec_lo
	s_or_saveexec_b32 s13, s13
	v_mov_b32_e32 v45, 0x7f800001
	s_xor_b32 exec_lo, exec_lo, s13
	s_cbranch_execnz .LBB4_1361
.LBB4_495:                              ;   in Loop: Header=BB4_130 Depth=2
	s_or_b32 exec_lo, exec_lo, s13
	s_and_saveexec_b32 s13, s29
	s_cbranch_execz .LBB4_497
.LBB4_496:                              ;   in Loop: Header=BB4_130 Depth=2
	v_bfe_u32 v45, v24, 16, 2
	v_bfe_u32 v56, v24, 18, 5
	v_lshlrev_b32_sdwa v57, v116, v24 dst_sel:DWORD dst_unused:UNUSED_PAD src0_sel:DWORD src1_sel:WORD_1
	v_ffbh_u32_e32 v46, v45
	v_cmp_eq_u32_e32 vcc_lo, 0, v56
	v_min_u32_e32 v46, 32, v46
	v_subrev_nc_u32_e32 v47, 29, v46
	v_sub_nc_u32_e32 v46, 30, v46
	v_lshlrev_b32_sdwa v47, v47, v24 dst_sel:DWORD dst_unused:UNUSED_PAD src0_sel:DWORD src1_sel:WORD_1
	v_cndmask_b32_e32 v46, v56, v46, vcc_lo
	v_and_b32_e32 v47, 3, v47
	v_lshl_add_u32 v46, v46, 23, 0x37800000
	v_cndmask_b32_e32 v45, v45, v47, vcc_lo
	v_and_b32_e32 v47, 0x80000000, v57
	v_lshlrev_b32_e32 v45, 21, v45
	v_or3_b32 v45, v47, v46, v45
.LBB4_497:                              ;   in Loop: Header=BB4_130 Depth=2
	s_or_b32 exec_lo, exec_lo, s13
	v_and_b32_sdwa v47, v20, v115 dst_sel:DWORD dst_unused:UNUSED_PAD src0_sel:WORD_1 src1_sel:DWORD
	s_mov_b32 s13, 0
	s_mov_b32 s29, exec_lo
	v_cmpx_lt_i16_e32 0x7f, v47
	s_xor_b32 s29, exec_lo, s29
	s_cbranch_execz .LBB4_1362
; %bb.498:                              ;   in Loop: Header=BB4_130 Depth=2
	s_mov_b32 s13, -1
	s_mov_b32 s40, exec_lo
	v_cmpx_eq_u16_e32 0x80, v47
; %bb.499:                              ;   in Loop: Header=BB4_130 Depth=2
	s_xor_b32 s13, exec_lo, -1
; %bb.500:                              ;   in Loop: Header=BB4_130 Depth=2
	s_or_b32 exec_lo, exec_lo, s40
	s_and_b32 s13, s13, exec_lo
                                        ; implicit-def: $vgpr47
	s_or_saveexec_b32 s29, s29
	v_mov_b32_e32 v46, 0x7f800001
	s_xor_b32 exec_lo, exec_lo, s29
	s_cbranch_execnz .LBB4_1363
.LBB4_501:                              ;   in Loop: Header=BB4_130 Depth=2
	s_or_b32 exec_lo, exec_lo, s29
	s_and_saveexec_b32 s29, s13
	s_cbranch_execz .LBB4_503
.LBB4_502:                              ;   in Loop: Header=BB4_130 Depth=2
	v_bfe_u32 v46, v20, 16, 2
	v_bfe_u32 v57, v20, 18, 5
	v_lshlrev_b32_sdwa v58, v116, v20 dst_sel:DWORD dst_unused:UNUSED_PAD src0_sel:DWORD src1_sel:WORD_1
	v_ffbh_u32_e32 v47, v46
	v_cmp_eq_u32_e32 vcc_lo, 0, v57
	v_min_u32_e32 v47, 32, v47
	v_subrev_nc_u32_e32 v56, 29, v47
	v_sub_nc_u32_e32 v47, 30, v47
	v_lshlrev_b32_sdwa v56, v56, v20 dst_sel:DWORD dst_unused:UNUSED_PAD src0_sel:DWORD src1_sel:WORD_1
	v_cndmask_b32_e32 v47, v57, v47, vcc_lo
	v_and_b32_e32 v56, 3, v56
	v_lshl_add_u32 v47, v47, 23, 0x37800000
	v_cndmask_b32_e32 v46, v46, v56, vcc_lo
	v_and_b32_e32 v56, 0x80000000, v58
	v_lshlrev_b32_e32 v46, 21, v46
	v_or3_b32 v46, v56, v47, v46
.LBB4_503:                              ;   in Loop: Header=BB4_130 Depth=2
	s_or_b32 exec_lo, exec_lo, s29
	v_max_f32_e32 v46, v46, v46
	v_max_f32_e32 v45, v45, v45
	s_mov_b32 s29, 0
	v_max_f32_e32 v45, v45, v46
.LBB4_504:                              ;   in Loop: Header=BB4_130 Depth=2
	s_and_b32 vcc_lo, exec_lo, s29
	s_cbranch_vccz .LBB4_518
; %bb.505:                              ;   in Loop: Header=BB4_130 Depth=2
	s_mov_b32 s13, 0
	s_mov_b32 s29, exec_lo
	v_cmpx_lt_i16_e32 0x7f, v44
	s_xor_b32 s29, exec_lo, s29
	s_cbranch_execz .LBB4_1364
; %bb.506:                              ;   in Loop: Header=BB4_130 Depth=2
	s_mov_b32 s13, -1
	s_mov_b32 s40, exec_lo
	v_cmpx_eq_u16_e32 0x80, v44
; %bb.507:                              ;   in Loop: Header=BB4_130 Depth=2
	s_xor_b32 s13, exec_lo, -1
; %bb.508:                              ;   in Loop: Header=BB4_130 Depth=2
	s_or_b32 exec_lo, exec_lo, s40
	s_and_b32 s13, s13, exec_lo
                                        ; implicit-def: $vgpr44
	s_or_saveexec_b32 s29, s29
	v_mov_b32_e32 v45, 0x7f800001
	s_xor_b32 exec_lo, exec_lo, s29
	s_cbranch_execnz .LBB4_1365
.LBB4_509:                              ;   in Loop: Header=BB4_130 Depth=2
	s_or_b32 exec_lo, exec_lo, s29
	s_and_saveexec_b32 s29, s13
	s_cbranch_execz .LBB4_511
.LBB4_510:                              ;   in Loop: Header=BB4_130 Depth=2
	v_bfe_u32 v44, v24, 16, 2
	v_bfe_u32 v47, v24, 18, 5
	v_lshlrev_b32_sdwa v56, v116, v24 dst_sel:DWORD dst_unused:UNUSED_PAD src0_sel:DWORD src1_sel:WORD_1
	v_ffbh_u32_e32 v45, v44
	v_cmp_eq_u32_e32 vcc_lo, 0, v47
	v_min_u32_e32 v45, 32, v45
	v_subrev_nc_u32_e32 v46, 29, v45
	v_sub_nc_u32_e32 v45, 30, v45
	v_lshlrev_b32_sdwa v46, v46, v24 dst_sel:DWORD dst_unused:UNUSED_PAD src0_sel:DWORD src1_sel:WORD_1
	v_cndmask_b32_e32 v45, v47, v45, vcc_lo
	v_and_b32_e32 v46, 3, v46
	v_lshl_add_u32 v45, v45, 23, 0x37800000
	v_cndmask_b32_e32 v44, v44, v46, vcc_lo
	v_and_b32_e32 v46, 0x80000000, v56
	v_lshlrev_b32_e32 v44, 21, v44
	v_or3_b32 v45, v46, v45, v44
.LBB4_511:                              ;   in Loop: Header=BB4_130 Depth=2
	s_or_b32 exec_lo, exec_lo, s29
	v_and_b32_sdwa v46, v20, v115 dst_sel:DWORD dst_unused:UNUSED_PAD src0_sel:WORD_1 src1_sel:DWORD
	s_mov_b32 s13, 0
	s_mov_b32 s29, exec_lo
	v_cmpx_lt_i16_e32 0x7f, v46
	s_xor_b32 s29, exec_lo, s29
	s_cbranch_execz .LBB4_1366
; %bb.512:                              ;   in Loop: Header=BB4_130 Depth=2
	s_mov_b32 s13, -1
	s_mov_b32 s40, exec_lo
	v_cmpx_eq_u16_e32 0x80, v46
; %bb.513:                              ;   in Loop: Header=BB4_130 Depth=2
	s_xor_b32 s13, exec_lo, -1
; %bb.514:                              ;   in Loop: Header=BB4_130 Depth=2
	s_or_b32 exec_lo, exec_lo, s40
	s_and_b32 s13, s13, exec_lo
                                        ; implicit-def: $vgpr46
	s_or_saveexec_b32 s29, s29
	v_mov_b32_e32 v44, 0x7f800001
	s_xor_b32 exec_lo, exec_lo, s29
	s_cbranch_execnz .LBB4_1367
.LBB4_515:                              ;   in Loop: Header=BB4_130 Depth=2
	s_or_b32 exec_lo, exec_lo, s29
	s_and_saveexec_b32 s29, s13
	s_cbranch_execz .LBB4_517
.LBB4_516:                              ;   in Loop: Header=BB4_130 Depth=2
	v_bfe_u32 v44, v20, 16, 2
	v_bfe_u32 v56, v20, 18, 5
	v_lshlrev_b32_sdwa v57, v116, v20 dst_sel:DWORD dst_unused:UNUSED_PAD src0_sel:DWORD src1_sel:WORD_1
	v_ffbh_u32_e32 v46, v44
	v_cmp_eq_u32_e32 vcc_lo, 0, v56
	v_min_u32_e32 v46, 32, v46
	v_subrev_nc_u32_e32 v47, 29, v46
	v_sub_nc_u32_e32 v46, 30, v46
	v_lshlrev_b32_sdwa v47, v47, v20 dst_sel:DWORD dst_unused:UNUSED_PAD src0_sel:DWORD src1_sel:WORD_1
	v_cndmask_b32_e32 v46, v56, v46, vcc_lo
	v_and_b32_e32 v47, 3, v47
	v_lshl_add_u32 v46, v46, 23, 0x37800000
	v_cndmask_b32_e32 v44, v44, v47, vcc_lo
	v_and_b32_e32 v47, 0x80000000, v57
	v_lshlrev_b32_e32 v44, 21, v44
	v_or3_b32 v44, v47, v46, v44
.LBB4_517:                              ;   in Loop: Header=BB4_130 Depth=2
	s_or_b32 exec_lo, exec_lo, s29
	v_max_f32_e32 v44, v44, v44
	v_max_f32_e32 v45, v45, v45
	v_min_f32_e32 v45, v45, v44
.LBB4_518:                              ;   in Loop: Header=BB4_130 Depth=2
	v_and_b32_e32 v44, 0x7f800000, v45
	v_cmp_ne_u32_e32 vcc_lo, 0x7f800000, v44
	v_mov_b32_e32 v44, 0x80
	s_and_saveexec_b32 s29, vcc_lo
	s_cbranch_execz .LBB4_526
; %bb.519:                              ;   in Loop: Header=BB4_130 Depth=2
	v_mov_b32_e32 v44, 0
	s_mov_b32 s40, exec_lo
	v_cmpx_ne_u32_e32 0, v45
	s_cbranch_execz .LBB4_525
; %bb.520:                              ;   in Loop: Header=BB4_130 Depth=2
	v_bfe_u32 v44, v45, 23, 8
	v_and_b32_e32 v46, 0x7fffff, v45
	v_sub_nc_u32_e32 v47, 0x70, v44
	v_cmp_gt_u32_e32 vcc_lo, 0x71, v44
	v_or_b32_e32 v56, 0x800000, v46
	v_cndmask_b32_e32 v47, 0, v47, vcc_lo
	v_cmp_eq_u32_e32 vcc_lo, 0, v44
	v_add_nc_u32_e32 v44, 0xffffff91, v44
	v_cndmask_b32_e64 v47, v47, 0x6f, vcc_lo
	v_cndmask_b32_e32 v46, v56, v46, vcc_lo
	v_cndmask_b32_e64 v44, v44, 0xffffff92, vcc_lo
	v_lshl_add_u32 v56, 0x200000, v47, -1
	v_lshrrev_b32_e32 v57, v47, v46
	v_lshlrev_b32_e64 v59, v47, 0x100000
	v_add_nc_u32_e32 v47, v47, v44
	v_and_b32_e32 v46, v56, v46
	v_bfe_u32 v58, v57, 21, 1
	v_cmp_eq_u32_e64 s13, v46, v59
	v_add_nc_u32_e32 v56, -1, v58
	v_cndmask_b32_e64 v46, 0, v56, s13
	v_lshrrev_b32_e32 v56, 23, v57
	s_mov_b32 s13, exec_lo
	v_add_nc_u32_e32 v46, v46, v57
	v_xor_b32_e32 v56, 1, v56
	v_and_b32_e32 v44, 0x1fffff, v46
	v_add_nc_u32_e32 v46, v44, v57
                                        ; implicit-def: $vgpr44
	v_cmpx_ne_u32_e64 v47, v56
	s_xor_b32 s13, exec_lo, s13
; %bb.521:                              ;   in Loop: Header=BB4_130 Depth=2
	v_cmp_lt_u32_e32 vcc_lo, 0xffffff, v46
	v_sub_nc_u32_e32 v44, v47, v56
	v_cndmask_b32_e64 v47, 0, 1, vcc_lo
	v_add_co_ci_u32_e64 v44, null, 0, v44, vcc_lo
	v_lshrrev_b32_e32 v46, v47, v46
; %bb.522:                              ;   in Loop: Header=BB4_130 Depth=2
	s_andn2_saveexec_b32 s13, s13
; %bb.523:                              ;   in Loop: Header=BB4_130 Depth=2
	v_bfe_u32 v44, v46, 23, 1
; %bb.524:                              ;   in Loop: Header=BB4_130 Depth=2
	s_or_b32 exec_lo, exec_lo, s13
	v_lshrrev_b32_e32 v46, 21, v46
	v_min_i32_e32 v47, 31, v44
	v_cmp_gt_i32_e32 vcc_lo, 32, v44
	v_and_b32_sdwa v45, v45, v113 dst_sel:DWORD dst_unused:UNUSED_PAD src0_sel:BYTE_3 src1_sel:DWORD
	v_lshlrev_b32_e32 v47, 2, v47
	v_cndmask_b32_e32 v46, 3, v46, vcc_lo
	v_and_b32_e32 v47, 0xfc, v47
	v_and_b32_e32 v56, 3, v46
	v_or_b32_e32 v44, v44, v46
	v_or3_b32 v45, v47, v45, v56
	v_cmp_ne_u32_e32 vcc_lo, 0, v44
	v_cndmask_b32_e32 v44, 0, v45, vcc_lo
.LBB4_525:                              ;   in Loop: Header=BB4_130 Depth=2
	s_or_b32 exec_lo, exec_lo, s40
.LBB4_526:                              ;   in Loop: Header=BB4_130 Depth=2
	s_or_b32 exec_lo, exec_lo, s29
	v_cmp_gt_i16_sdwa s29, v24, v112 src0_sel:BYTE_3 src1_sel:DWORD
	s_and_b32 vcc_lo, exec_lo, s28
	s_mov_b32 s13, -1
                                        ; implicit-def: $vgpr45
	s_cbranch_vccz .LBB4_540
; %bb.527:                              ;   in Loop: Header=BB4_130 Depth=2
	s_mov_b32 s13, 0
	s_and_saveexec_b32 s40, s29
	s_xor_b32 s29, exec_lo, s40
	s_cbranch_execz .LBB4_1368
; %bb.528:                              ;   in Loop: Header=BB4_130 Depth=2
	v_cmp_eq_u16_sdwa s41, v24, v113 src0_sel:BYTE_3 src1_sel:DWORD
	s_mov_b32 s13, -1
	s_and_saveexec_b32 s40, s41
; %bb.529:                              ;   in Loop: Header=BB4_130 Depth=2
	s_xor_b32 s13, exec_lo, -1
; %bb.530:                              ;   in Loop: Header=BB4_130 Depth=2
	s_or_b32 exec_lo, exec_lo, s40
	s_and_b32 s13, s13, exec_lo
	s_or_saveexec_b32 s29, s29
	v_mov_b32_e32 v45, 0x7f800001
	s_xor_b32 exec_lo, exec_lo, s29
	s_cbranch_execnz .LBB4_1369
.LBB4_531:                              ;   in Loop: Header=BB4_130 Depth=2
	s_or_b32 exec_lo, exec_lo, s29
	s_and_saveexec_b32 s29, s13
	s_cbranch_execz .LBB4_533
.LBB4_532:                              ;   in Loop: Header=BB4_130 Depth=2
	v_bfe_u32 v45, v24, 24, 2
	v_bfe_u32 v56, v24, 26, 5
	v_ffbh_u32_e32 v46, v45
	v_cmp_eq_u32_e32 vcc_lo, 0, v56
	v_min_u32_e32 v46, 32, v46
	v_subrev_nc_u32_e32 v47, 29, v46
	v_sub_nc_u32_e32 v46, 30, v46
	v_lshlrev_b32_sdwa v47, v47, v24 dst_sel:DWORD dst_unused:UNUSED_PAD src0_sel:DWORD src1_sel:BYTE_3
	v_cndmask_b32_e32 v46, v56, v46, vcc_lo
	v_and_b32_e32 v47, 3, v47
	v_lshl_add_u32 v46, v46, 23, 0x37800000
	v_cndmask_b32_e32 v45, v45, v47, vcc_lo
	v_and_b32_e32 v47, 0x80000000, v24
	v_lshlrev_b32_e32 v45, 21, v45
	v_or3_b32 v45, v47, v46, v45
.LBB4_533:                              ;   in Loop: Header=BB4_130 Depth=2
	s_or_b32 exec_lo, exec_lo, s29
	v_cmp_gt_i16_sdwa s29, v20, v112 src0_sel:BYTE_3 src1_sel:DWORD
	s_mov_b32 s13, 0
	s_and_saveexec_b32 s40, s29
	s_xor_b32 s29, exec_lo, s40
	s_cbranch_execz .LBB4_1370
; %bb.534:                              ;   in Loop: Header=BB4_130 Depth=2
	v_cmp_eq_u16_sdwa s41, v20, v113 src0_sel:BYTE_3 src1_sel:DWORD
	s_mov_b32 s13, -1
	s_and_saveexec_b32 s40, s41
; %bb.535:                              ;   in Loop: Header=BB4_130 Depth=2
	s_xor_b32 s13, exec_lo, -1
; %bb.536:                              ;   in Loop: Header=BB4_130 Depth=2
	s_or_b32 exec_lo, exec_lo, s40
	s_and_b32 s13, s13, exec_lo
	s_or_saveexec_b32 s29, s29
	v_mov_b32_e32 v46, 0x7f800001
	s_xor_b32 exec_lo, exec_lo, s29
	s_cbranch_execnz .LBB4_1371
.LBB4_537:                              ;   in Loop: Header=BB4_130 Depth=2
	s_or_b32 exec_lo, exec_lo, s29
	s_and_saveexec_b32 s29, s13
	s_cbranch_execz .LBB4_539
.LBB4_538:                              ;   in Loop: Header=BB4_130 Depth=2
	v_bfe_u32 v46, v20, 24, 2
	v_bfe_u32 v57, v20, 26, 5
	v_ffbh_u32_e32 v47, v46
	v_cmp_eq_u32_e32 vcc_lo, 0, v57
	v_min_u32_e32 v47, 32, v47
	v_subrev_nc_u32_e32 v56, 29, v47
	v_sub_nc_u32_e32 v47, 30, v47
	v_lshlrev_b32_sdwa v56, v56, v20 dst_sel:DWORD dst_unused:UNUSED_PAD src0_sel:DWORD src1_sel:BYTE_3
	v_cndmask_b32_e32 v47, v57, v47, vcc_lo
	v_and_b32_e32 v56, 3, v56
	v_lshl_add_u32 v47, v47, 23, 0x37800000
	v_cndmask_b32_e32 v46, v46, v56, vcc_lo
	v_and_b32_e32 v56, 0x80000000, v20
	v_lshlrev_b32_e32 v46, 21, v46
	v_or3_b32 v46, v56, v47, v46
.LBB4_539:                              ;   in Loop: Header=BB4_130 Depth=2
	s_or_b32 exec_lo, exec_lo, s29
	v_max_f32_e32 v46, v46, v46
	v_max_f32_e32 v45, v45, v45
	s_mov_b32 s13, 0
	v_max_f32_e32 v45, v45, v46
.LBB4_540:                              ;   in Loop: Header=BB4_130 Depth=2
	s_and_b32 vcc_lo, exec_lo, s13
	s_cbranch_vccz .LBB4_554
; %bb.541:                              ;   in Loop: Header=BB4_130 Depth=2
	v_cmp_gt_i16_sdwa s29, v24, v112 src0_sel:BYTE_3 src1_sel:DWORD
	s_mov_b32 s13, 0
	s_and_saveexec_b32 s40, s29
	s_xor_b32 s29, exec_lo, s40
	s_cbranch_execz .LBB4_1372
; %bb.542:                              ;   in Loop: Header=BB4_130 Depth=2
	v_cmp_eq_u16_sdwa s41, v24, v113 src0_sel:BYTE_3 src1_sel:DWORD
	s_mov_b32 s13, -1
	s_and_saveexec_b32 s40, s41
; %bb.543:                              ;   in Loop: Header=BB4_130 Depth=2
	s_xor_b32 s13, exec_lo, -1
; %bb.544:                              ;   in Loop: Header=BB4_130 Depth=2
	s_or_b32 exec_lo, exec_lo, s40
	s_and_b32 s13, s13, exec_lo
	s_or_saveexec_b32 s29, s29
	v_mov_b32_e32 v45, 0x7f800001
	s_xor_b32 exec_lo, exec_lo, s29
	s_cbranch_execnz .LBB4_1373
.LBB4_545:                              ;   in Loop: Header=BB4_130 Depth=2
	s_or_b32 exec_lo, exec_lo, s29
	s_and_saveexec_b32 s29, s13
	s_cbranch_execz .LBB4_547
.LBB4_546:                              ;   in Loop: Header=BB4_130 Depth=2
	v_bfe_u32 v45, v24, 24, 2
	v_bfe_u32 v56, v24, 26, 5
	v_ffbh_u32_e32 v46, v45
	v_cmp_eq_u32_e32 vcc_lo, 0, v56
	v_min_u32_e32 v46, 32, v46
	v_subrev_nc_u32_e32 v47, 29, v46
	v_sub_nc_u32_e32 v46, 30, v46
	v_lshlrev_b32_sdwa v47, v47, v24 dst_sel:DWORD dst_unused:UNUSED_PAD src0_sel:DWORD src1_sel:BYTE_3
	v_cndmask_b32_e32 v46, v56, v46, vcc_lo
	v_and_b32_e32 v24, 0x80000000, v24
	v_and_b32_e32 v47, 3, v47
	v_lshl_add_u32 v46, v46, 23, 0x37800000
	v_cndmask_b32_e32 v45, v45, v47, vcc_lo
	v_lshlrev_b32_e32 v45, 21, v45
	v_or3_b32 v45, v24, v46, v45
.LBB4_547:                              ;   in Loop: Header=BB4_130 Depth=2
	s_or_b32 exec_lo, exec_lo, s29
	v_cmp_gt_i16_sdwa s29, v20, v112 src0_sel:BYTE_3 src1_sel:DWORD
	s_mov_b32 s13, 0
	s_and_saveexec_b32 s40, s29
	s_xor_b32 s29, exec_lo, s40
	s_cbranch_execz .LBB4_1374
; %bb.548:                              ;   in Loop: Header=BB4_130 Depth=2
	v_cmp_eq_u16_sdwa s41, v20, v113 src0_sel:BYTE_3 src1_sel:DWORD
	s_mov_b32 s13, -1
	s_and_saveexec_b32 s40, s41
; %bb.549:                              ;   in Loop: Header=BB4_130 Depth=2
	s_xor_b32 s13, exec_lo, -1
; %bb.550:                              ;   in Loop: Header=BB4_130 Depth=2
	s_or_b32 exec_lo, exec_lo, s40
	s_and_b32 s13, s13, exec_lo
	s_or_saveexec_b32 s29, s29
	v_mov_b32_e32 v24, 0x7f800001
	s_xor_b32 exec_lo, exec_lo, s29
	s_cbranch_execnz .LBB4_1375
.LBB4_551:                              ;   in Loop: Header=BB4_130 Depth=2
	s_or_b32 exec_lo, exec_lo, s29
	s_and_saveexec_b32 s29, s13
	s_cbranch_execz .LBB4_553
.LBB4_552:                              ;   in Loop: Header=BB4_130 Depth=2
	v_bfe_u32 v24, v20, 24, 2
	v_bfe_u32 v56, v20, 26, 5
	v_ffbh_u32_e32 v46, v24
	v_cmp_eq_u32_e32 vcc_lo, 0, v56
	v_min_u32_e32 v46, 32, v46
	v_subrev_nc_u32_e32 v47, 29, v46
	v_sub_nc_u32_e32 v46, 30, v46
	v_lshlrev_b32_sdwa v47, v47, v20 dst_sel:DWORD dst_unused:UNUSED_PAD src0_sel:DWORD src1_sel:BYTE_3
	v_cndmask_b32_e32 v46, v56, v46, vcc_lo
	v_and_b32_e32 v20, 0x80000000, v20
	v_and_b32_e32 v47, 3, v47
	v_lshl_add_u32 v46, v46, 23, 0x37800000
	v_cndmask_b32_e32 v24, v24, v47, vcc_lo
	v_lshlrev_b32_e32 v24, 21, v24
	v_or3_b32 v24, v20, v46, v24
.LBB4_553:                              ;   in Loop: Header=BB4_130 Depth=2
	s_or_b32 exec_lo, exec_lo, s29
	v_max_f32_e32 v20, v24, v24
	v_max_f32_e32 v24, v45, v45
	v_min_f32_e32 v45, v24, v20
.LBB4_554:                              ;   in Loop: Header=BB4_130 Depth=2
	v_and_b32_e32 v20, 0x7f800000, v45
	v_cmp_ne_u32_e32 vcc_lo, 0x7f800000, v20
	v_mov_b32_e32 v20, 0x8000
	s_and_saveexec_b32 s29, vcc_lo
	s_cbranch_execz .LBB4_562
; %bb.555:                              ;   in Loop: Header=BB4_130 Depth=2
	v_mov_b32_e32 v20, 0
	s_mov_b32 s40, exec_lo
	v_cmpx_ne_u32_e32 0, v45
	s_cbranch_execz .LBB4_561
; %bb.556:                              ;   in Loop: Header=BB4_130 Depth=2
	v_bfe_u32 v20, v45, 23, 8
	v_and_b32_e32 v24, 0x7fffff, v45
	v_sub_nc_u32_e32 v46, 0x70, v20
	v_cmp_gt_u32_e32 vcc_lo, 0x71, v20
	v_or_b32_e32 v47, 0x800000, v24
	v_cndmask_b32_e32 v46, 0, v46, vcc_lo
	v_cmp_eq_u32_e32 vcc_lo, 0, v20
	v_add_nc_u32_e32 v20, 0xffffff91, v20
	v_cndmask_b32_e64 v46, v46, 0x6f, vcc_lo
	v_cndmask_b32_e32 v24, v47, v24, vcc_lo
	v_cndmask_b32_e64 v20, v20, 0xffffff92, vcc_lo
	v_lshl_add_u32 v47, 0x200000, v46, -1
	v_lshrrev_b32_e32 v56, v46, v24
	v_lshlrev_b32_e64 v58, v46, 0x100000
	v_add_nc_u32_e32 v46, v46, v20
	v_and_b32_e32 v24, v47, v24
	v_bfe_u32 v57, v56, 21, 1
	v_cmp_eq_u32_e64 s13, v24, v58
	v_add_nc_u32_e32 v47, -1, v57
	v_cndmask_b32_e64 v24, 0, v47, s13
	v_lshrrev_b32_e32 v47, 23, v56
	s_mov_b32 s13, exec_lo
	v_add_nc_u32_e32 v24, v24, v56
	v_xor_b32_e32 v47, 1, v47
	v_and_b32_e32 v20, 0x1fffff, v24
	v_add_nc_u32_e32 v24, v20, v56
                                        ; implicit-def: $vgpr20
	v_cmpx_ne_u32_e64 v46, v47
	s_xor_b32 s13, exec_lo, s13
; %bb.557:                              ;   in Loop: Header=BB4_130 Depth=2
	v_cmp_lt_u32_e32 vcc_lo, 0xffffff, v24
	v_sub_nc_u32_e32 v20, v46, v47
	v_cndmask_b32_e64 v46, 0, 1, vcc_lo
	v_add_co_ci_u32_e64 v20, null, 0, v20, vcc_lo
	v_lshrrev_b32_e32 v24, v46, v24
; %bb.558:                              ;   in Loop: Header=BB4_130 Depth=2
	s_andn2_saveexec_b32 s13, s13
; %bb.559:                              ;   in Loop: Header=BB4_130 Depth=2
	v_bfe_u32 v20, v24, 23, 1
; %bb.560:                              ;   in Loop: Header=BB4_130 Depth=2
	s_or_b32 exec_lo, exec_lo, s13
	v_lshrrev_b32_e32 v24, 21, v24
	v_min_i32_e32 v46, 31, v20
	v_cmp_gt_i32_e32 vcc_lo, 32, v20
	v_and_b32_sdwa v45, v45, v113 dst_sel:DWORD dst_unused:UNUSED_PAD src0_sel:BYTE_3 src1_sel:DWORD
	v_lshlrev_b32_e32 v46, 2, v46
	v_cndmask_b32_e32 v24, 3, v24, vcc_lo
	v_and_b32_e32 v46, 0xfc, v46
	v_and_b32_e32 v47, 3, v24
	v_or_b32_e32 v20, v20, v24
	v_or3_b32 v45, v45, v46, v47
	v_cmp_ne_u32_e32 vcc_lo, 0, v20
	v_lshlrev_b32_e32 v24, 8, v45
	v_cndmask_b32_e32 v20, 0, v24, vcc_lo
.LBB4_561:                              ;   in Loop: Header=BB4_130 Depth=2
	s_or_b32 exec_lo, exec_lo, s40
.LBB4_562:                              ;   in Loop: Header=BB4_130 Depth=2
	s_or_b32 exec_lo, exec_lo, s29
	v_cmp_gt_i16_sdwa s29, v25, v112 src0_sel:BYTE_0 src1_sel:DWORD
	s_and_b32 vcc_lo, exec_lo, s28
	s_mov_b32 s13, -1
                                        ; implicit-def: $vgpr45
	s_cbranch_vccz .LBB4_576
; %bb.563:                              ;   in Loop: Header=BB4_130 Depth=2
	s_mov_b32 s13, 0
	s_and_saveexec_b32 s40, s29
	s_xor_b32 s29, exec_lo, s40
	s_cbranch_execz .LBB4_1376
; %bb.564:                              ;   in Loop: Header=BB4_130 Depth=2
	v_cmp_eq_u16_sdwa s41, v25, v113 src0_sel:BYTE_0 src1_sel:DWORD
	s_mov_b32 s13, -1
	s_and_saveexec_b32 s40, s41
; %bb.565:                              ;   in Loop: Header=BB4_130 Depth=2
	s_xor_b32 s13, exec_lo, -1
; %bb.566:                              ;   in Loop: Header=BB4_130 Depth=2
	s_or_b32 exec_lo, exec_lo, s40
	s_and_b32 s13, s13, exec_lo
	s_or_saveexec_b32 s29, s29
	v_mov_b32_e32 v24, 0x7f800001
	s_xor_b32 exec_lo, exec_lo, s29
	s_cbranch_execnz .LBB4_1377
.LBB4_567:                              ;   in Loop: Header=BB4_130 Depth=2
	s_or_b32 exec_lo, exec_lo, s29
	s_and_saveexec_b32 s29, s13
	s_cbranch_execz .LBB4_569
.LBB4_568:                              ;   in Loop: Header=BB4_130 Depth=2
	v_and_b32_e32 v24, 3, v25
	v_bfe_u32 v47, v25, 2, 5
	v_lshlrev_b32_e32 v56, 24, v25
	v_ffbh_u32_e32 v45, v24
	v_cmp_eq_u32_e32 vcc_lo, 0, v47
	v_min_u32_e32 v45, 32, v45
	v_subrev_nc_u32_e32 v46, 29, v45
	v_sub_nc_u32_e32 v45, 30, v45
	v_lshlrev_b32_e32 v46, v46, v25
	v_cndmask_b32_e32 v45, v47, v45, vcc_lo
	v_and_b32_e32 v46, 3, v46
	v_lshl_add_u32 v45, v45, 23, 0x37800000
	v_cndmask_b32_e32 v24, v24, v46, vcc_lo
	v_and_b32_e32 v46, 0x80000000, v56
	v_lshlrev_b32_e32 v24, 21, v24
	v_or3_b32 v24, v46, v45, v24
.LBB4_569:                              ;   in Loop: Header=BB4_130 Depth=2
	s_or_b32 exec_lo, exec_lo, s29
	v_cmp_gt_i16_sdwa s29, v21, v112 src0_sel:BYTE_0 src1_sel:DWORD
	s_mov_b32 s13, 0
	s_and_saveexec_b32 s40, s29
	s_xor_b32 s29, exec_lo, s40
	s_cbranch_execz .LBB4_1378
; %bb.570:                              ;   in Loop: Header=BB4_130 Depth=2
	v_cmp_eq_u16_sdwa s41, v21, v113 src0_sel:BYTE_0 src1_sel:DWORD
	s_mov_b32 s13, -1
	s_and_saveexec_b32 s40, s41
; %bb.571:                              ;   in Loop: Header=BB4_130 Depth=2
	s_xor_b32 s13, exec_lo, -1
; %bb.572:                              ;   in Loop: Header=BB4_130 Depth=2
	s_or_b32 exec_lo, exec_lo, s40
	s_and_b32 s13, s13, exec_lo
	s_or_saveexec_b32 s29, s29
	v_mov_b32_e32 v45, 0x7f800001
	s_xor_b32 exec_lo, exec_lo, s29
	s_cbranch_execnz .LBB4_1379
.LBB4_573:                              ;   in Loop: Header=BB4_130 Depth=2
	s_or_b32 exec_lo, exec_lo, s29
	s_and_saveexec_b32 s29, s13
	s_cbranch_execz .LBB4_575
.LBB4_574:                              ;   in Loop: Header=BB4_130 Depth=2
	v_and_b32_e32 v45, 3, v21
	v_bfe_u32 v56, v21, 2, 5
	v_lshlrev_b32_e32 v57, 24, v21
	v_ffbh_u32_e32 v46, v45
	v_cmp_eq_u32_e32 vcc_lo, 0, v56
	v_min_u32_e32 v46, 32, v46
	v_subrev_nc_u32_e32 v47, 29, v46
	v_sub_nc_u32_e32 v46, 30, v46
	v_lshlrev_b32_e32 v47, v47, v21
	v_cndmask_b32_e32 v46, v56, v46, vcc_lo
	v_and_b32_e32 v47, 3, v47
	v_lshl_add_u32 v46, v46, 23, 0x37800000
	v_cndmask_b32_e32 v45, v45, v47, vcc_lo
	v_and_b32_e32 v47, 0x80000000, v57
	v_lshlrev_b32_e32 v45, 21, v45
	v_or3_b32 v45, v47, v46, v45
.LBB4_575:                              ;   in Loop: Header=BB4_130 Depth=2
	s_or_b32 exec_lo, exec_lo, s29
	v_max_f32_e32 v45, v45, v45
	v_max_f32_e32 v24, v24, v24
	s_mov_b32 s13, 0
	v_max_f32_e32 v45, v24, v45
.LBB4_576:                              ;   in Loop: Header=BB4_130 Depth=2
	s_and_b32 vcc_lo, exec_lo, s13
	s_cbranch_vccz .LBB4_590
; %bb.577:                              ;   in Loop: Header=BB4_130 Depth=2
	v_cmp_gt_i16_sdwa s29, v25, v112 src0_sel:BYTE_0 src1_sel:DWORD
	s_mov_b32 s13, 0
	s_and_saveexec_b32 s40, s29
	s_xor_b32 s29, exec_lo, s40
	s_cbranch_execz .LBB4_1380
; %bb.578:                              ;   in Loop: Header=BB4_130 Depth=2
	v_cmp_eq_u16_sdwa s41, v25, v113 src0_sel:BYTE_0 src1_sel:DWORD
	s_mov_b32 s13, -1
	s_and_saveexec_b32 s40, s41
; %bb.579:                              ;   in Loop: Header=BB4_130 Depth=2
	s_xor_b32 s13, exec_lo, -1
; %bb.580:                              ;   in Loop: Header=BB4_130 Depth=2
	s_or_b32 exec_lo, exec_lo, s40
	s_and_b32 s13, s13, exec_lo
	s_or_saveexec_b32 s29, s29
	v_mov_b32_e32 v24, 0x7f800001
	s_xor_b32 exec_lo, exec_lo, s29
	s_cbranch_execnz .LBB4_1381
.LBB4_581:                              ;   in Loop: Header=BB4_130 Depth=2
	s_or_b32 exec_lo, exec_lo, s29
	s_and_saveexec_b32 s29, s13
	s_cbranch_execz .LBB4_583
.LBB4_582:                              ;   in Loop: Header=BB4_130 Depth=2
	v_and_b32_e32 v24, 3, v25
	v_bfe_u32 v47, v25, 2, 5
	v_lshlrev_b32_e32 v56, 24, v25
	v_ffbh_u32_e32 v45, v24
	v_cmp_eq_u32_e32 vcc_lo, 0, v47
	v_min_u32_e32 v45, 32, v45
	v_subrev_nc_u32_e32 v46, 29, v45
	v_sub_nc_u32_e32 v45, 30, v45
	v_lshlrev_b32_e32 v46, v46, v25
	v_cndmask_b32_e32 v45, v47, v45, vcc_lo
	v_and_b32_e32 v46, 3, v46
	v_lshl_add_u32 v45, v45, 23, 0x37800000
	v_cndmask_b32_e32 v24, v24, v46, vcc_lo
	v_and_b32_e32 v46, 0x80000000, v56
	v_lshlrev_b32_e32 v24, 21, v24
	v_or3_b32 v24, v46, v45, v24
.LBB4_583:                              ;   in Loop: Header=BB4_130 Depth=2
	s_or_b32 exec_lo, exec_lo, s29
	v_cmp_gt_i16_sdwa s29, v21, v112 src0_sel:BYTE_0 src1_sel:DWORD
	s_mov_b32 s13, 0
	s_and_saveexec_b32 s40, s29
	s_xor_b32 s29, exec_lo, s40
	s_cbranch_execz .LBB4_1382
; %bb.584:                              ;   in Loop: Header=BB4_130 Depth=2
	v_cmp_eq_u16_sdwa s41, v21, v113 src0_sel:BYTE_0 src1_sel:DWORD
	s_mov_b32 s13, -1
	s_and_saveexec_b32 s40, s41
; %bb.585:                              ;   in Loop: Header=BB4_130 Depth=2
	s_xor_b32 s13, exec_lo, -1
; %bb.586:                              ;   in Loop: Header=BB4_130 Depth=2
	s_or_b32 exec_lo, exec_lo, s40
	s_and_b32 s13, s13, exec_lo
	s_or_saveexec_b32 s29, s29
	v_mov_b32_e32 v45, 0x7f800001
	s_xor_b32 exec_lo, exec_lo, s29
	s_cbranch_execnz .LBB4_1383
.LBB4_587:                              ;   in Loop: Header=BB4_130 Depth=2
	s_or_b32 exec_lo, exec_lo, s29
	s_and_saveexec_b32 s29, s13
	s_cbranch_execz .LBB4_589
.LBB4_588:                              ;   in Loop: Header=BB4_130 Depth=2
	v_and_b32_e32 v45, 3, v21
	v_bfe_u32 v56, v21, 2, 5
	v_lshlrev_b32_e32 v57, 24, v21
	v_ffbh_u32_e32 v46, v45
	v_cmp_eq_u32_e32 vcc_lo, 0, v56
	v_min_u32_e32 v46, 32, v46
	v_subrev_nc_u32_e32 v47, 29, v46
	v_sub_nc_u32_e32 v46, 30, v46
	v_lshlrev_b32_e32 v47, v47, v21
	v_cndmask_b32_e32 v46, v56, v46, vcc_lo
	v_and_b32_e32 v47, 3, v47
	v_lshl_add_u32 v46, v46, 23, 0x37800000
	v_cndmask_b32_e32 v45, v45, v47, vcc_lo
	v_and_b32_e32 v47, 0x80000000, v57
	v_lshlrev_b32_e32 v45, 21, v45
	v_or3_b32 v45, v47, v46, v45
.LBB4_589:                              ;   in Loop: Header=BB4_130 Depth=2
	s_or_b32 exec_lo, exec_lo, s29
	v_max_f32_e32 v45, v45, v45
	v_max_f32_e32 v24, v24, v24
	v_min_f32_e32 v45, v24, v45
.LBB4_590:                              ;   in Loop: Header=BB4_130 Depth=2
	v_and_b32_e32 v24, 0x7f800000, v45
	v_cmp_ne_u32_e32 vcc_lo, 0x7f800000, v24
	v_mov_b32_e32 v24, 0x80
	s_and_saveexec_b32 s29, vcc_lo
	s_cbranch_execz .LBB4_598
; %bb.591:                              ;   in Loop: Header=BB4_130 Depth=2
	v_mov_b32_e32 v24, 0
	s_mov_b32 s40, exec_lo
	v_cmpx_ne_u32_e32 0, v45
	s_cbranch_execz .LBB4_597
; %bb.592:                              ;   in Loop: Header=BB4_130 Depth=2
	v_bfe_u32 v24, v45, 23, 8
	v_and_b32_e32 v46, 0x7fffff, v45
	v_sub_nc_u32_e32 v47, 0x70, v24
	v_cmp_gt_u32_e32 vcc_lo, 0x71, v24
	v_or_b32_e32 v56, 0x800000, v46
	v_cndmask_b32_e32 v47, 0, v47, vcc_lo
	v_cmp_eq_u32_e32 vcc_lo, 0, v24
	v_add_nc_u32_e32 v24, 0xffffff91, v24
	v_cndmask_b32_e64 v47, v47, 0x6f, vcc_lo
	v_cndmask_b32_e32 v46, v56, v46, vcc_lo
	v_cndmask_b32_e64 v24, v24, 0xffffff92, vcc_lo
	v_lshl_add_u32 v56, 0x200000, v47, -1
	v_lshrrev_b32_e32 v57, v47, v46
	v_lshlrev_b32_e64 v59, v47, 0x100000
	v_add_nc_u32_e32 v47, v47, v24
	v_and_b32_e32 v46, v56, v46
	v_bfe_u32 v58, v57, 21, 1
	v_cmp_eq_u32_e64 s13, v46, v59
	v_add_nc_u32_e32 v56, -1, v58
	v_cndmask_b32_e64 v46, 0, v56, s13
	v_lshrrev_b32_e32 v56, 23, v57
	s_mov_b32 s13, exec_lo
	v_add_nc_u32_e32 v46, v46, v57
	v_xor_b32_e32 v56, 1, v56
	v_and_b32_e32 v24, 0x1fffff, v46
	v_add_nc_u32_e32 v46, v24, v57
                                        ; implicit-def: $vgpr24
	v_cmpx_ne_u32_e64 v47, v56
	s_xor_b32 s13, exec_lo, s13
; %bb.593:                              ;   in Loop: Header=BB4_130 Depth=2
	v_cmp_lt_u32_e32 vcc_lo, 0xffffff, v46
	v_sub_nc_u32_e32 v24, v47, v56
	v_cndmask_b32_e64 v47, 0, 1, vcc_lo
	v_add_co_ci_u32_e64 v24, null, 0, v24, vcc_lo
	v_lshrrev_b32_e32 v46, v47, v46
; %bb.594:                              ;   in Loop: Header=BB4_130 Depth=2
	s_andn2_saveexec_b32 s13, s13
; %bb.595:                              ;   in Loop: Header=BB4_130 Depth=2
	v_bfe_u32 v24, v46, 23, 1
; %bb.596:                              ;   in Loop: Header=BB4_130 Depth=2
	s_or_b32 exec_lo, exec_lo, s13
	v_lshrrev_b32_e32 v46, 21, v46
	v_min_i32_e32 v47, 31, v24
	v_cmp_gt_i32_e32 vcc_lo, 32, v24
	v_and_b32_sdwa v45, v45, v113 dst_sel:DWORD dst_unused:UNUSED_PAD src0_sel:BYTE_3 src1_sel:DWORD
	v_lshlrev_b32_e32 v47, 2, v47
	v_cndmask_b32_e32 v46, 3, v46, vcc_lo
	v_and_b32_e32 v47, 0xfc, v47
	v_and_b32_e32 v56, 3, v46
	v_or_b32_e32 v24, v24, v46
	v_or3_b32 v45, v47, v45, v56
	v_cmp_ne_u32_e32 vcc_lo, 0, v24
	v_cndmask_b32_e32 v24, 0, v45, vcc_lo
.LBB4_597:                              ;   in Loop: Header=BB4_130 Depth=2
	s_or_b32 exec_lo, exec_lo, s40
.LBB4_598:                              ;   in Loop: Header=BB4_130 Depth=2
	s_or_b32 exec_lo, exec_lo, s29
	v_cmp_gt_i16_sdwa s29, v25, v112 src0_sel:BYTE_1 src1_sel:DWORD
	s_and_b32 vcc_lo, exec_lo, s28
	s_mov_b32 s13, -1
                                        ; implicit-def: $vgpr46
	s_cbranch_vccz .LBB4_612
; %bb.599:                              ;   in Loop: Header=BB4_130 Depth=2
	s_mov_b32 s13, 0
	s_and_saveexec_b32 s40, s29
	s_xor_b32 s29, exec_lo, s40
	s_cbranch_execz .LBB4_1384
; %bb.600:                              ;   in Loop: Header=BB4_130 Depth=2
	v_cmp_eq_u16_sdwa s41, v25, v113 src0_sel:BYTE_1 src1_sel:DWORD
	s_mov_b32 s13, -1
	s_and_saveexec_b32 s40, s41
; %bb.601:                              ;   in Loop: Header=BB4_130 Depth=2
	s_xor_b32 s13, exec_lo, -1
; %bb.602:                              ;   in Loop: Header=BB4_130 Depth=2
	s_or_b32 exec_lo, exec_lo, s40
	s_and_b32 s13, s13, exec_lo
	s_or_saveexec_b32 s29, s29
	v_mov_b32_e32 v45, 0x7f800001
	s_xor_b32 exec_lo, exec_lo, s29
	s_cbranch_execnz .LBB4_1385
.LBB4_603:                              ;   in Loop: Header=BB4_130 Depth=2
	s_or_b32 exec_lo, exec_lo, s29
	s_and_saveexec_b32 s29, s13
	s_cbranch_execz .LBB4_605
.LBB4_604:                              ;   in Loop: Header=BB4_130 Depth=2
	v_and_b32_sdwa v45, v114, v25 dst_sel:DWORD dst_unused:UNUSED_PAD src0_sel:DWORD src1_sel:BYTE_1
	v_and_b32_e32 v46, 3, v45
	v_bfe_u32 v57, v45, 2, 5
	v_ffbh_u32_e32 v47, v46
	v_cmp_eq_u32_e32 vcc_lo, 0, v57
	v_min_u32_e32 v47, 32, v47
	v_subrev_nc_u32_e32 v56, 29, v47
	v_sub_nc_u32_e32 v47, 30, v47
	v_lshlrev_b32_e32 v45, v56, v45
	v_lshlrev_b32_e32 v56, 16, v25
	v_cndmask_b32_e32 v47, v57, v47, vcc_lo
	v_and_b32_e32 v45, 3, v45
	v_lshl_add_u32 v47, v47, 23, 0x37800000
	v_cndmask_b32_e32 v45, v46, v45, vcc_lo
	v_and_b32_e32 v46, 0x80000000, v56
	v_lshlrev_b32_e32 v45, 21, v45
	v_or3_b32 v45, v46, v47, v45
.LBB4_605:                              ;   in Loop: Header=BB4_130 Depth=2
	s_or_b32 exec_lo, exec_lo, s29
	v_cmp_gt_i16_sdwa s29, v21, v112 src0_sel:BYTE_1 src1_sel:DWORD
	s_mov_b32 s13, 0
	s_and_saveexec_b32 s40, s29
	s_xor_b32 s29, exec_lo, s40
	s_cbranch_execz .LBB4_1386
; %bb.606:                              ;   in Loop: Header=BB4_130 Depth=2
	v_cmp_eq_u16_sdwa s41, v21, v113 src0_sel:BYTE_1 src1_sel:DWORD
	s_mov_b32 s13, -1
	s_and_saveexec_b32 s40, s41
; %bb.607:                              ;   in Loop: Header=BB4_130 Depth=2
	s_xor_b32 s13, exec_lo, -1
; %bb.608:                              ;   in Loop: Header=BB4_130 Depth=2
	s_or_b32 exec_lo, exec_lo, s40
	s_and_b32 s13, s13, exec_lo
	s_or_saveexec_b32 s29, s29
	v_mov_b32_e32 v46, 0x7f800001
	s_xor_b32 exec_lo, exec_lo, s29
	s_cbranch_execnz .LBB4_1387
.LBB4_609:                              ;   in Loop: Header=BB4_130 Depth=2
	s_or_b32 exec_lo, exec_lo, s29
	s_and_saveexec_b32 s29, s13
	s_cbranch_execz .LBB4_611
.LBB4_610:                              ;   in Loop: Header=BB4_130 Depth=2
	v_and_b32_sdwa v46, v114, v21 dst_sel:DWORD dst_unused:UNUSED_PAD src0_sel:DWORD src1_sel:BYTE_1
	v_and_b32_e32 v47, 3, v46
	v_bfe_u32 v58, v46, 2, 5
	v_ffbh_u32_e32 v56, v47
	v_cmp_eq_u32_e32 vcc_lo, 0, v58
	v_min_u32_e32 v56, 32, v56
	v_subrev_nc_u32_e32 v57, 29, v56
	v_sub_nc_u32_e32 v56, 30, v56
	v_lshlrev_b32_e32 v46, v57, v46
	v_lshlrev_b32_e32 v57, 16, v21
	v_cndmask_b32_e32 v56, v58, v56, vcc_lo
	v_and_b32_e32 v46, 3, v46
	v_lshl_add_u32 v56, v56, 23, 0x37800000
	v_cndmask_b32_e32 v46, v47, v46, vcc_lo
	v_and_b32_e32 v47, 0x80000000, v57
	v_lshlrev_b32_e32 v46, 21, v46
	v_or3_b32 v46, v47, v56, v46
.LBB4_611:                              ;   in Loop: Header=BB4_130 Depth=2
	s_or_b32 exec_lo, exec_lo, s29
	v_max_f32_e32 v46, v46, v46
	v_max_f32_e32 v45, v45, v45
	s_mov_b32 s13, 0
	v_max_f32_e32 v46, v45, v46
.LBB4_612:                              ;   in Loop: Header=BB4_130 Depth=2
	s_and_b32 vcc_lo, exec_lo, s13
	s_cbranch_vccz .LBB4_626
; %bb.613:                              ;   in Loop: Header=BB4_130 Depth=2
	v_cmp_gt_i16_sdwa s29, v25, v112 src0_sel:BYTE_1 src1_sel:DWORD
	s_mov_b32 s13, 0
	s_and_saveexec_b32 s40, s29
	s_xor_b32 s29, exec_lo, s40
	s_cbranch_execz .LBB4_1388
; %bb.614:                              ;   in Loop: Header=BB4_130 Depth=2
	v_cmp_eq_u16_sdwa s41, v25, v113 src0_sel:BYTE_1 src1_sel:DWORD
	s_mov_b32 s13, -1
	s_and_saveexec_b32 s40, s41
; %bb.615:                              ;   in Loop: Header=BB4_130 Depth=2
	s_xor_b32 s13, exec_lo, -1
; %bb.616:                              ;   in Loop: Header=BB4_130 Depth=2
	s_or_b32 exec_lo, exec_lo, s40
	s_and_b32 s13, s13, exec_lo
	s_or_saveexec_b32 s29, s29
	v_mov_b32_e32 v45, 0x7f800001
	s_xor_b32 exec_lo, exec_lo, s29
	s_cbranch_execnz .LBB4_1389
.LBB4_617:                              ;   in Loop: Header=BB4_130 Depth=2
	s_or_b32 exec_lo, exec_lo, s29
	s_and_saveexec_b32 s29, s13
	s_cbranch_execz .LBB4_619
.LBB4_618:                              ;   in Loop: Header=BB4_130 Depth=2
	v_and_b32_sdwa v45, v114, v25 dst_sel:DWORD dst_unused:UNUSED_PAD src0_sel:DWORD src1_sel:BYTE_1
	v_and_b32_e32 v46, 3, v45
	v_bfe_u32 v57, v45, 2, 5
	v_ffbh_u32_e32 v47, v46
	v_cmp_eq_u32_e32 vcc_lo, 0, v57
	v_min_u32_e32 v47, 32, v47
	v_subrev_nc_u32_e32 v56, 29, v47
	v_sub_nc_u32_e32 v47, 30, v47
	v_lshlrev_b32_e32 v45, v56, v45
	v_lshlrev_b32_e32 v56, 16, v25
	v_cndmask_b32_e32 v47, v57, v47, vcc_lo
	v_and_b32_e32 v45, 3, v45
	v_lshl_add_u32 v47, v47, 23, 0x37800000
	v_cndmask_b32_e32 v45, v46, v45, vcc_lo
	v_and_b32_e32 v46, 0x80000000, v56
	v_lshlrev_b32_e32 v45, 21, v45
	v_or3_b32 v45, v46, v47, v45
.LBB4_619:                              ;   in Loop: Header=BB4_130 Depth=2
	s_or_b32 exec_lo, exec_lo, s29
	v_cmp_gt_i16_sdwa s29, v21, v112 src0_sel:BYTE_1 src1_sel:DWORD
	s_mov_b32 s13, 0
	s_and_saveexec_b32 s40, s29
	s_xor_b32 s29, exec_lo, s40
	s_cbranch_execz .LBB4_1390
; %bb.620:                              ;   in Loop: Header=BB4_130 Depth=2
	v_cmp_eq_u16_sdwa s41, v21, v113 src0_sel:BYTE_1 src1_sel:DWORD
	s_mov_b32 s13, -1
	s_and_saveexec_b32 s40, s41
; %bb.621:                              ;   in Loop: Header=BB4_130 Depth=2
	s_xor_b32 s13, exec_lo, -1
; %bb.622:                              ;   in Loop: Header=BB4_130 Depth=2
	s_or_b32 exec_lo, exec_lo, s40
	s_and_b32 s13, s13, exec_lo
	s_or_saveexec_b32 s29, s29
	v_mov_b32_e32 v46, 0x7f800001
	s_xor_b32 exec_lo, exec_lo, s29
	s_cbranch_execnz .LBB4_1391
.LBB4_623:                              ;   in Loop: Header=BB4_130 Depth=2
	s_or_b32 exec_lo, exec_lo, s29
	s_and_saveexec_b32 s29, s13
	s_cbranch_execz .LBB4_625
.LBB4_624:                              ;   in Loop: Header=BB4_130 Depth=2
	v_and_b32_sdwa v46, v114, v21 dst_sel:DWORD dst_unused:UNUSED_PAD src0_sel:DWORD src1_sel:BYTE_1
	v_and_b32_e32 v47, 3, v46
	v_bfe_u32 v58, v46, 2, 5
	v_ffbh_u32_e32 v56, v47
	v_cmp_eq_u32_e32 vcc_lo, 0, v58
	v_min_u32_e32 v56, 32, v56
	v_subrev_nc_u32_e32 v57, 29, v56
	v_sub_nc_u32_e32 v56, 30, v56
	v_lshlrev_b32_e32 v46, v57, v46
	v_lshlrev_b32_e32 v57, 16, v21
	v_cndmask_b32_e32 v56, v58, v56, vcc_lo
	v_and_b32_e32 v46, 3, v46
	v_lshl_add_u32 v56, v56, 23, 0x37800000
	v_cndmask_b32_e32 v46, v47, v46, vcc_lo
	v_and_b32_e32 v47, 0x80000000, v57
	v_lshlrev_b32_e32 v46, 21, v46
	v_or3_b32 v46, v47, v56, v46
.LBB4_625:                              ;   in Loop: Header=BB4_130 Depth=2
	s_or_b32 exec_lo, exec_lo, s29
	v_max_f32_e32 v46, v46, v46
	v_max_f32_e32 v45, v45, v45
	v_min_f32_e32 v46, v45, v46
.LBB4_626:                              ;   in Loop: Header=BB4_130 Depth=2
	v_and_b32_e32 v45, 0x7f800000, v46
	v_cmp_ne_u32_e32 vcc_lo, 0x7f800000, v45
	v_mov_b32_e32 v45, 0x8000
	s_and_saveexec_b32 s29, vcc_lo
	s_cbranch_execz .LBB4_634
; %bb.627:                              ;   in Loop: Header=BB4_130 Depth=2
	v_mov_b32_e32 v45, 0
	s_mov_b32 s40, exec_lo
	v_cmpx_ne_u32_e32 0, v46
	s_cbranch_execz .LBB4_633
; %bb.628:                              ;   in Loop: Header=BB4_130 Depth=2
	v_bfe_u32 v45, v46, 23, 8
	v_and_b32_e32 v47, 0x7fffff, v46
	v_sub_nc_u32_e32 v56, 0x70, v45
	v_cmp_gt_u32_e32 vcc_lo, 0x71, v45
	v_or_b32_e32 v57, 0x800000, v47
	v_cndmask_b32_e32 v56, 0, v56, vcc_lo
	v_cmp_eq_u32_e32 vcc_lo, 0, v45
	v_add_nc_u32_e32 v45, 0xffffff91, v45
	v_cndmask_b32_e64 v56, v56, 0x6f, vcc_lo
	v_cndmask_b32_e32 v47, v57, v47, vcc_lo
	v_cndmask_b32_e64 v45, v45, 0xffffff92, vcc_lo
	v_lshl_add_u32 v57, 0x200000, v56, -1
	v_lshrrev_b32_e32 v58, v56, v47
	v_lshlrev_b32_e64 v60, v56, 0x100000
	v_add_nc_u32_e32 v56, v56, v45
	v_and_b32_e32 v47, v57, v47
	v_bfe_u32 v59, v58, 21, 1
	v_cmp_eq_u32_e64 s13, v47, v60
	v_add_nc_u32_e32 v57, -1, v59
	v_cndmask_b32_e64 v47, 0, v57, s13
	v_lshrrev_b32_e32 v57, 23, v58
	s_mov_b32 s13, exec_lo
	v_add_nc_u32_e32 v47, v47, v58
	v_xor_b32_e32 v57, 1, v57
	v_and_b32_e32 v45, 0x1fffff, v47
	v_add_nc_u32_e32 v47, v45, v58
                                        ; implicit-def: $vgpr45
	v_cmpx_ne_u32_e64 v56, v57
	s_xor_b32 s13, exec_lo, s13
; %bb.629:                              ;   in Loop: Header=BB4_130 Depth=2
	v_cmp_lt_u32_e32 vcc_lo, 0xffffff, v47
	v_sub_nc_u32_e32 v45, v56, v57
	v_cndmask_b32_e64 v56, 0, 1, vcc_lo
	v_add_co_ci_u32_e64 v45, null, 0, v45, vcc_lo
	v_lshrrev_b32_e32 v47, v56, v47
; %bb.630:                              ;   in Loop: Header=BB4_130 Depth=2
	s_andn2_saveexec_b32 s13, s13
; %bb.631:                              ;   in Loop: Header=BB4_130 Depth=2
	v_bfe_u32 v45, v47, 23, 1
; %bb.632:                              ;   in Loop: Header=BB4_130 Depth=2
	s_or_b32 exec_lo, exec_lo, s13
	v_lshrrev_b32_e32 v47, 21, v47
	v_min_i32_e32 v56, 31, v45
	v_cmp_gt_i32_e32 vcc_lo, 32, v45
	v_and_b32_sdwa v46, v46, v113 dst_sel:DWORD dst_unused:UNUSED_PAD src0_sel:BYTE_3 src1_sel:DWORD
	v_lshlrev_b32_e32 v56, 2, v56
	v_cndmask_b32_e32 v47, 3, v47, vcc_lo
	v_and_b32_e32 v56, 0xfc, v56
	v_and_b32_e32 v57, 3, v47
	v_or_b32_e32 v45, v45, v47
	v_or3_b32 v46, v46, v56, v57
	v_cmp_ne_u32_e32 vcc_lo, 0, v45
	v_lshlrev_b32_e32 v46, 8, v46
	v_cndmask_b32_e32 v45, 0, v46, vcc_lo
.LBB4_633:                              ;   in Loop: Header=BB4_130 Depth=2
	s_or_b32 exec_lo, exec_lo, s40
.LBB4_634:                              ;   in Loop: Header=BB4_130 Depth=2
	s_or_b32 exec_lo, exec_lo, s29
	v_and_b32_sdwa v46, v25, v115 dst_sel:DWORD dst_unused:UNUSED_PAD src0_sel:WORD_1 src1_sel:DWORD
	s_and_b32 vcc_lo, exec_lo, s28
	s_mov_b32 s29, -1
                                        ; implicit-def: $vgpr47
	v_cmp_lt_i16_e64 s13, 0x7f, v46
	s_cbranch_vccz .LBB4_648
; %bb.635:                              ;   in Loop: Header=BB4_130 Depth=2
	s_mov_b32 s29, 0
	s_and_saveexec_b32 s40, s13
	s_xor_b32 s13, exec_lo, s40
	s_cbranch_execz .LBB4_1392
; %bb.636:                              ;   in Loop: Header=BB4_130 Depth=2
	s_mov_b32 s29, -1
	s_mov_b32 s40, exec_lo
	v_cmpx_eq_u16_e32 0x80, v46
; %bb.637:                              ;   in Loop: Header=BB4_130 Depth=2
	s_xor_b32 s29, exec_lo, -1
; %bb.638:                              ;   in Loop: Header=BB4_130 Depth=2
	s_or_b32 exec_lo, exec_lo, s40
	s_and_b32 s29, s29, exec_lo
	s_or_saveexec_b32 s13, s13
	v_mov_b32_e32 v47, 0x7f800001
	s_xor_b32 exec_lo, exec_lo, s13
	s_cbranch_execnz .LBB4_1393
.LBB4_639:                              ;   in Loop: Header=BB4_130 Depth=2
	s_or_b32 exec_lo, exec_lo, s13
	s_and_saveexec_b32 s13, s29
	s_cbranch_execz .LBB4_641
.LBB4_640:                              ;   in Loop: Header=BB4_130 Depth=2
	v_bfe_u32 v47, v25, 16, 2
	v_bfe_u32 v58, v25, 18, 5
	v_lshlrev_b32_sdwa v59, v116, v25 dst_sel:DWORD dst_unused:UNUSED_PAD src0_sel:DWORD src1_sel:WORD_1
	v_ffbh_u32_e32 v56, v47
	v_cmp_eq_u32_e32 vcc_lo, 0, v58
	v_min_u32_e32 v56, 32, v56
	v_subrev_nc_u32_e32 v57, 29, v56
	v_sub_nc_u32_e32 v56, 30, v56
	v_lshlrev_b32_sdwa v57, v57, v25 dst_sel:DWORD dst_unused:UNUSED_PAD src0_sel:DWORD src1_sel:WORD_1
	v_cndmask_b32_e32 v56, v58, v56, vcc_lo
	v_and_b32_e32 v57, 3, v57
	v_lshl_add_u32 v56, v56, 23, 0x37800000
	v_cndmask_b32_e32 v47, v47, v57, vcc_lo
	v_and_b32_e32 v57, 0x80000000, v59
	v_lshlrev_b32_e32 v47, 21, v47
	v_or3_b32 v47, v57, v56, v47
.LBB4_641:                              ;   in Loop: Header=BB4_130 Depth=2
	s_or_b32 exec_lo, exec_lo, s13
	v_and_b32_sdwa v57, v21, v115 dst_sel:DWORD dst_unused:UNUSED_PAD src0_sel:WORD_1 src1_sel:DWORD
	s_mov_b32 s13, 0
	s_mov_b32 s29, exec_lo
	v_cmpx_lt_i16_e32 0x7f, v57
	s_xor_b32 s29, exec_lo, s29
	s_cbranch_execz .LBB4_1394
; %bb.642:                              ;   in Loop: Header=BB4_130 Depth=2
	s_mov_b32 s13, -1
	s_mov_b32 s40, exec_lo
	v_cmpx_eq_u16_e32 0x80, v57
; %bb.643:                              ;   in Loop: Header=BB4_130 Depth=2
	s_xor_b32 s13, exec_lo, -1
; %bb.644:                              ;   in Loop: Header=BB4_130 Depth=2
	s_or_b32 exec_lo, exec_lo, s40
	s_and_b32 s13, s13, exec_lo
                                        ; implicit-def: $vgpr57
	s_or_saveexec_b32 s29, s29
	v_mov_b32_e32 v56, 0x7f800001
	s_xor_b32 exec_lo, exec_lo, s29
	s_cbranch_execnz .LBB4_1395
.LBB4_645:                              ;   in Loop: Header=BB4_130 Depth=2
	s_or_b32 exec_lo, exec_lo, s29
	s_and_saveexec_b32 s29, s13
	s_cbranch_execz .LBB4_647
.LBB4_646:                              ;   in Loop: Header=BB4_130 Depth=2
	v_bfe_u32 v56, v21, 16, 2
	v_bfe_u32 v59, v21, 18, 5
	v_lshlrev_b32_sdwa v60, v116, v21 dst_sel:DWORD dst_unused:UNUSED_PAD src0_sel:DWORD src1_sel:WORD_1
	v_ffbh_u32_e32 v57, v56
	v_cmp_eq_u32_e32 vcc_lo, 0, v59
	v_min_u32_e32 v57, 32, v57
	v_subrev_nc_u32_e32 v58, 29, v57
	v_sub_nc_u32_e32 v57, 30, v57
	v_lshlrev_b32_sdwa v58, v58, v21 dst_sel:DWORD dst_unused:UNUSED_PAD src0_sel:DWORD src1_sel:WORD_1
	v_cndmask_b32_e32 v57, v59, v57, vcc_lo
	v_and_b32_e32 v58, 3, v58
	v_lshl_add_u32 v57, v57, 23, 0x37800000
	v_cndmask_b32_e32 v56, v56, v58, vcc_lo
	v_and_b32_e32 v58, 0x80000000, v60
	v_lshlrev_b32_e32 v56, 21, v56
	v_or3_b32 v56, v58, v57, v56
.LBB4_647:                              ;   in Loop: Header=BB4_130 Depth=2
	s_or_b32 exec_lo, exec_lo, s29
	v_max_f32_e32 v56, v56, v56
	v_max_f32_e32 v47, v47, v47
	s_mov_b32 s29, 0
	v_max_f32_e32 v47, v47, v56
.LBB4_648:                              ;   in Loop: Header=BB4_130 Depth=2
	s_and_b32 vcc_lo, exec_lo, s29
	s_cbranch_vccz .LBB4_662
; %bb.649:                              ;   in Loop: Header=BB4_130 Depth=2
	s_mov_b32 s13, 0
	s_mov_b32 s29, exec_lo
	v_cmpx_lt_i16_e32 0x7f, v46
	s_xor_b32 s29, exec_lo, s29
	s_cbranch_execz .LBB4_1396
; %bb.650:                              ;   in Loop: Header=BB4_130 Depth=2
	s_mov_b32 s13, -1
	s_mov_b32 s40, exec_lo
	v_cmpx_eq_u16_e32 0x80, v46
; %bb.651:                              ;   in Loop: Header=BB4_130 Depth=2
	s_xor_b32 s13, exec_lo, -1
; %bb.652:                              ;   in Loop: Header=BB4_130 Depth=2
	s_or_b32 exec_lo, exec_lo, s40
	s_and_b32 s13, s13, exec_lo
                                        ; implicit-def: $vgpr46
	s_or_saveexec_b32 s29, s29
	v_mov_b32_e32 v47, 0x7f800001
	s_xor_b32 exec_lo, exec_lo, s29
	s_cbranch_execnz .LBB4_1397
.LBB4_653:                              ;   in Loop: Header=BB4_130 Depth=2
	s_or_b32 exec_lo, exec_lo, s29
	s_and_saveexec_b32 s29, s13
	s_cbranch_execz .LBB4_655
.LBB4_654:                              ;   in Loop: Header=BB4_130 Depth=2
	v_bfe_u32 v46, v25, 16, 2
	v_bfe_u32 v57, v25, 18, 5
	v_lshlrev_b32_sdwa v58, v116, v25 dst_sel:DWORD dst_unused:UNUSED_PAD src0_sel:DWORD src1_sel:WORD_1
	v_ffbh_u32_e32 v47, v46
	v_cmp_eq_u32_e32 vcc_lo, 0, v57
	v_min_u32_e32 v47, 32, v47
	v_subrev_nc_u32_e32 v56, 29, v47
	v_sub_nc_u32_e32 v47, 30, v47
	v_lshlrev_b32_sdwa v56, v56, v25 dst_sel:DWORD dst_unused:UNUSED_PAD src0_sel:DWORD src1_sel:WORD_1
	v_cndmask_b32_e32 v47, v57, v47, vcc_lo
	v_and_b32_e32 v56, 3, v56
	v_lshl_add_u32 v47, v47, 23, 0x37800000
	v_cndmask_b32_e32 v46, v46, v56, vcc_lo
	v_and_b32_e32 v56, 0x80000000, v58
	v_lshlrev_b32_e32 v46, 21, v46
	v_or3_b32 v47, v56, v47, v46
.LBB4_655:                              ;   in Loop: Header=BB4_130 Depth=2
	s_or_b32 exec_lo, exec_lo, s29
	v_and_b32_sdwa v56, v21, v115 dst_sel:DWORD dst_unused:UNUSED_PAD src0_sel:WORD_1 src1_sel:DWORD
	s_mov_b32 s13, 0
	s_mov_b32 s29, exec_lo
	v_cmpx_lt_i16_e32 0x7f, v56
	s_xor_b32 s29, exec_lo, s29
	s_cbranch_execz .LBB4_1398
; %bb.656:                              ;   in Loop: Header=BB4_130 Depth=2
	s_mov_b32 s13, -1
	s_mov_b32 s40, exec_lo
	v_cmpx_eq_u16_e32 0x80, v56
; %bb.657:                              ;   in Loop: Header=BB4_130 Depth=2
	s_xor_b32 s13, exec_lo, -1
; %bb.658:                              ;   in Loop: Header=BB4_130 Depth=2
	s_or_b32 exec_lo, exec_lo, s40
	s_and_b32 s13, s13, exec_lo
                                        ; implicit-def: $vgpr56
	s_or_saveexec_b32 s29, s29
	v_mov_b32_e32 v46, 0x7f800001
	s_xor_b32 exec_lo, exec_lo, s29
	s_cbranch_execnz .LBB4_1399
.LBB4_659:                              ;   in Loop: Header=BB4_130 Depth=2
	s_or_b32 exec_lo, exec_lo, s29
	s_and_saveexec_b32 s29, s13
	s_cbranch_execz .LBB4_661
.LBB4_660:                              ;   in Loop: Header=BB4_130 Depth=2
	v_bfe_u32 v46, v21, 16, 2
	v_bfe_u32 v58, v21, 18, 5
	v_lshlrev_b32_sdwa v59, v116, v21 dst_sel:DWORD dst_unused:UNUSED_PAD src0_sel:DWORD src1_sel:WORD_1
	v_ffbh_u32_e32 v56, v46
	v_cmp_eq_u32_e32 vcc_lo, 0, v58
	v_min_u32_e32 v56, 32, v56
	v_subrev_nc_u32_e32 v57, 29, v56
	v_sub_nc_u32_e32 v56, 30, v56
	v_lshlrev_b32_sdwa v57, v57, v21 dst_sel:DWORD dst_unused:UNUSED_PAD src0_sel:DWORD src1_sel:WORD_1
	v_cndmask_b32_e32 v56, v58, v56, vcc_lo
	v_and_b32_e32 v57, 3, v57
	v_lshl_add_u32 v56, v56, 23, 0x37800000
	v_cndmask_b32_e32 v46, v46, v57, vcc_lo
	v_and_b32_e32 v57, 0x80000000, v59
	v_lshlrev_b32_e32 v46, 21, v46
	v_or3_b32 v46, v57, v56, v46
.LBB4_661:                              ;   in Loop: Header=BB4_130 Depth=2
	s_or_b32 exec_lo, exec_lo, s29
	v_max_f32_e32 v46, v46, v46
	v_max_f32_e32 v47, v47, v47
	v_min_f32_e32 v47, v47, v46
.LBB4_662:                              ;   in Loop: Header=BB4_130 Depth=2
	v_and_b32_e32 v46, 0x7f800000, v47
	v_cmp_ne_u32_e32 vcc_lo, 0x7f800000, v46
	v_mov_b32_e32 v46, 0x80
	s_and_saveexec_b32 s29, vcc_lo
	s_cbranch_execz .LBB4_670
; %bb.663:                              ;   in Loop: Header=BB4_130 Depth=2
	v_mov_b32_e32 v46, 0
	s_mov_b32 s40, exec_lo
	v_cmpx_ne_u32_e32 0, v47
	s_cbranch_execz .LBB4_669
; %bb.664:                              ;   in Loop: Header=BB4_130 Depth=2
	v_bfe_u32 v46, v47, 23, 8
	v_and_b32_e32 v56, 0x7fffff, v47
	v_sub_nc_u32_e32 v57, 0x70, v46
	v_cmp_gt_u32_e32 vcc_lo, 0x71, v46
	v_or_b32_e32 v58, 0x800000, v56
	v_cndmask_b32_e32 v57, 0, v57, vcc_lo
	v_cmp_eq_u32_e32 vcc_lo, 0, v46
	v_add_nc_u32_e32 v46, 0xffffff91, v46
	v_cndmask_b32_e64 v57, v57, 0x6f, vcc_lo
	v_cndmask_b32_e32 v56, v58, v56, vcc_lo
	v_cndmask_b32_e64 v46, v46, 0xffffff92, vcc_lo
	v_lshl_add_u32 v58, 0x200000, v57, -1
	v_lshrrev_b32_e32 v59, v57, v56
	v_lshlrev_b32_e64 v61, v57, 0x100000
	v_add_nc_u32_e32 v57, v57, v46
	v_and_b32_e32 v56, v58, v56
	v_bfe_u32 v60, v59, 21, 1
	v_cmp_eq_u32_e64 s13, v56, v61
	v_add_nc_u32_e32 v58, -1, v60
	v_cndmask_b32_e64 v56, 0, v58, s13
	v_lshrrev_b32_e32 v58, 23, v59
	s_mov_b32 s13, exec_lo
	v_add_nc_u32_e32 v56, v56, v59
	v_xor_b32_e32 v58, 1, v58
	v_and_b32_e32 v46, 0x1fffff, v56
	v_add_nc_u32_e32 v56, v46, v59
                                        ; implicit-def: $vgpr46
	v_cmpx_ne_u32_e64 v57, v58
	s_xor_b32 s13, exec_lo, s13
; %bb.665:                              ;   in Loop: Header=BB4_130 Depth=2
	v_cmp_lt_u32_e32 vcc_lo, 0xffffff, v56
	v_sub_nc_u32_e32 v46, v57, v58
	v_cndmask_b32_e64 v57, 0, 1, vcc_lo
	v_add_co_ci_u32_e64 v46, null, 0, v46, vcc_lo
	v_lshrrev_b32_e32 v56, v57, v56
; %bb.666:                              ;   in Loop: Header=BB4_130 Depth=2
	s_andn2_saveexec_b32 s13, s13
; %bb.667:                              ;   in Loop: Header=BB4_130 Depth=2
	v_bfe_u32 v46, v56, 23, 1
; %bb.668:                              ;   in Loop: Header=BB4_130 Depth=2
	s_or_b32 exec_lo, exec_lo, s13
	v_lshrrev_b32_e32 v56, 21, v56
	v_min_i32_e32 v57, 31, v46
	v_cmp_gt_i32_e32 vcc_lo, 32, v46
	v_and_b32_sdwa v47, v47, v113 dst_sel:DWORD dst_unused:UNUSED_PAD src0_sel:BYTE_3 src1_sel:DWORD
	v_lshlrev_b32_e32 v57, 2, v57
	v_cndmask_b32_e32 v56, 3, v56, vcc_lo
	v_and_b32_e32 v57, 0xfc, v57
	v_and_b32_e32 v58, 3, v56
	v_or_b32_e32 v46, v46, v56
	v_or3_b32 v47, v57, v47, v58
	v_cmp_ne_u32_e32 vcc_lo, 0, v46
	v_cndmask_b32_e32 v46, 0, v47, vcc_lo
.LBB4_669:                              ;   in Loop: Header=BB4_130 Depth=2
	s_or_b32 exec_lo, exec_lo, s40
.LBB4_670:                              ;   in Loop: Header=BB4_130 Depth=2
	s_or_b32 exec_lo, exec_lo, s29
	v_cmp_gt_i16_sdwa s29, v25, v112 src0_sel:BYTE_3 src1_sel:DWORD
	s_and_b32 vcc_lo, exec_lo, s28
	s_mov_b32 s13, -1
                                        ; implicit-def: $vgpr47
	s_cbranch_vccz .LBB4_684
; %bb.671:                              ;   in Loop: Header=BB4_130 Depth=2
	s_mov_b32 s13, 0
	s_and_saveexec_b32 s40, s29
	s_xor_b32 s29, exec_lo, s40
	s_cbranch_execz .LBB4_1400
; %bb.672:                              ;   in Loop: Header=BB4_130 Depth=2
	v_cmp_eq_u16_sdwa s41, v25, v113 src0_sel:BYTE_3 src1_sel:DWORD
	s_mov_b32 s13, -1
	s_and_saveexec_b32 s40, s41
; %bb.673:                              ;   in Loop: Header=BB4_130 Depth=2
	s_xor_b32 s13, exec_lo, -1
; %bb.674:                              ;   in Loop: Header=BB4_130 Depth=2
	s_or_b32 exec_lo, exec_lo, s40
	s_and_b32 s13, s13, exec_lo
	s_or_saveexec_b32 s29, s29
	v_mov_b32_e32 v47, 0x7f800001
	s_xor_b32 exec_lo, exec_lo, s29
	s_cbranch_execnz .LBB4_1401
.LBB4_675:                              ;   in Loop: Header=BB4_130 Depth=2
	s_or_b32 exec_lo, exec_lo, s29
	s_and_saveexec_b32 s29, s13
	s_cbranch_execz .LBB4_677
.LBB4_676:                              ;   in Loop: Header=BB4_130 Depth=2
	v_bfe_u32 v47, v25, 24, 2
	v_bfe_u32 v58, v25, 26, 5
	v_ffbh_u32_e32 v56, v47
	v_cmp_eq_u32_e32 vcc_lo, 0, v58
	v_min_u32_e32 v56, 32, v56
	v_subrev_nc_u32_e32 v57, 29, v56
	v_sub_nc_u32_e32 v56, 30, v56
	v_lshlrev_b32_sdwa v57, v57, v25 dst_sel:DWORD dst_unused:UNUSED_PAD src0_sel:DWORD src1_sel:BYTE_3
	v_cndmask_b32_e32 v56, v58, v56, vcc_lo
	v_and_b32_e32 v57, 3, v57
	v_lshl_add_u32 v56, v56, 23, 0x37800000
	v_cndmask_b32_e32 v47, v47, v57, vcc_lo
	v_and_b32_e32 v57, 0x80000000, v25
	v_lshlrev_b32_e32 v47, 21, v47
	v_or3_b32 v47, v57, v56, v47
.LBB4_677:                              ;   in Loop: Header=BB4_130 Depth=2
	s_or_b32 exec_lo, exec_lo, s29
	v_cmp_gt_i16_sdwa s29, v21, v112 src0_sel:BYTE_3 src1_sel:DWORD
	s_mov_b32 s13, 0
	s_and_saveexec_b32 s40, s29
	s_xor_b32 s29, exec_lo, s40
	s_cbranch_execz .LBB4_1402
; %bb.678:                              ;   in Loop: Header=BB4_130 Depth=2
	v_cmp_eq_u16_sdwa s41, v21, v113 src0_sel:BYTE_3 src1_sel:DWORD
	s_mov_b32 s13, -1
	s_and_saveexec_b32 s40, s41
; %bb.679:                              ;   in Loop: Header=BB4_130 Depth=2
	s_xor_b32 s13, exec_lo, -1
; %bb.680:                              ;   in Loop: Header=BB4_130 Depth=2
	s_or_b32 exec_lo, exec_lo, s40
	s_and_b32 s13, s13, exec_lo
	s_or_saveexec_b32 s29, s29
	v_mov_b32_e32 v56, 0x7f800001
	s_xor_b32 exec_lo, exec_lo, s29
	s_cbranch_execnz .LBB4_1403
.LBB4_681:                              ;   in Loop: Header=BB4_130 Depth=2
	s_or_b32 exec_lo, exec_lo, s29
	s_and_saveexec_b32 s29, s13
	s_cbranch_execz .LBB4_683
.LBB4_682:                              ;   in Loop: Header=BB4_130 Depth=2
	v_bfe_u32 v56, v21, 24, 2
	v_bfe_u32 v59, v21, 26, 5
	v_ffbh_u32_e32 v57, v56
	v_cmp_eq_u32_e32 vcc_lo, 0, v59
	v_min_u32_e32 v57, 32, v57
	v_subrev_nc_u32_e32 v58, 29, v57
	v_sub_nc_u32_e32 v57, 30, v57
	v_lshlrev_b32_sdwa v58, v58, v21 dst_sel:DWORD dst_unused:UNUSED_PAD src0_sel:DWORD src1_sel:BYTE_3
	v_cndmask_b32_e32 v57, v59, v57, vcc_lo
	v_and_b32_e32 v58, 3, v58
	v_lshl_add_u32 v57, v57, 23, 0x37800000
	v_cndmask_b32_e32 v56, v56, v58, vcc_lo
	v_and_b32_e32 v58, 0x80000000, v21
	v_lshlrev_b32_e32 v56, 21, v56
	v_or3_b32 v56, v58, v57, v56
.LBB4_683:                              ;   in Loop: Header=BB4_130 Depth=2
	s_or_b32 exec_lo, exec_lo, s29
	v_max_f32_e32 v56, v56, v56
	v_max_f32_e32 v47, v47, v47
	s_mov_b32 s13, 0
	v_max_f32_e32 v47, v47, v56
.LBB4_684:                              ;   in Loop: Header=BB4_130 Depth=2
	s_and_b32 vcc_lo, exec_lo, s13
	s_cbranch_vccz .LBB4_698
; %bb.685:                              ;   in Loop: Header=BB4_130 Depth=2
	v_cmp_gt_i16_sdwa s29, v25, v112 src0_sel:BYTE_3 src1_sel:DWORD
	s_mov_b32 s13, 0
	s_and_saveexec_b32 s40, s29
	s_xor_b32 s29, exec_lo, s40
	s_cbranch_execz .LBB4_1404
; %bb.686:                              ;   in Loop: Header=BB4_130 Depth=2
	v_cmp_eq_u16_sdwa s41, v25, v113 src0_sel:BYTE_3 src1_sel:DWORD
	s_mov_b32 s13, -1
	s_and_saveexec_b32 s40, s41
; %bb.687:                              ;   in Loop: Header=BB4_130 Depth=2
	s_xor_b32 s13, exec_lo, -1
; %bb.688:                              ;   in Loop: Header=BB4_130 Depth=2
	s_or_b32 exec_lo, exec_lo, s40
	s_and_b32 s13, s13, exec_lo
	s_or_saveexec_b32 s29, s29
	v_mov_b32_e32 v47, 0x7f800001
	s_xor_b32 exec_lo, exec_lo, s29
	s_cbranch_execnz .LBB4_1405
.LBB4_689:                              ;   in Loop: Header=BB4_130 Depth=2
	s_or_b32 exec_lo, exec_lo, s29
	s_and_saveexec_b32 s29, s13
	s_cbranch_execz .LBB4_691
.LBB4_690:                              ;   in Loop: Header=BB4_130 Depth=2
	v_bfe_u32 v47, v25, 24, 2
	v_bfe_u32 v58, v25, 26, 5
	v_ffbh_u32_e32 v56, v47
	v_cmp_eq_u32_e32 vcc_lo, 0, v58
	v_min_u32_e32 v56, 32, v56
	v_subrev_nc_u32_e32 v57, 29, v56
	v_sub_nc_u32_e32 v56, 30, v56
	v_lshlrev_b32_sdwa v57, v57, v25 dst_sel:DWORD dst_unused:UNUSED_PAD src0_sel:DWORD src1_sel:BYTE_3
	v_cndmask_b32_e32 v56, v58, v56, vcc_lo
	v_and_b32_e32 v25, 0x80000000, v25
	v_and_b32_e32 v57, 3, v57
	v_lshl_add_u32 v56, v56, 23, 0x37800000
	v_cndmask_b32_e32 v47, v47, v57, vcc_lo
	v_lshlrev_b32_e32 v47, 21, v47
	v_or3_b32 v47, v25, v56, v47
.LBB4_691:                              ;   in Loop: Header=BB4_130 Depth=2
	s_or_b32 exec_lo, exec_lo, s29
	v_cmp_gt_i16_sdwa s29, v21, v112 src0_sel:BYTE_3 src1_sel:DWORD
	s_mov_b32 s13, 0
	s_and_saveexec_b32 s40, s29
	s_xor_b32 s29, exec_lo, s40
	s_cbranch_execz .LBB4_1406
; %bb.692:                              ;   in Loop: Header=BB4_130 Depth=2
	v_cmp_eq_u16_sdwa s41, v21, v113 src0_sel:BYTE_3 src1_sel:DWORD
	s_mov_b32 s13, -1
	s_and_saveexec_b32 s40, s41
; %bb.693:                              ;   in Loop: Header=BB4_130 Depth=2
	s_xor_b32 s13, exec_lo, -1
; %bb.694:                              ;   in Loop: Header=BB4_130 Depth=2
	s_or_b32 exec_lo, exec_lo, s40
	s_and_b32 s13, s13, exec_lo
	s_or_saveexec_b32 s29, s29
	v_mov_b32_e32 v25, 0x7f800001
	s_xor_b32 exec_lo, exec_lo, s29
	s_cbranch_execnz .LBB4_1407
.LBB4_695:                              ;   in Loop: Header=BB4_130 Depth=2
	s_or_b32 exec_lo, exec_lo, s29
	s_and_saveexec_b32 s29, s13
	s_cbranch_execz .LBB4_697
.LBB4_696:                              ;   in Loop: Header=BB4_130 Depth=2
	v_bfe_u32 v25, v21, 24, 2
	v_bfe_u32 v58, v21, 26, 5
	v_ffbh_u32_e32 v56, v25
	v_cmp_eq_u32_e32 vcc_lo, 0, v58
	v_min_u32_e32 v56, 32, v56
	v_subrev_nc_u32_e32 v57, 29, v56
	v_sub_nc_u32_e32 v56, 30, v56
	v_lshlrev_b32_sdwa v57, v57, v21 dst_sel:DWORD dst_unused:UNUSED_PAD src0_sel:DWORD src1_sel:BYTE_3
	v_cndmask_b32_e32 v56, v58, v56, vcc_lo
	v_and_b32_e32 v21, 0x80000000, v21
	v_and_b32_e32 v57, 3, v57
	v_lshl_add_u32 v56, v56, 23, 0x37800000
	v_cndmask_b32_e32 v25, v25, v57, vcc_lo
	v_lshlrev_b32_e32 v25, 21, v25
	v_or3_b32 v25, v21, v56, v25
.LBB4_697:                              ;   in Loop: Header=BB4_130 Depth=2
	s_or_b32 exec_lo, exec_lo, s29
	v_max_f32_e32 v21, v25, v25
	v_max_f32_e32 v25, v47, v47
	v_min_f32_e32 v47, v25, v21
.LBB4_698:                              ;   in Loop: Header=BB4_130 Depth=2
	v_and_b32_e32 v21, 0x7f800000, v47
	v_cmp_ne_u32_e32 vcc_lo, 0x7f800000, v21
	v_mov_b32_e32 v21, 0x8000
	s_and_saveexec_b32 s29, vcc_lo
	s_cbranch_execz .LBB4_706
; %bb.699:                              ;   in Loop: Header=BB4_130 Depth=2
	v_mov_b32_e32 v21, 0
	s_mov_b32 s40, exec_lo
	v_cmpx_ne_u32_e32 0, v47
	s_cbranch_execz .LBB4_705
; %bb.700:                              ;   in Loop: Header=BB4_130 Depth=2
	v_bfe_u32 v21, v47, 23, 8
	v_and_b32_e32 v25, 0x7fffff, v47
	v_sub_nc_u32_e32 v56, 0x70, v21
	v_cmp_gt_u32_e32 vcc_lo, 0x71, v21
	v_or_b32_e32 v57, 0x800000, v25
	v_cndmask_b32_e32 v56, 0, v56, vcc_lo
	v_cmp_eq_u32_e32 vcc_lo, 0, v21
	v_add_nc_u32_e32 v21, 0xffffff91, v21
	v_cndmask_b32_e64 v56, v56, 0x6f, vcc_lo
	v_cndmask_b32_e32 v25, v57, v25, vcc_lo
	v_cndmask_b32_e64 v21, v21, 0xffffff92, vcc_lo
	v_lshl_add_u32 v57, 0x200000, v56, -1
	v_lshrrev_b32_e32 v58, v56, v25
	v_lshlrev_b32_e64 v60, v56, 0x100000
	v_add_nc_u32_e32 v56, v56, v21
	v_and_b32_e32 v25, v57, v25
	v_bfe_u32 v59, v58, 21, 1
	v_cmp_eq_u32_e64 s13, v25, v60
	v_add_nc_u32_e32 v57, -1, v59
	v_cndmask_b32_e64 v25, 0, v57, s13
	v_lshrrev_b32_e32 v57, 23, v58
	s_mov_b32 s13, exec_lo
	v_add_nc_u32_e32 v25, v25, v58
	v_xor_b32_e32 v57, 1, v57
	v_and_b32_e32 v21, 0x1fffff, v25
	v_add_nc_u32_e32 v25, v21, v58
                                        ; implicit-def: $vgpr21
	v_cmpx_ne_u32_e64 v56, v57
	s_xor_b32 s13, exec_lo, s13
; %bb.701:                              ;   in Loop: Header=BB4_130 Depth=2
	v_cmp_lt_u32_e32 vcc_lo, 0xffffff, v25
	v_sub_nc_u32_e32 v21, v56, v57
	v_cndmask_b32_e64 v56, 0, 1, vcc_lo
	v_add_co_ci_u32_e64 v21, null, 0, v21, vcc_lo
	v_lshrrev_b32_e32 v25, v56, v25
; %bb.702:                              ;   in Loop: Header=BB4_130 Depth=2
	s_andn2_saveexec_b32 s13, s13
; %bb.703:                              ;   in Loop: Header=BB4_130 Depth=2
	v_bfe_u32 v21, v25, 23, 1
; %bb.704:                              ;   in Loop: Header=BB4_130 Depth=2
	s_or_b32 exec_lo, exec_lo, s13
	v_lshrrev_b32_e32 v25, 21, v25
	v_min_i32_e32 v56, 31, v21
	v_cmp_gt_i32_e32 vcc_lo, 32, v21
	v_and_b32_sdwa v47, v47, v113 dst_sel:DWORD dst_unused:UNUSED_PAD src0_sel:BYTE_3 src1_sel:DWORD
	v_lshlrev_b32_e32 v56, 2, v56
	v_cndmask_b32_e32 v25, 3, v25, vcc_lo
	v_and_b32_e32 v56, 0xfc, v56
	v_and_b32_e32 v57, 3, v25
	v_or_b32_e32 v21, v21, v25
	v_or3_b32 v47, v47, v56, v57
	v_cmp_ne_u32_e32 vcc_lo, 0, v21
	v_lshlrev_b32_e32 v25, 8, v47
	v_cndmask_b32_e32 v21, 0, v25, vcc_lo
.LBB4_705:                              ;   in Loop: Header=BB4_130 Depth=2
	s_or_b32 exec_lo, exec_lo, s40
.LBB4_706:                              ;   in Loop: Header=BB4_130 Depth=2
	s_or_b32 exec_lo, exec_lo, s29
	v_cmp_gt_i16_sdwa s29, v14, v112 src0_sel:BYTE_0 src1_sel:DWORD
	s_andn2_b32 vcc_lo, exec_lo, s28
	s_mov_b32 s13, -1
                                        ; implicit-def: $vgpr47
	s_cbranch_vccnz .LBB4_720
; %bb.707:                              ;   in Loop: Header=BB4_130 Depth=2
	s_mov_b32 s13, 0
	s_and_saveexec_b32 s40, s29
	s_xor_b32 s29, exec_lo, s40
	s_cbranch_execz .LBB4_1408
; %bb.708:                              ;   in Loop: Header=BB4_130 Depth=2
	v_cmp_eq_u16_sdwa s41, v14, v113 src0_sel:BYTE_0 src1_sel:DWORD
	s_mov_b32 s13, -1
	s_and_saveexec_b32 s40, s41
; %bb.709:                              ;   in Loop: Header=BB4_130 Depth=2
	s_xor_b32 s13, exec_lo, -1
; %bb.710:                              ;   in Loop: Header=BB4_130 Depth=2
	s_or_b32 exec_lo, exec_lo, s40
	s_and_b32 s13, s13, exec_lo
	s_or_saveexec_b32 s29, s29
	v_mov_b32_e32 v25, 0x7f800001
	s_xor_b32 exec_lo, exec_lo, s29
	s_cbranch_execnz .LBB4_1409
.LBB4_711:                              ;   in Loop: Header=BB4_130 Depth=2
	s_or_b32 exec_lo, exec_lo, s29
	s_and_saveexec_b32 s29, s13
	s_cbranch_execz .LBB4_713
.LBB4_712:                              ;   in Loop: Header=BB4_130 Depth=2
	v_and_b32_e32 v25, 3, v14
	v_bfe_u32 v57, v14, 2, 5
	v_lshlrev_b32_e32 v58, 24, v14
	v_ffbh_u32_e32 v47, v25
	v_cmp_eq_u32_e32 vcc_lo, 0, v57
	v_min_u32_e32 v47, 32, v47
	v_subrev_nc_u32_e32 v56, 29, v47
	v_sub_nc_u32_e32 v47, 30, v47
	v_lshlrev_b32_e32 v56, v56, v14
	v_cndmask_b32_e32 v47, v57, v47, vcc_lo
	v_and_b32_e32 v56, 3, v56
	v_lshl_add_u32 v47, v47, 23, 0x37800000
	v_cndmask_b32_e32 v25, v25, v56, vcc_lo
	v_and_b32_e32 v56, 0x80000000, v58
	v_lshlrev_b32_e32 v25, 21, v25
	v_or3_b32 v25, v56, v47, v25
.LBB4_713:                              ;   in Loop: Header=BB4_130 Depth=2
	s_or_b32 exec_lo, exec_lo, s29
	s_waitcnt vmcnt(0)
	v_cmp_gt_i16_sdwa s29, v10, v112 src0_sel:BYTE_0 src1_sel:DWORD
	s_mov_b32 s13, 0
	s_and_saveexec_b32 s40, s29
	s_xor_b32 s29, exec_lo, s40
	s_cbranch_execz .LBB4_1410
; %bb.714:                              ;   in Loop: Header=BB4_130 Depth=2
	v_cmp_eq_u16_sdwa s41, v10, v113 src0_sel:BYTE_0 src1_sel:DWORD
	s_mov_b32 s13, -1
	s_and_saveexec_b32 s40, s41
; %bb.715:                              ;   in Loop: Header=BB4_130 Depth=2
	s_xor_b32 s13, exec_lo, -1
; %bb.716:                              ;   in Loop: Header=BB4_130 Depth=2
	s_or_b32 exec_lo, exec_lo, s40
	s_and_b32 s13, s13, exec_lo
	s_or_saveexec_b32 s29, s29
	v_mov_b32_e32 v47, 0x7f800001
	s_xor_b32 exec_lo, exec_lo, s29
	s_cbranch_execnz .LBB4_1411
.LBB4_717:                              ;   in Loop: Header=BB4_130 Depth=2
	s_or_b32 exec_lo, exec_lo, s29
	s_and_saveexec_b32 s29, s13
	s_cbranch_execz .LBB4_719
.LBB4_718:                              ;   in Loop: Header=BB4_130 Depth=2
	v_and_b32_e32 v47, 3, v10
	v_bfe_u32 v58, v10, 2, 5
	v_lshlrev_b32_e32 v59, 24, v10
	v_ffbh_u32_e32 v56, v47
	v_cmp_eq_u32_e32 vcc_lo, 0, v58
	v_min_u32_e32 v56, 32, v56
	v_subrev_nc_u32_e32 v57, 29, v56
	v_sub_nc_u32_e32 v56, 30, v56
	v_lshlrev_b32_e32 v57, v57, v10
	v_cndmask_b32_e32 v56, v58, v56, vcc_lo
	v_and_b32_e32 v57, 3, v57
	v_lshl_add_u32 v56, v56, 23, 0x37800000
	v_cndmask_b32_e32 v47, v47, v57, vcc_lo
	v_and_b32_e32 v57, 0x80000000, v59
	v_lshlrev_b32_e32 v47, 21, v47
	v_or3_b32 v47, v57, v56, v47
.LBB4_719:                              ;   in Loop: Header=BB4_130 Depth=2
	s_or_b32 exec_lo, exec_lo, s29
	v_max_f32_e32 v47, v47, v47
	v_max_f32_e32 v25, v25, v25
	s_mov_b32 s13, 0
	v_max_f32_e32 v47, v25, v47
.LBB4_720:                              ;   in Loop: Header=BB4_130 Depth=2
	s_and_b32 vcc_lo, exec_lo, s13
	s_cbranch_vccz .LBB4_734
; %bb.721:                              ;   in Loop: Header=BB4_130 Depth=2
	v_cmp_gt_i16_sdwa s29, v14, v112 src0_sel:BYTE_0 src1_sel:DWORD
	s_mov_b32 s13, 0
	s_and_saveexec_b32 s40, s29
	s_xor_b32 s29, exec_lo, s40
	s_cbranch_execz .LBB4_1412
; %bb.722:                              ;   in Loop: Header=BB4_130 Depth=2
	v_cmp_eq_u16_sdwa s41, v14, v113 src0_sel:BYTE_0 src1_sel:DWORD
	s_mov_b32 s13, -1
	s_and_saveexec_b32 s40, s41
; %bb.723:                              ;   in Loop: Header=BB4_130 Depth=2
	s_xor_b32 s13, exec_lo, -1
; %bb.724:                              ;   in Loop: Header=BB4_130 Depth=2
	s_or_b32 exec_lo, exec_lo, s40
	s_and_b32 s13, s13, exec_lo
	s_or_saveexec_b32 s29, s29
	v_mov_b32_e32 v25, 0x7f800001
	s_xor_b32 exec_lo, exec_lo, s29
	s_cbranch_execnz .LBB4_1413
.LBB4_725:                              ;   in Loop: Header=BB4_130 Depth=2
	s_or_b32 exec_lo, exec_lo, s29
	s_and_saveexec_b32 s29, s13
	s_cbranch_execz .LBB4_727
.LBB4_726:                              ;   in Loop: Header=BB4_130 Depth=2
	v_and_b32_e32 v25, 3, v14
	v_bfe_u32 v57, v14, 2, 5
	v_lshlrev_b32_e32 v58, 24, v14
	v_ffbh_u32_e32 v47, v25
	v_cmp_eq_u32_e32 vcc_lo, 0, v57
	v_min_u32_e32 v47, 32, v47
	v_subrev_nc_u32_e32 v56, 29, v47
	v_sub_nc_u32_e32 v47, 30, v47
	v_lshlrev_b32_e32 v56, v56, v14
	v_cndmask_b32_e32 v47, v57, v47, vcc_lo
	v_and_b32_e32 v56, 3, v56
	v_lshl_add_u32 v47, v47, 23, 0x37800000
	v_cndmask_b32_e32 v25, v25, v56, vcc_lo
	v_and_b32_e32 v56, 0x80000000, v58
	v_lshlrev_b32_e32 v25, 21, v25
	v_or3_b32 v25, v56, v47, v25
.LBB4_727:                              ;   in Loop: Header=BB4_130 Depth=2
	s_or_b32 exec_lo, exec_lo, s29
	s_waitcnt vmcnt(0)
	v_cmp_gt_i16_sdwa s29, v10, v112 src0_sel:BYTE_0 src1_sel:DWORD
	s_mov_b32 s13, 0
	s_and_saveexec_b32 s40, s29
	s_xor_b32 s29, exec_lo, s40
	s_cbranch_execz .LBB4_1414
; %bb.728:                              ;   in Loop: Header=BB4_130 Depth=2
	v_cmp_eq_u16_sdwa s41, v10, v113 src0_sel:BYTE_0 src1_sel:DWORD
	s_mov_b32 s13, -1
	s_and_saveexec_b32 s40, s41
; %bb.729:                              ;   in Loop: Header=BB4_130 Depth=2
	s_xor_b32 s13, exec_lo, -1
; %bb.730:                              ;   in Loop: Header=BB4_130 Depth=2
	s_or_b32 exec_lo, exec_lo, s40
	s_and_b32 s13, s13, exec_lo
	s_or_saveexec_b32 s29, s29
	v_mov_b32_e32 v47, 0x7f800001
	s_xor_b32 exec_lo, exec_lo, s29
	s_cbranch_execnz .LBB4_1415
.LBB4_731:                              ;   in Loop: Header=BB4_130 Depth=2
	s_or_b32 exec_lo, exec_lo, s29
	s_and_saveexec_b32 s29, s13
	s_cbranch_execz .LBB4_733
.LBB4_732:                              ;   in Loop: Header=BB4_130 Depth=2
	v_and_b32_e32 v47, 3, v10
	v_bfe_u32 v58, v10, 2, 5
	v_lshlrev_b32_e32 v59, 24, v10
	v_ffbh_u32_e32 v56, v47
	v_cmp_eq_u32_e32 vcc_lo, 0, v58
	v_min_u32_e32 v56, 32, v56
	v_subrev_nc_u32_e32 v57, 29, v56
	v_sub_nc_u32_e32 v56, 30, v56
	v_lshlrev_b32_e32 v57, v57, v10
	v_cndmask_b32_e32 v56, v58, v56, vcc_lo
	v_and_b32_e32 v57, 3, v57
	v_lshl_add_u32 v56, v56, 23, 0x37800000
	v_cndmask_b32_e32 v47, v47, v57, vcc_lo
	v_and_b32_e32 v57, 0x80000000, v59
	v_lshlrev_b32_e32 v47, 21, v47
	v_or3_b32 v47, v57, v56, v47
.LBB4_733:                              ;   in Loop: Header=BB4_130 Depth=2
	s_or_b32 exec_lo, exec_lo, s29
	v_max_f32_e32 v47, v47, v47
	v_max_f32_e32 v25, v25, v25
	v_min_f32_e32 v47, v25, v47
.LBB4_734:                              ;   in Loop: Header=BB4_130 Depth=2
	v_and_b32_e32 v25, 0x7f800000, v47
	v_cmp_ne_u32_e32 vcc_lo, 0x7f800000, v25
	v_mov_b32_e32 v25, 0x80
	s_and_saveexec_b32 s29, vcc_lo
	s_cbranch_execz .LBB4_742
; %bb.735:                              ;   in Loop: Header=BB4_130 Depth=2
	v_mov_b32_e32 v25, 0
	s_mov_b32 s40, exec_lo
	v_cmpx_ne_u32_e32 0, v47
	s_cbranch_execz .LBB4_741
; %bb.736:                              ;   in Loop: Header=BB4_130 Depth=2
	v_bfe_u32 v25, v47, 23, 8
	v_and_b32_e32 v56, 0x7fffff, v47
	v_sub_nc_u32_e32 v57, 0x70, v25
	v_cmp_gt_u32_e32 vcc_lo, 0x71, v25
	v_or_b32_e32 v58, 0x800000, v56
	v_cndmask_b32_e32 v57, 0, v57, vcc_lo
	v_cmp_eq_u32_e32 vcc_lo, 0, v25
	v_add_nc_u32_e32 v25, 0xffffff91, v25
	v_cndmask_b32_e64 v57, v57, 0x6f, vcc_lo
	v_cndmask_b32_e32 v56, v58, v56, vcc_lo
	v_cndmask_b32_e64 v25, v25, 0xffffff92, vcc_lo
	v_lshl_add_u32 v58, 0x200000, v57, -1
	v_lshrrev_b32_e32 v59, v57, v56
	v_lshlrev_b32_e64 v61, v57, 0x100000
	v_add_nc_u32_e32 v57, v57, v25
	v_and_b32_e32 v56, v58, v56
	v_bfe_u32 v60, v59, 21, 1
	v_cmp_eq_u32_e64 s13, v56, v61
	v_add_nc_u32_e32 v58, -1, v60
	v_cndmask_b32_e64 v56, 0, v58, s13
	v_lshrrev_b32_e32 v58, 23, v59
	s_mov_b32 s13, exec_lo
	v_add_nc_u32_e32 v56, v56, v59
	v_xor_b32_e32 v58, 1, v58
	v_and_b32_e32 v25, 0x1fffff, v56
	v_add_nc_u32_e32 v56, v25, v59
                                        ; implicit-def: $vgpr25
	v_cmpx_ne_u32_e64 v57, v58
	s_xor_b32 s13, exec_lo, s13
; %bb.737:                              ;   in Loop: Header=BB4_130 Depth=2
	v_cmp_lt_u32_e32 vcc_lo, 0xffffff, v56
	v_sub_nc_u32_e32 v25, v57, v58
	v_cndmask_b32_e64 v57, 0, 1, vcc_lo
	v_add_co_ci_u32_e64 v25, null, 0, v25, vcc_lo
	v_lshrrev_b32_e32 v56, v57, v56
; %bb.738:                              ;   in Loop: Header=BB4_130 Depth=2
	s_andn2_saveexec_b32 s13, s13
; %bb.739:                              ;   in Loop: Header=BB4_130 Depth=2
	v_bfe_u32 v25, v56, 23, 1
; %bb.740:                              ;   in Loop: Header=BB4_130 Depth=2
	s_or_b32 exec_lo, exec_lo, s13
	v_lshrrev_b32_e32 v56, 21, v56
	v_min_i32_e32 v57, 31, v25
	v_cmp_gt_i32_e32 vcc_lo, 32, v25
	v_and_b32_sdwa v47, v47, v113 dst_sel:DWORD dst_unused:UNUSED_PAD src0_sel:BYTE_3 src1_sel:DWORD
	v_lshlrev_b32_e32 v57, 2, v57
	v_cndmask_b32_e32 v56, 3, v56, vcc_lo
	v_and_b32_e32 v57, 0xfc, v57
	v_and_b32_e32 v58, 3, v56
	v_or_b32_e32 v25, v25, v56
	v_or3_b32 v47, v57, v47, v58
	v_cmp_ne_u32_e32 vcc_lo, 0, v25
	v_cndmask_b32_e32 v25, 0, v47, vcc_lo
.LBB4_741:                              ;   in Loop: Header=BB4_130 Depth=2
	s_or_b32 exec_lo, exec_lo, s40
.LBB4_742:                              ;   in Loop: Header=BB4_130 Depth=2
	s_or_b32 exec_lo, exec_lo, s29
	v_cmp_gt_i16_sdwa s29, v14, v112 src0_sel:BYTE_1 src1_sel:DWORD
	s_andn2_b32 vcc_lo, exec_lo, s28
	s_mov_b32 s13, -1
                                        ; implicit-def: $vgpr56
	s_cbranch_vccnz .LBB4_756
; %bb.743:                              ;   in Loop: Header=BB4_130 Depth=2
	s_mov_b32 s13, 0
	s_and_saveexec_b32 s40, s29
	s_xor_b32 s29, exec_lo, s40
	s_cbranch_execz .LBB4_1416
; %bb.744:                              ;   in Loop: Header=BB4_130 Depth=2
	v_cmp_eq_u16_sdwa s41, v14, v113 src0_sel:BYTE_1 src1_sel:DWORD
	s_mov_b32 s13, -1
	s_and_saveexec_b32 s40, s41
; %bb.745:                              ;   in Loop: Header=BB4_130 Depth=2
	s_xor_b32 s13, exec_lo, -1
; %bb.746:                              ;   in Loop: Header=BB4_130 Depth=2
	s_or_b32 exec_lo, exec_lo, s40
	s_and_b32 s13, s13, exec_lo
	s_or_saveexec_b32 s29, s29
	v_mov_b32_e32 v47, 0x7f800001
	s_xor_b32 exec_lo, exec_lo, s29
	s_cbranch_execnz .LBB4_1417
.LBB4_747:                              ;   in Loop: Header=BB4_130 Depth=2
	s_or_b32 exec_lo, exec_lo, s29
	s_and_saveexec_b32 s29, s13
	s_cbranch_execz .LBB4_749
.LBB4_748:                              ;   in Loop: Header=BB4_130 Depth=2
	v_and_b32_sdwa v47, v114, v14 dst_sel:DWORD dst_unused:UNUSED_PAD src0_sel:DWORD src1_sel:BYTE_1
	v_and_b32_e32 v56, 3, v47
	v_bfe_u32 v59, v47, 2, 5
	v_ffbh_u32_e32 v57, v56
	v_cmp_eq_u32_e32 vcc_lo, 0, v59
	v_min_u32_e32 v57, 32, v57
	v_subrev_nc_u32_e32 v58, 29, v57
	v_sub_nc_u32_e32 v57, 30, v57
	v_lshlrev_b32_e32 v47, v58, v47
	v_lshlrev_b32_e32 v58, 16, v14
	v_cndmask_b32_e32 v57, v59, v57, vcc_lo
	v_and_b32_e32 v47, 3, v47
	v_lshl_add_u32 v57, v57, 23, 0x37800000
	v_cndmask_b32_e32 v47, v56, v47, vcc_lo
	v_and_b32_e32 v56, 0x80000000, v58
	v_lshlrev_b32_e32 v47, 21, v47
	v_or3_b32 v47, v56, v57, v47
.LBB4_749:                              ;   in Loop: Header=BB4_130 Depth=2
	s_or_b32 exec_lo, exec_lo, s29
	s_waitcnt vmcnt(0)
	v_cmp_gt_i16_sdwa s29, v10, v112 src0_sel:BYTE_1 src1_sel:DWORD
	s_mov_b32 s13, 0
	s_and_saveexec_b32 s40, s29
	s_xor_b32 s29, exec_lo, s40
	s_cbranch_execz .LBB4_1418
; %bb.750:                              ;   in Loop: Header=BB4_130 Depth=2
	v_cmp_eq_u16_sdwa s41, v10, v113 src0_sel:BYTE_1 src1_sel:DWORD
	s_mov_b32 s13, -1
	s_and_saveexec_b32 s40, s41
; %bb.751:                              ;   in Loop: Header=BB4_130 Depth=2
	s_xor_b32 s13, exec_lo, -1
; %bb.752:                              ;   in Loop: Header=BB4_130 Depth=2
	s_or_b32 exec_lo, exec_lo, s40
	s_and_b32 s13, s13, exec_lo
	s_or_saveexec_b32 s29, s29
	v_mov_b32_e32 v56, 0x7f800001
	s_xor_b32 exec_lo, exec_lo, s29
	s_cbranch_execnz .LBB4_1419
.LBB4_753:                              ;   in Loop: Header=BB4_130 Depth=2
	s_or_b32 exec_lo, exec_lo, s29
	s_and_saveexec_b32 s29, s13
	s_cbranch_execz .LBB4_755
.LBB4_754:                              ;   in Loop: Header=BB4_130 Depth=2
	v_and_b32_sdwa v56, v114, v10 dst_sel:DWORD dst_unused:UNUSED_PAD src0_sel:DWORD src1_sel:BYTE_1
	v_and_b32_e32 v57, 3, v56
	v_bfe_u32 v60, v56, 2, 5
	v_ffbh_u32_e32 v58, v57
	v_cmp_eq_u32_e32 vcc_lo, 0, v60
	v_min_u32_e32 v58, 32, v58
	v_subrev_nc_u32_e32 v59, 29, v58
	v_sub_nc_u32_e32 v58, 30, v58
	v_lshlrev_b32_e32 v56, v59, v56
	v_lshlrev_b32_e32 v59, 16, v10
	v_cndmask_b32_e32 v58, v60, v58, vcc_lo
	v_and_b32_e32 v56, 3, v56
	v_lshl_add_u32 v58, v58, 23, 0x37800000
	v_cndmask_b32_e32 v56, v57, v56, vcc_lo
	v_and_b32_e32 v57, 0x80000000, v59
	v_lshlrev_b32_e32 v56, 21, v56
	v_or3_b32 v56, v57, v58, v56
.LBB4_755:                              ;   in Loop: Header=BB4_130 Depth=2
	s_or_b32 exec_lo, exec_lo, s29
	v_max_f32_e32 v56, v56, v56
	v_max_f32_e32 v47, v47, v47
	s_mov_b32 s13, 0
	v_max_f32_e32 v56, v47, v56
.LBB4_756:                              ;   in Loop: Header=BB4_130 Depth=2
	s_and_b32 vcc_lo, exec_lo, s13
	s_cbranch_vccz .LBB4_770
; %bb.757:                              ;   in Loop: Header=BB4_130 Depth=2
	v_cmp_gt_i16_sdwa s29, v14, v112 src0_sel:BYTE_1 src1_sel:DWORD
	s_mov_b32 s13, 0
	s_and_saveexec_b32 s40, s29
	s_xor_b32 s29, exec_lo, s40
	s_cbranch_execz .LBB4_1420
; %bb.758:                              ;   in Loop: Header=BB4_130 Depth=2
	v_cmp_eq_u16_sdwa s41, v14, v113 src0_sel:BYTE_1 src1_sel:DWORD
	s_mov_b32 s13, -1
	s_and_saveexec_b32 s40, s41
; %bb.759:                              ;   in Loop: Header=BB4_130 Depth=2
	s_xor_b32 s13, exec_lo, -1
; %bb.760:                              ;   in Loop: Header=BB4_130 Depth=2
	s_or_b32 exec_lo, exec_lo, s40
	s_and_b32 s13, s13, exec_lo
	s_or_saveexec_b32 s29, s29
	v_mov_b32_e32 v47, 0x7f800001
	s_xor_b32 exec_lo, exec_lo, s29
	s_cbranch_execnz .LBB4_1421
.LBB4_761:                              ;   in Loop: Header=BB4_130 Depth=2
	s_or_b32 exec_lo, exec_lo, s29
	s_and_saveexec_b32 s29, s13
	s_cbranch_execz .LBB4_763
.LBB4_762:                              ;   in Loop: Header=BB4_130 Depth=2
	v_and_b32_sdwa v47, v114, v14 dst_sel:DWORD dst_unused:UNUSED_PAD src0_sel:DWORD src1_sel:BYTE_1
	v_and_b32_e32 v56, 3, v47
	v_bfe_u32 v59, v47, 2, 5
	v_ffbh_u32_e32 v57, v56
	v_cmp_eq_u32_e32 vcc_lo, 0, v59
	v_min_u32_e32 v57, 32, v57
	v_subrev_nc_u32_e32 v58, 29, v57
	v_sub_nc_u32_e32 v57, 30, v57
	v_lshlrev_b32_e32 v47, v58, v47
	v_lshlrev_b32_e32 v58, 16, v14
	v_cndmask_b32_e32 v57, v59, v57, vcc_lo
	v_and_b32_e32 v47, 3, v47
	v_lshl_add_u32 v57, v57, 23, 0x37800000
	v_cndmask_b32_e32 v47, v56, v47, vcc_lo
	v_and_b32_e32 v56, 0x80000000, v58
	v_lshlrev_b32_e32 v47, 21, v47
	v_or3_b32 v47, v56, v57, v47
.LBB4_763:                              ;   in Loop: Header=BB4_130 Depth=2
	s_or_b32 exec_lo, exec_lo, s29
	s_waitcnt vmcnt(0)
	v_cmp_gt_i16_sdwa s29, v10, v112 src0_sel:BYTE_1 src1_sel:DWORD
	s_mov_b32 s13, 0
	s_and_saveexec_b32 s40, s29
	s_xor_b32 s29, exec_lo, s40
	s_cbranch_execz .LBB4_1422
; %bb.764:                              ;   in Loop: Header=BB4_130 Depth=2
	v_cmp_eq_u16_sdwa s41, v10, v113 src0_sel:BYTE_1 src1_sel:DWORD
	s_mov_b32 s13, -1
	s_and_saveexec_b32 s40, s41
; %bb.765:                              ;   in Loop: Header=BB4_130 Depth=2
	s_xor_b32 s13, exec_lo, -1
; %bb.766:                              ;   in Loop: Header=BB4_130 Depth=2
	s_or_b32 exec_lo, exec_lo, s40
	s_and_b32 s13, s13, exec_lo
	s_or_saveexec_b32 s29, s29
	v_mov_b32_e32 v56, 0x7f800001
	s_xor_b32 exec_lo, exec_lo, s29
	s_cbranch_execnz .LBB4_1423
.LBB4_767:                              ;   in Loop: Header=BB4_130 Depth=2
	s_or_b32 exec_lo, exec_lo, s29
	s_and_saveexec_b32 s29, s13
	s_cbranch_execz .LBB4_769
.LBB4_768:                              ;   in Loop: Header=BB4_130 Depth=2
	v_and_b32_sdwa v56, v114, v10 dst_sel:DWORD dst_unused:UNUSED_PAD src0_sel:DWORD src1_sel:BYTE_1
	v_and_b32_e32 v57, 3, v56
	v_bfe_u32 v60, v56, 2, 5
	v_ffbh_u32_e32 v58, v57
	v_cmp_eq_u32_e32 vcc_lo, 0, v60
	v_min_u32_e32 v58, 32, v58
	v_subrev_nc_u32_e32 v59, 29, v58
	v_sub_nc_u32_e32 v58, 30, v58
	v_lshlrev_b32_e32 v56, v59, v56
	v_lshlrev_b32_e32 v59, 16, v10
	v_cndmask_b32_e32 v58, v60, v58, vcc_lo
	v_and_b32_e32 v56, 3, v56
	v_lshl_add_u32 v58, v58, 23, 0x37800000
	v_cndmask_b32_e32 v56, v57, v56, vcc_lo
	v_and_b32_e32 v57, 0x80000000, v59
	v_lshlrev_b32_e32 v56, 21, v56
	v_or3_b32 v56, v57, v58, v56
.LBB4_769:                              ;   in Loop: Header=BB4_130 Depth=2
	s_or_b32 exec_lo, exec_lo, s29
	v_max_f32_e32 v56, v56, v56
	v_max_f32_e32 v47, v47, v47
	v_min_f32_e32 v56, v47, v56
.LBB4_770:                              ;   in Loop: Header=BB4_130 Depth=2
	v_and_b32_e32 v47, 0x7f800000, v56
	v_cmp_ne_u32_e32 vcc_lo, 0x7f800000, v47
	v_mov_b32_e32 v47, 0x8000
	s_and_saveexec_b32 s29, vcc_lo
	s_cbranch_execz .LBB4_778
; %bb.771:                              ;   in Loop: Header=BB4_130 Depth=2
	v_mov_b32_e32 v47, 0
	s_mov_b32 s40, exec_lo
	v_cmpx_ne_u32_e32 0, v56
	s_cbranch_execz .LBB4_777
; %bb.772:                              ;   in Loop: Header=BB4_130 Depth=2
	v_bfe_u32 v47, v56, 23, 8
	v_and_b32_e32 v57, 0x7fffff, v56
	v_sub_nc_u32_e32 v58, 0x70, v47
	v_cmp_gt_u32_e32 vcc_lo, 0x71, v47
	v_or_b32_e32 v59, 0x800000, v57
	v_cndmask_b32_e32 v58, 0, v58, vcc_lo
	v_cmp_eq_u32_e32 vcc_lo, 0, v47
	v_add_nc_u32_e32 v47, 0xffffff91, v47
	v_cndmask_b32_e64 v58, v58, 0x6f, vcc_lo
	v_cndmask_b32_e32 v57, v59, v57, vcc_lo
	v_cndmask_b32_e64 v47, v47, 0xffffff92, vcc_lo
	v_lshl_add_u32 v59, 0x200000, v58, -1
	v_lshrrev_b32_e32 v60, v58, v57
	v_lshlrev_b32_e64 v62, v58, 0x100000
	v_add_nc_u32_e32 v58, v58, v47
	v_and_b32_e32 v57, v59, v57
	v_bfe_u32 v61, v60, 21, 1
	v_cmp_eq_u32_e64 s13, v57, v62
	v_add_nc_u32_e32 v59, -1, v61
	v_cndmask_b32_e64 v57, 0, v59, s13
	v_lshrrev_b32_e32 v59, 23, v60
	s_mov_b32 s13, exec_lo
	v_add_nc_u32_e32 v57, v57, v60
	v_xor_b32_e32 v59, 1, v59
	v_and_b32_e32 v47, 0x1fffff, v57
	v_add_nc_u32_e32 v57, v47, v60
                                        ; implicit-def: $vgpr47
	v_cmpx_ne_u32_e64 v58, v59
	s_xor_b32 s13, exec_lo, s13
; %bb.773:                              ;   in Loop: Header=BB4_130 Depth=2
	v_cmp_lt_u32_e32 vcc_lo, 0xffffff, v57
	v_sub_nc_u32_e32 v47, v58, v59
	v_cndmask_b32_e64 v58, 0, 1, vcc_lo
	v_add_co_ci_u32_e64 v47, null, 0, v47, vcc_lo
	v_lshrrev_b32_e32 v57, v58, v57
; %bb.774:                              ;   in Loop: Header=BB4_130 Depth=2
	s_andn2_saveexec_b32 s13, s13
; %bb.775:                              ;   in Loop: Header=BB4_130 Depth=2
	v_bfe_u32 v47, v57, 23, 1
; %bb.776:                              ;   in Loop: Header=BB4_130 Depth=2
	s_or_b32 exec_lo, exec_lo, s13
	v_lshrrev_b32_e32 v57, 21, v57
	v_min_i32_e32 v58, 31, v47
	v_cmp_gt_i32_e32 vcc_lo, 32, v47
	v_and_b32_sdwa v56, v56, v113 dst_sel:DWORD dst_unused:UNUSED_PAD src0_sel:BYTE_3 src1_sel:DWORD
	v_lshlrev_b32_e32 v58, 2, v58
	v_cndmask_b32_e32 v57, 3, v57, vcc_lo
	v_and_b32_e32 v58, 0xfc, v58
	v_and_b32_e32 v59, 3, v57
	v_or_b32_e32 v47, v47, v57
	v_or3_b32 v56, v56, v58, v59
	v_cmp_ne_u32_e32 vcc_lo, 0, v47
	v_lshlrev_b32_e32 v56, 8, v56
	v_cndmask_b32_e32 v47, 0, v56, vcc_lo
.LBB4_777:                              ;   in Loop: Header=BB4_130 Depth=2
	s_or_b32 exec_lo, exec_lo, s40
.LBB4_778:                              ;   in Loop: Header=BB4_130 Depth=2
	s_or_b32 exec_lo, exec_lo, s29
	v_and_b32_sdwa v56, v14, v115 dst_sel:DWORD dst_unused:UNUSED_PAD src0_sel:WORD_1 src1_sel:DWORD
	s_andn2_b32 vcc_lo, exec_lo, s28
	s_mov_b32 s29, -1
                                        ; implicit-def: $vgpr57
	v_cmp_lt_i16_e64 s13, 0x7f, v56
	s_cbranch_vccnz .LBB4_792
; %bb.779:                              ;   in Loop: Header=BB4_130 Depth=2
	s_mov_b32 s29, 0
	s_and_saveexec_b32 s40, s13
	s_xor_b32 s13, exec_lo, s40
	s_cbranch_execz .LBB4_1424
; %bb.780:                              ;   in Loop: Header=BB4_130 Depth=2
	s_mov_b32 s29, -1
	s_mov_b32 s40, exec_lo
	v_cmpx_eq_u16_e32 0x80, v56
; %bb.781:                              ;   in Loop: Header=BB4_130 Depth=2
	s_xor_b32 s29, exec_lo, -1
; %bb.782:                              ;   in Loop: Header=BB4_130 Depth=2
	s_or_b32 exec_lo, exec_lo, s40
	s_and_b32 s29, s29, exec_lo
	s_or_saveexec_b32 s13, s13
	v_mov_b32_e32 v57, 0x7f800001
	s_xor_b32 exec_lo, exec_lo, s13
	s_cbranch_execnz .LBB4_1425
.LBB4_783:                              ;   in Loop: Header=BB4_130 Depth=2
	s_or_b32 exec_lo, exec_lo, s13
	s_and_saveexec_b32 s13, s29
	s_cbranch_execz .LBB4_785
.LBB4_784:                              ;   in Loop: Header=BB4_130 Depth=2
	v_bfe_u32 v57, v14, 16, 2
	v_bfe_u32 v60, v14, 18, 5
	v_lshlrev_b32_sdwa v61, v116, v14 dst_sel:DWORD dst_unused:UNUSED_PAD src0_sel:DWORD src1_sel:WORD_1
	v_ffbh_u32_e32 v58, v57
	v_cmp_eq_u32_e32 vcc_lo, 0, v60
	v_min_u32_e32 v58, 32, v58
	v_subrev_nc_u32_e32 v59, 29, v58
	v_sub_nc_u32_e32 v58, 30, v58
	v_lshlrev_b32_sdwa v59, v59, v14 dst_sel:DWORD dst_unused:UNUSED_PAD src0_sel:DWORD src1_sel:WORD_1
	v_cndmask_b32_e32 v58, v60, v58, vcc_lo
	v_and_b32_e32 v59, 3, v59
	v_lshl_add_u32 v58, v58, 23, 0x37800000
	v_cndmask_b32_e32 v57, v57, v59, vcc_lo
	v_and_b32_e32 v59, 0x80000000, v61
	v_lshlrev_b32_e32 v57, 21, v57
	v_or3_b32 v57, v59, v58, v57
.LBB4_785:                              ;   in Loop: Header=BB4_130 Depth=2
	s_or_b32 exec_lo, exec_lo, s13
	s_waitcnt vmcnt(0)
	v_and_b32_sdwa v59, v10, v115 dst_sel:DWORD dst_unused:UNUSED_PAD src0_sel:WORD_1 src1_sel:DWORD
	s_mov_b32 s13, 0
	s_mov_b32 s29, exec_lo
	v_cmpx_lt_i16_e32 0x7f, v59
	s_xor_b32 s29, exec_lo, s29
	s_cbranch_execz .LBB4_1426
; %bb.786:                              ;   in Loop: Header=BB4_130 Depth=2
	s_mov_b32 s13, -1
	s_mov_b32 s40, exec_lo
	v_cmpx_eq_u16_e32 0x80, v59
; %bb.787:                              ;   in Loop: Header=BB4_130 Depth=2
	s_xor_b32 s13, exec_lo, -1
; %bb.788:                              ;   in Loop: Header=BB4_130 Depth=2
	s_or_b32 exec_lo, exec_lo, s40
	s_and_b32 s13, s13, exec_lo
                                        ; implicit-def: $vgpr59
	s_or_saveexec_b32 s29, s29
	v_mov_b32_e32 v58, 0x7f800001
	s_xor_b32 exec_lo, exec_lo, s29
	s_cbranch_execnz .LBB4_1427
.LBB4_789:                              ;   in Loop: Header=BB4_130 Depth=2
	s_or_b32 exec_lo, exec_lo, s29
	s_and_saveexec_b32 s29, s13
	s_cbranch_execz .LBB4_791
.LBB4_790:                              ;   in Loop: Header=BB4_130 Depth=2
	v_bfe_u32 v58, v10, 16, 2
	v_bfe_u32 v61, v10, 18, 5
	v_lshlrev_b32_sdwa v62, v116, v10 dst_sel:DWORD dst_unused:UNUSED_PAD src0_sel:DWORD src1_sel:WORD_1
	v_ffbh_u32_e32 v59, v58
	v_cmp_eq_u32_e32 vcc_lo, 0, v61
	v_min_u32_e32 v59, 32, v59
	v_subrev_nc_u32_e32 v60, 29, v59
	v_sub_nc_u32_e32 v59, 30, v59
	v_lshlrev_b32_sdwa v60, v60, v10 dst_sel:DWORD dst_unused:UNUSED_PAD src0_sel:DWORD src1_sel:WORD_1
	v_cndmask_b32_e32 v59, v61, v59, vcc_lo
	v_and_b32_e32 v60, 3, v60
	v_lshl_add_u32 v59, v59, 23, 0x37800000
	v_cndmask_b32_e32 v58, v58, v60, vcc_lo
	v_and_b32_e32 v60, 0x80000000, v62
	v_lshlrev_b32_e32 v58, 21, v58
	v_or3_b32 v58, v60, v59, v58
.LBB4_791:                              ;   in Loop: Header=BB4_130 Depth=2
	s_or_b32 exec_lo, exec_lo, s29
	v_max_f32_e32 v58, v58, v58
	v_max_f32_e32 v57, v57, v57
	s_mov_b32 s29, 0
	v_max_f32_e32 v57, v57, v58
.LBB4_792:                              ;   in Loop: Header=BB4_130 Depth=2
	s_and_b32 vcc_lo, exec_lo, s29
	s_cbranch_vccz .LBB4_806
; %bb.793:                              ;   in Loop: Header=BB4_130 Depth=2
	s_mov_b32 s13, 0
	s_mov_b32 s29, exec_lo
	v_cmpx_lt_i16_e32 0x7f, v56
	s_xor_b32 s29, exec_lo, s29
	s_cbranch_execz .LBB4_1428
; %bb.794:                              ;   in Loop: Header=BB4_130 Depth=2
	s_mov_b32 s13, -1
	s_mov_b32 s40, exec_lo
	v_cmpx_eq_u16_e32 0x80, v56
; %bb.795:                              ;   in Loop: Header=BB4_130 Depth=2
	s_xor_b32 s13, exec_lo, -1
; %bb.796:                              ;   in Loop: Header=BB4_130 Depth=2
	s_or_b32 exec_lo, exec_lo, s40
	s_and_b32 s13, s13, exec_lo
                                        ; implicit-def: $vgpr56
	s_or_saveexec_b32 s29, s29
	v_mov_b32_e32 v57, 0x7f800001
	s_xor_b32 exec_lo, exec_lo, s29
	s_cbranch_execnz .LBB4_1429
.LBB4_797:                              ;   in Loop: Header=BB4_130 Depth=2
	s_or_b32 exec_lo, exec_lo, s29
	s_and_saveexec_b32 s29, s13
	s_cbranch_execz .LBB4_799
.LBB4_798:                              ;   in Loop: Header=BB4_130 Depth=2
	v_bfe_u32 v56, v14, 16, 2
	v_bfe_u32 v59, v14, 18, 5
	v_lshlrev_b32_sdwa v60, v116, v14 dst_sel:DWORD dst_unused:UNUSED_PAD src0_sel:DWORD src1_sel:WORD_1
	v_ffbh_u32_e32 v57, v56
	v_cmp_eq_u32_e32 vcc_lo, 0, v59
	v_min_u32_e32 v57, 32, v57
	v_subrev_nc_u32_e32 v58, 29, v57
	v_sub_nc_u32_e32 v57, 30, v57
	v_lshlrev_b32_sdwa v58, v58, v14 dst_sel:DWORD dst_unused:UNUSED_PAD src0_sel:DWORD src1_sel:WORD_1
	v_cndmask_b32_e32 v57, v59, v57, vcc_lo
	v_and_b32_e32 v58, 3, v58
	v_lshl_add_u32 v57, v57, 23, 0x37800000
	v_cndmask_b32_e32 v56, v56, v58, vcc_lo
	v_and_b32_e32 v58, 0x80000000, v60
	v_lshlrev_b32_e32 v56, 21, v56
	v_or3_b32 v57, v58, v57, v56
.LBB4_799:                              ;   in Loop: Header=BB4_130 Depth=2
	s_or_b32 exec_lo, exec_lo, s29
	s_waitcnt vmcnt(0)
	v_and_b32_sdwa v58, v10, v115 dst_sel:DWORD dst_unused:UNUSED_PAD src0_sel:WORD_1 src1_sel:DWORD
	s_mov_b32 s13, 0
	s_mov_b32 s29, exec_lo
	v_cmpx_lt_i16_e32 0x7f, v58
	s_xor_b32 s29, exec_lo, s29
	s_cbranch_execz .LBB4_1430
; %bb.800:                              ;   in Loop: Header=BB4_130 Depth=2
	s_mov_b32 s13, -1
	s_mov_b32 s40, exec_lo
	v_cmpx_eq_u16_e32 0x80, v58
; %bb.801:                              ;   in Loop: Header=BB4_130 Depth=2
	s_xor_b32 s13, exec_lo, -1
; %bb.802:                              ;   in Loop: Header=BB4_130 Depth=2
	s_or_b32 exec_lo, exec_lo, s40
	s_and_b32 s13, s13, exec_lo
                                        ; implicit-def: $vgpr58
	s_or_saveexec_b32 s29, s29
	v_mov_b32_e32 v56, 0x7f800001
	s_xor_b32 exec_lo, exec_lo, s29
	s_cbranch_execnz .LBB4_1431
.LBB4_803:                              ;   in Loop: Header=BB4_130 Depth=2
	s_or_b32 exec_lo, exec_lo, s29
	s_and_saveexec_b32 s29, s13
	s_cbranch_execz .LBB4_805
.LBB4_804:                              ;   in Loop: Header=BB4_130 Depth=2
	v_bfe_u32 v56, v10, 16, 2
	v_bfe_u32 v60, v10, 18, 5
	v_lshlrev_b32_sdwa v61, v116, v10 dst_sel:DWORD dst_unused:UNUSED_PAD src0_sel:DWORD src1_sel:WORD_1
	v_ffbh_u32_e32 v58, v56
	v_cmp_eq_u32_e32 vcc_lo, 0, v60
	v_min_u32_e32 v58, 32, v58
	v_subrev_nc_u32_e32 v59, 29, v58
	v_sub_nc_u32_e32 v58, 30, v58
	v_lshlrev_b32_sdwa v59, v59, v10 dst_sel:DWORD dst_unused:UNUSED_PAD src0_sel:DWORD src1_sel:WORD_1
	v_cndmask_b32_e32 v58, v60, v58, vcc_lo
	v_and_b32_e32 v59, 3, v59
	v_lshl_add_u32 v58, v58, 23, 0x37800000
	v_cndmask_b32_e32 v56, v56, v59, vcc_lo
	v_and_b32_e32 v59, 0x80000000, v61
	v_lshlrev_b32_e32 v56, 21, v56
	v_or3_b32 v56, v59, v58, v56
.LBB4_805:                              ;   in Loop: Header=BB4_130 Depth=2
	s_or_b32 exec_lo, exec_lo, s29
	v_max_f32_e32 v56, v56, v56
	v_max_f32_e32 v57, v57, v57
	v_min_f32_e32 v57, v57, v56
.LBB4_806:                              ;   in Loop: Header=BB4_130 Depth=2
	v_and_b32_e32 v56, 0x7f800000, v57
	v_cmp_ne_u32_e32 vcc_lo, 0x7f800000, v56
	v_mov_b32_e32 v56, 0x80
	s_and_saveexec_b32 s29, vcc_lo
	s_cbranch_execz .LBB4_814
; %bb.807:                              ;   in Loop: Header=BB4_130 Depth=2
	v_mov_b32_e32 v56, 0
	s_mov_b32 s40, exec_lo
	v_cmpx_ne_u32_e32 0, v57
	s_cbranch_execz .LBB4_813
; %bb.808:                              ;   in Loop: Header=BB4_130 Depth=2
	v_bfe_u32 v56, v57, 23, 8
	v_and_b32_e32 v58, 0x7fffff, v57
	v_sub_nc_u32_e32 v59, 0x70, v56
	v_cmp_gt_u32_e32 vcc_lo, 0x71, v56
	v_or_b32_e32 v60, 0x800000, v58
	v_cndmask_b32_e32 v59, 0, v59, vcc_lo
	v_cmp_eq_u32_e32 vcc_lo, 0, v56
	v_add_nc_u32_e32 v56, 0xffffff91, v56
	v_cndmask_b32_e64 v59, v59, 0x6f, vcc_lo
	v_cndmask_b32_e32 v58, v60, v58, vcc_lo
	v_cndmask_b32_e64 v56, v56, 0xffffff92, vcc_lo
	v_lshl_add_u32 v60, 0x200000, v59, -1
	v_lshrrev_b32_e32 v61, v59, v58
	v_lshlrev_b32_e64 v63, v59, 0x100000
	v_add_nc_u32_e32 v59, v59, v56
	v_and_b32_e32 v58, v60, v58
	v_bfe_u32 v62, v61, 21, 1
	v_cmp_eq_u32_e64 s13, v58, v63
	v_add_nc_u32_e32 v60, -1, v62
	v_cndmask_b32_e64 v58, 0, v60, s13
	v_lshrrev_b32_e32 v60, 23, v61
	s_mov_b32 s13, exec_lo
	v_add_nc_u32_e32 v58, v58, v61
	v_xor_b32_e32 v60, 1, v60
	v_and_b32_e32 v56, 0x1fffff, v58
	v_add_nc_u32_e32 v58, v56, v61
                                        ; implicit-def: $vgpr56
	v_cmpx_ne_u32_e64 v59, v60
	s_xor_b32 s13, exec_lo, s13
; %bb.809:                              ;   in Loop: Header=BB4_130 Depth=2
	v_cmp_lt_u32_e32 vcc_lo, 0xffffff, v58
	v_sub_nc_u32_e32 v56, v59, v60
	v_cndmask_b32_e64 v59, 0, 1, vcc_lo
	v_add_co_ci_u32_e64 v56, null, 0, v56, vcc_lo
	v_lshrrev_b32_e32 v58, v59, v58
; %bb.810:                              ;   in Loop: Header=BB4_130 Depth=2
	s_andn2_saveexec_b32 s13, s13
; %bb.811:                              ;   in Loop: Header=BB4_130 Depth=2
	v_bfe_u32 v56, v58, 23, 1
; %bb.812:                              ;   in Loop: Header=BB4_130 Depth=2
	s_or_b32 exec_lo, exec_lo, s13
	v_lshrrev_b32_e32 v58, 21, v58
	v_min_i32_e32 v59, 31, v56
	v_cmp_gt_i32_e32 vcc_lo, 32, v56
	v_and_b32_sdwa v57, v57, v113 dst_sel:DWORD dst_unused:UNUSED_PAD src0_sel:BYTE_3 src1_sel:DWORD
	v_lshlrev_b32_e32 v59, 2, v59
	v_cndmask_b32_e32 v58, 3, v58, vcc_lo
	v_and_b32_e32 v59, 0xfc, v59
	v_and_b32_e32 v60, 3, v58
	v_or_b32_e32 v56, v56, v58
	v_or3_b32 v57, v59, v57, v60
	v_cmp_ne_u32_e32 vcc_lo, 0, v56
	v_cndmask_b32_e32 v56, 0, v57, vcc_lo
.LBB4_813:                              ;   in Loop: Header=BB4_130 Depth=2
	s_or_b32 exec_lo, exec_lo, s40
.LBB4_814:                              ;   in Loop: Header=BB4_130 Depth=2
	s_or_b32 exec_lo, exec_lo, s29
	v_cmp_gt_i16_sdwa s29, v14, v112 src0_sel:BYTE_3 src1_sel:DWORD
	s_andn2_b32 vcc_lo, exec_lo, s28
	s_mov_b32 s13, -1
                                        ; implicit-def: $vgpr57
	s_cbranch_vccnz .LBB4_828
; %bb.815:                              ;   in Loop: Header=BB4_130 Depth=2
	s_mov_b32 s13, 0
	s_and_saveexec_b32 s40, s29
	s_xor_b32 s29, exec_lo, s40
	s_cbranch_execz .LBB4_1432
; %bb.816:                              ;   in Loop: Header=BB4_130 Depth=2
	v_cmp_eq_u16_sdwa s41, v14, v113 src0_sel:BYTE_3 src1_sel:DWORD
	s_mov_b32 s13, -1
	s_and_saveexec_b32 s40, s41
; %bb.817:                              ;   in Loop: Header=BB4_130 Depth=2
	s_xor_b32 s13, exec_lo, -1
; %bb.818:                              ;   in Loop: Header=BB4_130 Depth=2
	s_or_b32 exec_lo, exec_lo, s40
	s_and_b32 s13, s13, exec_lo
	s_or_saveexec_b32 s29, s29
	v_mov_b32_e32 v57, 0x7f800001
	s_xor_b32 exec_lo, exec_lo, s29
	s_cbranch_execnz .LBB4_1433
.LBB4_819:                              ;   in Loop: Header=BB4_130 Depth=2
	s_or_b32 exec_lo, exec_lo, s29
	s_and_saveexec_b32 s29, s13
	s_cbranch_execz .LBB4_821
.LBB4_820:                              ;   in Loop: Header=BB4_130 Depth=2
	v_bfe_u32 v57, v14, 24, 2
	v_bfe_u32 v60, v14, 26, 5
	v_ffbh_u32_e32 v58, v57
	v_cmp_eq_u32_e32 vcc_lo, 0, v60
	v_min_u32_e32 v58, 32, v58
	v_subrev_nc_u32_e32 v59, 29, v58
	v_sub_nc_u32_e32 v58, 30, v58
	v_lshlrev_b32_sdwa v59, v59, v14 dst_sel:DWORD dst_unused:UNUSED_PAD src0_sel:DWORD src1_sel:BYTE_3
	v_cndmask_b32_e32 v58, v60, v58, vcc_lo
	v_and_b32_e32 v59, 3, v59
	v_lshl_add_u32 v58, v58, 23, 0x37800000
	v_cndmask_b32_e32 v57, v57, v59, vcc_lo
	v_and_b32_e32 v59, 0x80000000, v14
	v_lshlrev_b32_e32 v57, 21, v57
	v_or3_b32 v57, v59, v58, v57
.LBB4_821:                              ;   in Loop: Header=BB4_130 Depth=2
	s_or_b32 exec_lo, exec_lo, s29
	s_waitcnt vmcnt(0)
	v_cmp_gt_i16_sdwa s29, v10, v112 src0_sel:BYTE_3 src1_sel:DWORD
	s_mov_b32 s13, 0
	s_and_saveexec_b32 s40, s29
	s_xor_b32 s29, exec_lo, s40
	s_cbranch_execz .LBB4_1434
; %bb.822:                              ;   in Loop: Header=BB4_130 Depth=2
	v_cmp_eq_u16_sdwa s41, v10, v113 src0_sel:BYTE_3 src1_sel:DWORD
	s_mov_b32 s13, -1
	s_and_saveexec_b32 s40, s41
; %bb.823:                              ;   in Loop: Header=BB4_130 Depth=2
	s_xor_b32 s13, exec_lo, -1
; %bb.824:                              ;   in Loop: Header=BB4_130 Depth=2
	s_or_b32 exec_lo, exec_lo, s40
	s_and_b32 s13, s13, exec_lo
	s_or_saveexec_b32 s29, s29
	v_mov_b32_e32 v58, 0x7f800001
	s_xor_b32 exec_lo, exec_lo, s29
	s_cbranch_execnz .LBB4_1435
.LBB4_825:                              ;   in Loop: Header=BB4_130 Depth=2
	s_or_b32 exec_lo, exec_lo, s29
	s_and_saveexec_b32 s29, s13
	s_cbranch_execz .LBB4_827
.LBB4_826:                              ;   in Loop: Header=BB4_130 Depth=2
	v_bfe_u32 v58, v10, 24, 2
	v_bfe_u32 v61, v10, 26, 5
	v_ffbh_u32_e32 v59, v58
	v_cmp_eq_u32_e32 vcc_lo, 0, v61
	v_min_u32_e32 v59, 32, v59
	v_subrev_nc_u32_e32 v60, 29, v59
	v_sub_nc_u32_e32 v59, 30, v59
	v_lshlrev_b32_sdwa v60, v60, v10 dst_sel:DWORD dst_unused:UNUSED_PAD src0_sel:DWORD src1_sel:BYTE_3
	v_cndmask_b32_e32 v59, v61, v59, vcc_lo
	v_and_b32_e32 v60, 3, v60
	v_lshl_add_u32 v59, v59, 23, 0x37800000
	v_cndmask_b32_e32 v58, v58, v60, vcc_lo
	v_and_b32_e32 v60, 0x80000000, v10
	v_lshlrev_b32_e32 v58, 21, v58
	v_or3_b32 v58, v60, v59, v58
.LBB4_827:                              ;   in Loop: Header=BB4_130 Depth=2
	s_or_b32 exec_lo, exec_lo, s29
	v_max_f32_e32 v58, v58, v58
	v_max_f32_e32 v57, v57, v57
	s_mov_b32 s13, 0
	v_max_f32_e32 v57, v57, v58
.LBB4_828:                              ;   in Loop: Header=BB4_130 Depth=2
	s_and_b32 vcc_lo, exec_lo, s13
	s_cbranch_vccz .LBB4_842
; %bb.829:                              ;   in Loop: Header=BB4_130 Depth=2
	v_cmp_gt_i16_sdwa s29, v14, v112 src0_sel:BYTE_3 src1_sel:DWORD
	s_mov_b32 s13, 0
	s_and_saveexec_b32 s40, s29
	s_xor_b32 s29, exec_lo, s40
	s_cbranch_execz .LBB4_1436
; %bb.830:                              ;   in Loop: Header=BB4_130 Depth=2
	v_cmp_eq_u16_sdwa s41, v14, v113 src0_sel:BYTE_3 src1_sel:DWORD
	s_mov_b32 s13, -1
	s_and_saveexec_b32 s40, s41
; %bb.831:                              ;   in Loop: Header=BB4_130 Depth=2
	s_xor_b32 s13, exec_lo, -1
; %bb.832:                              ;   in Loop: Header=BB4_130 Depth=2
	s_or_b32 exec_lo, exec_lo, s40
	s_and_b32 s13, s13, exec_lo
	s_or_saveexec_b32 s29, s29
	v_mov_b32_e32 v57, 0x7f800001
	s_xor_b32 exec_lo, exec_lo, s29
	s_cbranch_execnz .LBB4_1437
.LBB4_833:                              ;   in Loop: Header=BB4_130 Depth=2
	s_or_b32 exec_lo, exec_lo, s29
	s_and_saveexec_b32 s29, s13
	s_cbranch_execz .LBB4_835
.LBB4_834:                              ;   in Loop: Header=BB4_130 Depth=2
	v_bfe_u32 v57, v14, 24, 2
	v_bfe_u32 v60, v14, 26, 5
	v_ffbh_u32_e32 v58, v57
	v_cmp_eq_u32_e32 vcc_lo, 0, v60
	v_min_u32_e32 v58, 32, v58
	v_subrev_nc_u32_e32 v59, 29, v58
	v_sub_nc_u32_e32 v58, 30, v58
	v_lshlrev_b32_sdwa v59, v59, v14 dst_sel:DWORD dst_unused:UNUSED_PAD src0_sel:DWORD src1_sel:BYTE_3
	v_cndmask_b32_e32 v58, v60, v58, vcc_lo
	v_and_b32_e32 v14, 0x80000000, v14
	v_and_b32_e32 v59, 3, v59
	v_lshl_add_u32 v58, v58, 23, 0x37800000
	v_cndmask_b32_e32 v57, v57, v59, vcc_lo
	v_lshlrev_b32_e32 v57, 21, v57
	v_or3_b32 v57, v14, v58, v57
.LBB4_835:                              ;   in Loop: Header=BB4_130 Depth=2
	s_or_b32 exec_lo, exec_lo, s29
	s_waitcnt vmcnt(0)
	v_cmp_gt_i16_sdwa s29, v10, v112 src0_sel:BYTE_3 src1_sel:DWORD
	s_mov_b32 s13, 0
	s_and_saveexec_b32 s40, s29
	s_xor_b32 s29, exec_lo, s40
	s_cbranch_execz .LBB4_1438
; %bb.836:                              ;   in Loop: Header=BB4_130 Depth=2
	v_cmp_eq_u16_sdwa s41, v10, v113 src0_sel:BYTE_3 src1_sel:DWORD
	s_mov_b32 s13, -1
	s_and_saveexec_b32 s40, s41
; %bb.837:                              ;   in Loop: Header=BB4_130 Depth=2
	s_xor_b32 s13, exec_lo, -1
; %bb.838:                              ;   in Loop: Header=BB4_130 Depth=2
	s_or_b32 exec_lo, exec_lo, s40
	s_and_b32 s13, s13, exec_lo
	s_or_saveexec_b32 s29, s29
	v_mov_b32_e32 v14, 0x7f800001
	s_xor_b32 exec_lo, exec_lo, s29
	s_cbranch_execnz .LBB4_1439
.LBB4_839:                              ;   in Loop: Header=BB4_130 Depth=2
	s_or_b32 exec_lo, exec_lo, s29
	s_and_saveexec_b32 s29, s13
	s_cbranch_execz .LBB4_841
.LBB4_840:                              ;   in Loop: Header=BB4_130 Depth=2
	v_bfe_u32 v14, v10, 24, 2
	v_bfe_u32 v60, v10, 26, 5
	v_ffbh_u32_e32 v58, v14
	v_cmp_eq_u32_e32 vcc_lo, 0, v60
	v_min_u32_e32 v58, 32, v58
	v_subrev_nc_u32_e32 v59, 29, v58
	v_sub_nc_u32_e32 v58, 30, v58
	v_lshlrev_b32_sdwa v59, v59, v10 dst_sel:DWORD dst_unused:UNUSED_PAD src0_sel:DWORD src1_sel:BYTE_3
	v_cndmask_b32_e32 v58, v60, v58, vcc_lo
	v_and_b32_e32 v10, 0x80000000, v10
	v_and_b32_e32 v59, 3, v59
	v_lshl_add_u32 v58, v58, 23, 0x37800000
	v_cndmask_b32_e32 v14, v14, v59, vcc_lo
	v_lshlrev_b32_e32 v14, 21, v14
	v_or3_b32 v14, v10, v58, v14
.LBB4_841:                              ;   in Loop: Header=BB4_130 Depth=2
	s_or_b32 exec_lo, exec_lo, s29
	v_max_f32_e32 v10, v14, v14
	v_max_f32_e32 v14, v57, v57
	v_min_f32_e32 v57, v14, v10
.LBB4_842:                              ;   in Loop: Header=BB4_130 Depth=2
	s_waitcnt vmcnt(0)
	v_and_b32_e32 v10, 0x7f800000, v57
	v_cmp_ne_u32_e32 vcc_lo, 0x7f800000, v10
	v_mov_b32_e32 v10, 0x8000
	s_and_saveexec_b32 s29, vcc_lo
	s_cbranch_execz .LBB4_850
; %bb.843:                              ;   in Loop: Header=BB4_130 Depth=2
	v_mov_b32_e32 v10, 0
	s_mov_b32 s40, exec_lo
	v_cmpx_ne_u32_e32 0, v57
	s_cbranch_execz .LBB4_849
; %bb.844:                              ;   in Loop: Header=BB4_130 Depth=2
	v_bfe_u32 v10, v57, 23, 8
	v_and_b32_e32 v14, 0x7fffff, v57
	v_sub_nc_u32_e32 v58, 0x70, v10
	v_cmp_gt_u32_e32 vcc_lo, 0x71, v10
	v_or_b32_e32 v59, 0x800000, v14
	v_cndmask_b32_e32 v58, 0, v58, vcc_lo
	v_cmp_eq_u32_e32 vcc_lo, 0, v10
	v_add_nc_u32_e32 v10, 0xffffff91, v10
	v_cndmask_b32_e64 v58, v58, 0x6f, vcc_lo
	v_cndmask_b32_e32 v14, v59, v14, vcc_lo
	v_cndmask_b32_e64 v10, v10, 0xffffff92, vcc_lo
	v_lshl_add_u32 v59, 0x200000, v58, -1
	v_lshrrev_b32_e32 v60, v58, v14
	v_lshlrev_b32_e64 v62, v58, 0x100000
	v_add_nc_u32_e32 v58, v58, v10
	v_and_b32_e32 v14, v59, v14
	v_bfe_u32 v61, v60, 21, 1
	v_cmp_eq_u32_e64 s13, v14, v62
	v_add_nc_u32_e32 v59, -1, v61
	v_cndmask_b32_e64 v14, 0, v59, s13
	v_lshrrev_b32_e32 v59, 23, v60
	s_mov_b32 s13, exec_lo
	v_add_nc_u32_e32 v14, v14, v60
	v_xor_b32_e32 v59, 1, v59
	v_and_b32_e32 v10, 0x1fffff, v14
	v_add_nc_u32_e32 v14, v10, v60
                                        ; implicit-def: $vgpr10
	v_cmpx_ne_u32_e64 v58, v59
	s_xor_b32 s13, exec_lo, s13
; %bb.845:                              ;   in Loop: Header=BB4_130 Depth=2
	v_cmp_lt_u32_e32 vcc_lo, 0xffffff, v14
	v_sub_nc_u32_e32 v10, v58, v59
	v_cndmask_b32_e64 v58, 0, 1, vcc_lo
	v_add_co_ci_u32_e64 v10, null, 0, v10, vcc_lo
	v_lshrrev_b32_e32 v14, v58, v14
; %bb.846:                              ;   in Loop: Header=BB4_130 Depth=2
	s_andn2_saveexec_b32 s13, s13
; %bb.847:                              ;   in Loop: Header=BB4_130 Depth=2
	v_bfe_u32 v10, v14, 23, 1
; %bb.848:                              ;   in Loop: Header=BB4_130 Depth=2
	s_or_b32 exec_lo, exec_lo, s13
	v_lshrrev_b32_e32 v14, 21, v14
	v_min_i32_e32 v58, 31, v10
	v_cmp_gt_i32_e32 vcc_lo, 32, v10
	v_and_b32_sdwa v57, v57, v113 dst_sel:DWORD dst_unused:UNUSED_PAD src0_sel:BYTE_3 src1_sel:DWORD
	v_lshlrev_b32_e32 v58, 2, v58
	v_cndmask_b32_e32 v14, 3, v14, vcc_lo
	v_and_b32_e32 v58, 0xfc, v58
	v_and_b32_e32 v59, 3, v14
	v_or_b32_e32 v10, v10, v14
	v_or3_b32 v57, v57, v58, v59
	v_cmp_ne_u32_e32 vcc_lo, 0, v10
	v_lshlrev_b32_e32 v14, 8, v57
	v_cndmask_b32_e32 v10, 0, v14, vcc_lo
.LBB4_849:                              ;   in Loop: Header=BB4_130 Depth=2
	s_or_b32 exec_lo, exec_lo, s40
.LBB4_850:                              ;   in Loop: Header=BB4_130 Depth=2
	s_or_b32 exec_lo, exec_lo, s29
	v_cmp_gt_i16_sdwa s29, v15, v112 src0_sel:BYTE_0 src1_sel:DWORD
	s_andn2_b32 vcc_lo, exec_lo, s28
	s_mov_b32 s13, -1
                                        ; implicit-def: $vgpr57
	s_cbranch_vccnz .LBB4_864
; %bb.851:                              ;   in Loop: Header=BB4_130 Depth=2
	s_mov_b32 s13, 0
	s_and_saveexec_b32 s40, s29
	s_xor_b32 s29, exec_lo, s40
	s_cbranch_execz .LBB4_1440
; %bb.852:                              ;   in Loop: Header=BB4_130 Depth=2
	v_cmp_eq_u16_sdwa s41, v15, v113 src0_sel:BYTE_0 src1_sel:DWORD
	s_mov_b32 s13, -1
	s_and_saveexec_b32 s40, s41
; %bb.853:                              ;   in Loop: Header=BB4_130 Depth=2
	s_xor_b32 s13, exec_lo, -1
; %bb.854:                              ;   in Loop: Header=BB4_130 Depth=2
	s_or_b32 exec_lo, exec_lo, s40
	s_and_b32 s13, s13, exec_lo
	s_or_saveexec_b32 s29, s29
	v_mov_b32_e32 v14, 0x7f800001
	s_xor_b32 exec_lo, exec_lo, s29
	s_cbranch_execnz .LBB4_1441
.LBB4_855:                              ;   in Loop: Header=BB4_130 Depth=2
	s_or_b32 exec_lo, exec_lo, s29
	s_and_saveexec_b32 s29, s13
	s_cbranch_execz .LBB4_857
.LBB4_856:                              ;   in Loop: Header=BB4_130 Depth=2
	v_and_b32_e32 v14, 3, v15
	v_bfe_u32 v59, v15, 2, 5
	v_lshlrev_b32_e32 v60, 24, v15
	v_ffbh_u32_e32 v57, v14
	v_cmp_eq_u32_e32 vcc_lo, 0, v59
	v_min_u32_e32 v57, 32, v57
	v_subrev_nc_u32_e32 v58, 29, v57
	v_sub_nc_u32_e32 v57, 30, v57
	v_lshlrev_b32_e32 v58, v58, v15
	v_cndmask_b32_e32 v57, v59, v57, vcc_lo
	v_and_b32_e32 v58, 3, v58
	v_lshl_add_u32 v57, v57, 23, 0x37800000
	v_cndmask_b32_e32 v14, v14, v58, vcc_lo
	v_and_b32_e32 v58, 0x80000000, v60
	v_lshlrev_b32_e32 v14, 21, v14
	v_or3_b32 v14, v58, v57, v14
.LBB4_857:                              ;   in Loop: Header=BB4_130 Depth=2
	s_or_b32 exec_lo, exec_lo, s29
	v_cmp_gt_i16_sdwa s29, v11, v112 src0_sel:BYTE_0 src1_sel:DWORD
	s_mov_b32 s13, 0
	s_and_saveexec_b32 s40, s29
	s_xor_b32 s29, exec_lo, s40
	s_cbranch_execz .LBB4_1442
; %bb.858:                              ;   in Loop: Header=BB4_130 Depth=2
	v_cmp_eq_u16_sdwa s41, v11, v113 src0_sel:BYTE_0 src1_sel:DWORD
	s_mov_b32 s13, -1
	s_and_saveexec_b32 s40, s41
; %bb.859:                              ;   in Loop: Header=BB4_130 Depth=2
	s_xor_b32 s13, exec_lo, -1
; %bb.860:                              ;   in Loop: Header=BB4_130 Depth=2
	s_or_b32 exec_lo, exec_lo, s40
	s_and_b32 s13, s13, exec_lo
	s_or_saveexec_b32 s29, s29
	v_mov_b32_e32 v57, 0x7f800001
	s_xor_b32 exec_lo, exec_lo, s29
	s_cbranch_execnz .LBB4_1443
.LBB4_861:                              ;   in Loop: Header=BB4_130 Depth=2
	s_or_b32 exec_lo, exec_lo, s29
	s_and_saveexec_b32 s29, s13
	s_cbranch_execz .LBB4_863
.LBB4_862:                              ;   in Loop: Header=BB4_130 Depth=2
	v_and_b32_e32 v57, 3, v11
	v_bfe_u32 v60, v11, 2, 5
	v_lshlrev_b32_e32 v61, 24, v11
	v_ffbh_u32_e32 v58, v57
	v_cmp_eq_u32_e32 vcc_lo, 0, v60
	v_min_u32_e32 v58, 32, v58
	v_subrev_nc_u32_e32 v59, 29, v58
	v_sub_nc_u32_e32 v58, 30, v58
	v_lshlrev_b32_e32 v59, v59, v11
	v_cndmask_b32_e32 v58, v60, v58, vcc_lo
	v_and_b32_e32 v59, 3, v59
	v_lshl_add_u32 v58, v58, 23, 0x37800000
	v_cndmask_b32_e32 v57, v57, v59, vcc_lo
	v_and_b32_e32 v59, 0x80000000, v61
	v_lshlrev_b32_e32 v57, 21, v57
	v_or3_b32 v57, v59, v58, v57
.LBB4_863:                              ;   in Loop: Header=BB4_130 Depth=2
	s_or_b32 exec_lo, exec_lo, s29
	v_max_f32_e32 v57, v57, v57
	v_max_f32_e32 v14, v14, v14
	s_mov_b32 s13, 0
	v_max_f32_e32 v57, v14, v57
.LBB4_864:                              ;   in Loop: Header=BB4_130 Depth=2
	s_and_b32 vcc_lo, exec_lo, s13
	s_cbranch_vccz .LBB4_878
; %bb.865:                              ;   in Loop: Header=BB4_130 Depth=2
	v_cmp_gt_i16_sdwa s29, v15, v112 src0_sel:BYTE_0 src1_sel:DWORD
	s_mov_b32 s13, 0
	s_and_saveexec_b32 s40, s29
	s_xor_b32 s29, exec_lo, s40
	s_cbranch_execz .LBB4_1444
; %bb.866:                              ;   in Loop: Header=BB4_130 Depth=2
	v_cmp_eq_u16_sdwa s41, v15, v113 src0_sel:BYTE_0 src1_sel:DWORD
	s_mov_b32 s13, -1
	s_and_saveexec_b32 s40, s41
; %bb.867:                              ;   in Loop: Header=BB4_130 Depth=2
	s_xor_b32 s13, exec_lo, -1
; %bb.868:                              ;   in Loop: Header=BB4_130 Depth=2
	s_or_b32 exec_lo, exec_lo, s40
	s_and_b32 s13, s13, exec_lo
	s_or_saveexec_b32 s29, s29
	v_mov_b32_e32 v14, 0x7f800001
	s_xor_b32 exec_lo, exec_lo, s29
	s_cbranch_execnz .LBB4_1445
.LBB4_869:                              ;   in Loop: Header=BB4_130 Depth=2
	s_or_b32 exec_lo, exec_lo, s29
	s_and_saveexec_b32 s29, s13
	s_cbranch_execz .LBB4_871
.LBB4_870:                              ;   in Loop: Header=BB4_130 Depth=2
	v_and_b32_e32 v14, 3, v15
	v_bfe_u32 v59, v15, 2, 5
	v_lshlrev_b32_e32 v60, 24, v15
	v_ffbh_u32_e32 v57, v14
	v_cmp_eq_u32_e32 vcc_lo, 0, v59
	v_min_u32_e32 v57, 32, v57
	v_subrev_nc_u32_e32 v58, 29, v57
	v_sub_nc_u32_e32 v57, 30, v57
	v_lshlrev_b32_e32 v58, v58, v15
	v_cndmask_b32_e32 v57, v59, v57, vcc_lo
	v_and_b32_e32 v58, 3, v58
	v_lshl_add_u32 v57, v57, 23, 0x37800000
	v_cndmask_b32_e32 v14, v14, v58, vcc_lo
	v_and_b32_e32 v58, 0x80000000, v60
	v_lshlrev_b32_e32 v14, 21, v14
	v_or3_b32 v14, v58, v57, v14
.LBB4_871:                              ;   in Loop: Header=BB4_130 Depth=2
	s_or_b32 exec_lo, exec_lo, s29
	v_cmp_gt_i16_sdwa s29, v11, v112 src0_sel:BYTE_0 src1_sel:DWORD
	s_mov_b32 s13, 0
	s_and_saveexec_b32 s40, s29
	s_xor_b32 s29, exec_lo, s40
	s_cbranch_execz .LBB4_1446
; %bb.872:                              ;   in Loop: Header=BB4_130 Depth=2
	v_cmp_eq_u16_sdwa s41, v11, v113 src0_sel:BYTE_0 src1_sel:DWORD
	s_mov_b32 s13, -1
	s_and_saveexec_b32 s40, s41
; %bb.873:                              ;   in Loop: Header=BB4_130 Depth=2
	s_xor_b32 s13, exec_lo, -1
; %bb.874:                              ;   in Loop: Header=BB4_130 Depth=2
	s_or_b32 exec_lo, exec_lo, s40
	s_and_b32 s13, s13, exec_lo
	s_or_saveexec_b32 s29, s29
	v_mov_b32_e32 v57, 0x7f800001
	s_xor_b32 exec_lo, exec_lo, s29
	s_cbranch_execnz .LBB4_1447
.LBB4_875:                              ;   in Loop: Header=BB4_130 Depth=2
	s_or_b32 exec_lo, exec_lo, s29
	s_and_saveexec_b32 s29, s13
	s_cbranch_execz .LBB4_877
.LBB4_876:                              ;   in Loop: Header=BB4_130 Depth=2
	v_and_b32_e32 v57, 3, v11
	v_bfe_u32 v60, v11, 2, 5
	v_lshlrev_b32_e32 v61, 24, v11
	v_ffbh_u32_e32 v58, v57
	v_cmp_eq_u32_e32 vcc_lo, 0, v60
	v_min_u32_e32 v58, 32, v58
	v_subrev_nc_u32_e32 v59, 29, v58
	v_sub_nc_u32_e32 v58, 30, v58
	v_lshlrev_b32_e32 v59, v59, v11
	v_cndmask_b32_e32 v58, v60, v58, vcc_lo
	v_and_b32_e32 v59, 3, v59
	v_lshl_add_u32 v58, v58, 23, 0x37800000
	v_cndmask_b32_e32 v57, v57, v59, vcc_lo
	v_and_b32_e32 v59, 0x80000000, v61
	v_lshlrev_b32_e32 v57, 21, v57
	v_or3_b32 v57, v59, v58, v57
.LBB4_877:                              ;   in Loop: Header=BB4_130 Depth=2
	s_or_b32 exec_lo, exec_lo, s29
	v_max_f32_e32 v57, v57, v57
	v_max_f32_e32 v14, v14, v14
	v_min_f32_e32 v57, v14, v57
.LBB4_878:                              ;   in Loop: Header=BB4_130 Depth=2
	v_and_b32_e32 v14, 0x7f800000, v57
	v_cmp_ne_u32_e32 vcc_lo, 0x7f800000, v14
	v_mov_b32_e32 v14, 0x80
	s_and_saveexec_b32 s29, vcc_lo
	s_cbranch_execz .LBB4_886
; %bb.879:                              ;   in Loop: Header=BB4_130 Depth=2
	v_mov_b32_e32 v14, 0
	s_mov_b32 s40, exec_lo
	v_cmpx_ne_u32_e32 0, v57
	s_cbranch_execz .LBB4_885
; %bb.880:                              ;   in Loop: Header=BB4_130 Depth=2
	v_bfe_u32 v14, v57, 23, 8
	v_and_b32_e32 v58, 0x7fffff, v57
	v_sub_nc_u32_e32 v59, 0x70, v14
	v_cmp_gt_u32_e32 vcc_lo, 0x71, v14
	v_or_b32_e32 v60, 0x800000, v58
	v_cndmask_b32_e32 v59, 0, v59, vcc_lo
	v_cmp_eq_u32_e32 vcc_lo, 0, v14
	v_add_nc_u32_e32 v14, 0xffffff91, v14
	v_cndmask_b32_e64 v59, v59, 0x6f, vcc_lo
	v_cndmask_b32_e32 v58, v60, v58, vcc_lo
	v_cndmask_b32_e64 v14, v14, 0xffffff92, vcc_lo
	v_lshl_add_u32 v60, 0x200000, v59, -1
	v_lshrrev_b32_e32 v61, v59, v58
	v_lshlrev_b32_e64 v63, v59, 0x100000
	v_add_nc_u32_e32 v59, v59, v14
	v_and_b32_e32 v58, v60, v58
	v_bfe_u32 v62, v61, 21, 1
	v_cmp_eq_u32_e64 s13, v58, v63
	v_add_nc_u32_e32 v60, -1, v62
	v_cndmask_b32_e64 v58, 0, v60, s13
	v_lshrrev_b32_e32 v60, 23, v61
	s_mov_b32 s13, exec_lo
	v_add_nc_u32_e32 v58, v58, v61
	v_xor_b32_e32 v60, 1, v60
	v_and_b32_e32 v14, 0x1fffff, v58
	v_add_nc_u32_e32 v58, v14, v61
                                        ; implicit-def: $vgpr14
	v_cmpx_ne_u32_e64 v59, v60
	s_xor_b32 s13, exec_lo, s13
; %bb.881:                              ;   in Loop: Header=BB4_130 Depth=2
	v_cmp_lt_u32_e32 vcc_lo, 0xffffff, v58
	v_sub_nc_u32_e32 v14, v59, v60
	v_cndmask_b32_e64 v59, 0, 1, vcc_lo
	v_add_co_ci_u32_e64 v14, null, 0, v14, vcc_lo
	v_lshrrev_b32_e32 v58, v59, v58
; %bb.882:                              ;   in Loop: Header=BB4_130 Depth=2
	s_andn2_saveexec_b32 s13, s13
; %bb.883:                              ;   in Loop: Header=BB4_130 Depth=2
	v_bfe_u32 v14, v58, 23, 1
; %bb.884:                              ;   in Loop: Header=BB4_130 Depth=2
	s_or_b32 exec_lo, exec_lo, s13
	v_lshrrev_b32_e32 v58, 21, v58
	v_min_i32_e32 v59, 31, v14
	v_cmp_gt_i32_e32 vcc_lo, 32, v14
	v_and_b32_sdwa v57, v57, v113 dst_sel:DWORD dst_unused:UNUSED_PAD src0_sel:BYTE_3 src1_sel:DWORD
	v_lshlrev_b32_e32 v59, 2, v59
	v_cndmask_b32_e32 v58, 3, v58, vcc_lo
	v_and_b32_e32 v59, 0xfc, v59
	v_and_b32_e32 v60, 3, v58
	v_or_b32_e32 v14, v14, v58
	v_or3_b32 v57, v59, v57, v60
	v_cmp_ne_u32_e32 vcc_lo, 0, v14
	v_cndmask_b32_e32 v14, 0, v57, vcc_lo
.LBB4_885:                              ;   in Loop: Header=BB4_130 Depth=2
	s_or_b32 exec_lo, exec_lo, s40
.LBB4_886:                              ;   in Loop: Header=BB4_130 Depth=2
	s_or_b32 exec_lo, exec_lo, s29
	v_cmp_gt_i16_sdwa s29, v15, v112 src0_sel:BYTE_1 src1_sel:DWORD
	s_andn2_b32 vcc_lo, exec_lo, s28
	s_mov_b32 s13, -1
                                        ; implicit-def: $vgpr58
	s_cbranch_vccnz .LBB4_900
; %bb.887:                              ;   in Loop: Header=BB4_130 Depth=2
	s_mov_b32 s13, 0
	s_and_saveexec_b32 s40, s29
	s_xor_b32 s29, exec_lo, s40
	s_cbranch_execz .LBB4_1448
; %bb.888:                              ;   in Loop: Header=BB4_130 Depth=2
	v_cmp_eq_u16_sdwa s41, v15, v113 src0_sel:BYTE_1 src1_sel:DWORD
	s_mov_b32 s13, -1
	s_and_saveexec_b32 s40, s41
; %bb.889:                              ;   in Loop: Header=BB4_130 Depth=2
	s_xor_b32 s13, exec_lo, -1
; %bb.890:                              ;   in Loop: Header=BB4_130 Depth=2
	s_or_b32 exec_lo, exec_lo, s40
	s_and_b32 s13, s13, exec_lo
	s_or_saveexec_b32 s29, s29
	v_mov_b32_e32 v57, 0x7f800001
	s_xor_b32 exec_lo, exec_lo, s29
	s_cbranch_execnz .LBB4_1449
.LBB4_891:                              ;   in Loop: Header=BB4_130 Depth=2
	s_or_b32 exec_lo, exec_lo, s29
	s_and_saveexec_b32 s29, s13
	s_cbranch_execz .LBB4_893
.LBB4_892:                              ;   in Loop: Header=BB4_130 Depth=2
	v_and_b32_sdwa v57, v114, v15 dst_sel:DWORD dst_unused:UNUSED_PAD src0_sel:DWORD src1_sel:BYTE_1
	v_and_b32_e32 v58, 3, v57
	v_bfe_u32 v61, v57, 2, 5
	v_ffbh_u32_e32 v59, v58
	v_cmp_eq_u32_e32 vcc_lo, 0, v61
	v_min_u32_e32 v59, 32, v59
	v_subrev_nc_u32_e32 v60, 29, v59
	v_sub_nc_u32_e32 v59, 30, v59
	v_lshlrev_b32_e32 v57, v60, v57
	v_lshlrev_b32_e32 v60, 16, v15
	v_cndmask_b32_e32 v59, v61, v59, vcc_lo
	v_and_b32_e32 v57, 3, v57
	v_lshl_add_u32 v59, v59, 23, 0x37800000
	v_cndmask_b32_e32 v57, v58, v57, vcc_lo
	v_and_b32_e32 v58, 0x80000000, v60
	v_lshlrev_b32_e32 v57, 21, v57
	v_or3_b32 v57, v58, v59, v57
.LBB4_893:                              ;   in Loop: Header=BB4_130 Depth=2
	s_or_b32 exec_lo, exec_lo, s29
	v_cmp_gt_i16_sdwa s29, v11, v112 src0_sel:BYTE_1 src1_sel:DWORD
	s_mov_b32 s13, 0
	s_and_saveexec_b32 s40, s29
	s_xor_b32 s29, exec_lo, s40
	s_cbranch_execz .LBB4_1450
; %bb.894:                              ;   in Loop: Header=BB4_130 Depth=2
	v_cmp_eq_u16_sdwa s41, v11, v113 src0_sel:BYTE_1 src1_sel:DWORD
	s_mov_b32 s13, -1
	s_and_saveexec_b32 s40, s41
; %bb.895:                              ;   in Loop: Header=BB4_130 Depth=2
	s_xor_b32 s13, exec_lo, -1
; %bb.896:                              ;   in Loop: Header=BB4_130 Depth=2
	s_or_b32 exec_lo, exec_lo, s40
	s_and_b32 s13, s13, exec_lo
	s_or_saveexec_b32 s29, s29
	v_mov_b32_e32 v58, 0x7f800001
	s_xor_b32 exec_lo, exec_lo, s29
	s_cbranch_execnz .LBB4_1451
.LBB4_897:                              ;   in Loop: Header=BB4_130 Depth=2
	s_or_b32 exec_lo, exec_lo, s29
	s_and_saveexec_b32 s29, s13
	s_cbranch_execz .LBB4_899
.LBB4_898:                              ;   in Loop: Header=BB4_130 Depth=2
	v_and_b32_sdwa v58, v114, v11 dst_sel:DWORD dst_unused:UNUSED_PAD src0_sel:DWORD src1_sel:BYTE_1
	v_and_b32_e32 v59, 3, v58
	v_bfe_u32 v62, v58, 2, 5
	v_ffbh_u32_e32 v60, v59
	v_cmp_eq_u32_e32 vcc_lo, 0, v62
	v_min_u32_e32 v60, 32, v60
	v_subrev_nc_u32_e32 v61, 29, v60
	v_sub_nc_u32_e32 v60, 30, v60
	v_lshlrev_b32_e32 v58, v61, v58
	v_lshlrev_b32_e32 v61, 16, v11
	v_cndmask_b32_e32 v60, v62, v60, vcc_lo
	v_and_b32_e32 v58, 3, v58
	v_lshl_add_u32 v60, v60, 23, 0x37800000
	v_cndmask_b32_e32 v58, v59, v58, vcc_lo
	v_and_b32_e32 v59, 0x80000000, v61
	v_lshlrev_b32_e32 v58, 21, v58
	v_or3_b32 v58, v59, v60, v58
.LBB4_899:                              ;   in Loop: Header=BB4_130 Depth=2
	s_or_b32 exec_lo, exec_lo, s29
	v_max_f32_e32 v58, v58, v58
	v_max_f32_e32 v57, v57, v57
	s_mov_b32 s13, 0
	v_max_f32_e32 v58, v57, v58
.LBB4_900:                              ;   in Loop: Header=BB4_130 Depth=2
	s_and_b32 vcc_lo, exec_lo, s13
	s_cbranch_vccz .LBB4_914
; %bb.901:                              ;   in Loop: Header=BB4_130 Depth=2
	v_cmp_gt_i16_sdwa s29, v15, v112 src0_sel:BYTE_1 src1_sel:DWORD
	s_mov_b32 s13, 0
	s_and_saveexec_b32 s40, s29
	s_xor_b32 s29, exec_lo, s40
	s_cbranch_execz .LBB4_1452
; %bb.902:                              ;   in Loop: Header=BB4_130 Depth=2
	v_cmp_eq_u16_sdwa s41, v15, v113 src0_sel:BYTE_1 src1_sel:DWORD
	s_mov_b32 s13, -1
	s_and_saveexec_b32 s40, s41
; %bb.903:                              ;   in Loop: Header=BB4_130 Depth=2
	s_xor_b32 s13, exec_lo, -1
; %bb.904:                              ;   in Loop: Header=BB4_130 Depth=2
	s_or_b32 exec_lo, exec_lo, s40
	s_and_b32 s13, s13, exec_lo
	s_or_saveexec_b32 s29, s29
	v_mov_b32_e32 v57, 0x7f800001
	s_xor_b32 exec_lo, exec_lo, s29
	s_cbranch_execnz .LBB4_1453
.LBB4_905:                              ;   in Loop: Header=BB4_130 Depth=2
	s_or_b32 exec_lo, exec_lo, s29
	s_and_saveexec_b32 s29, s13
	s_cbranch_execz .LBB4_907
.LBB4_906:                              ;   in Loop: Header=BB4_130 Depth=2
	v_and_b32_sdwa v57, v114, v15 dst_sel:DWORD dst_unused:UNUSED_PAD src0_sel:DWORD src1_sel:BYTE_1
	v_and_b32_e32 v58, 3, v57
	v_bfe_u32 v61, v57, 2, 5
	v_ffbh_u32_e32 v59, v58
	v_cmp_eq_u32_e32 vcc_lo, 0, v61
	v_min_u32_e32 v59, 32, v59
	v_subrev_nc_u32_e32 v60, 29, v59
	v_sub_nc_u32_e32 v59, 30, v59
	v_lshlrev_b32_e32 v57, v60, v57
	v_lshlrev_b32_e32 v60, 16, v15
	v_cndmask_b32_e32 v59, v61, v59, vcc_lo
	v_and_b32_e32 v57, 3, v57
	v_lshl_add_u32 v59, v59, 23, 0x37800000
	v_cndmask_b32_e32 v57, v58, v57, vcc_lo
	v_and_b32_e32 v58, 0x80000000, v60
	v_lshlrev_b32_e32 v57, 21, v57
	v_or3_b32 v57, v58, v59, v57
.LBB4_907:                              ;   in Loop: Header=BB4_130 Depth=2
	s_or_b32 exec_lo, exec_lo, s29
	v_cmp_gt_i16_sdwa s29, v11, v112 src0_sel:BYTE_1 src1_sel:DWORD
	s_mov_b32 s13, 0
	s_and_saveexec_b32 s40, s29
	s_xor_b32 s29, exec_lo, s40
	s_cbranch_execz .LBB4_1454
; %bb.908:                              ;   in Loop: Header=BB4_130 Depth=2
	v_cmp_eq_u16_sdwa s41, v11, v113 src0_sel:BYTE_1 src1_sel:DWORD
	s_mov_b32 s13, -1
	s_and_saveexec_b32 s40, s41
; %bb.909:                              ;   in Loop: Header=BB4_130 Depth=2
	s_xor_b32 s13, exec_lo, -1
; %bb.910:                              ;   in Loop: Header=BB4_130 Depth=2
	s_or_b32 exec_lo, exec_lo, s40
	s_and_b32 s13, s13, exec_lo
	s_or_saveexec_b32 s29, s29
	v_mov_b32_e32 v58, 0x7f800001
	s_xor_b32 exec_lo, exec_lo, s29
	s_cbranch_execnz .LBB4_1455
.LBB4_911:                              ;   in Loop: Header=BB4_130 Depth=2
	s_or_b32 exec_lo, exec_lo, s29
	s_and_saveexec_b32 s29, s13
	s_cbranch_execz .LBB4_913
.LBB4_912:                              ;   in Loop: Header=BB4_130 Depth=2
	v_and_b32_sdwa v58, v114, v11 dst_sel:DWORD dst_unused:UNUSED_PAD src0_sel:DWORD src1_sel:BYTE_1
	v_and_b32_e32 v59, 3, v58
	v_bfe_u32 v62, v58, 2, 5
	v_ffbh_u32_e32 v60, v59
	v_cmp_eq_u32_e32 vcc_lo, 0, v62
	v_min_u32_e32 v60, 32, v60
	v_subrev_nc_u32_e32 v61, 29, v60
	v_sub_nc_u32_e32 v60, 30, v60
	v_lshlrev_b32_e32 v58, v61, v58
	v_lshlrev_b32_e32 v61, 16, v11
	v_cndmask_b32_e32 v60, v62, v60, vcc_lo
	v_and_b32_e32 v58, 3, v58
	v_lshl_add_u32 v60, v60, 23, 0x37800000
	v_cndmask_b32_e32 v58, v59, v58, vcc_lo
	v_and_b32_e32 v59, 0x80000000, v61
	v_lshlrev_b32_e32 v58, 21, v58
	v_or3_b32 v58, v59, v60, v58
.LBB4_913:                              ;   in Loop: Header=BB4_130 Depth=2
	s_or_b32 exec_lo, exec_lo, s29
	v_max_f32_e32 v58, v58, v58
	v_max_f32_e32 v57, v57, v57
	v_min_f32_e32 v58, v57, v58
.LBB4_914:                              ;   in Loop: Header=BB4_130 Depth=2
	v_and_b32_e32 v57, 0x7f800000, v58
	v_cmp_ne_u32_e32 vcc_lo, 0x7f800000, v57
	v_mov_b32_e32 v57, 0x8000
	s_and_saveexec_b32 s29, vcc_lo
	s_cbranch_execz .LBB4_922
; %bb.915:                              ;   in Loop: Header=BB4_130 Depth=2
	v_mov_b32_e32 v57, 0
	s_mov_b32 s40, exec_lo
	v_cmpx_ne_u32_e32 0, v58
	s_cbranch_execz .LBB4_921
; %bb.916:                              ;   in Loop: Header=BB4_130 Depth=2
	v_bfe_u32 v57, v58, 23, 8
	v_and_b32_e32 v59, 0x7fffff, v58
	v_sub_nc_u32_e32 v60, 0x70, v57
	v_cmp_gt_u32_e32 vcc_lo, 0x71, v57
	v_or_b32_e32 v61, 0x800000, v59
	v_cndmask_b32_e32 v60, 0, v60, vcc_lo
	v_cmp_eq_u32_e32 vcc_lo, 0, v57
	v_add_nc_u32_e32 v57, 0xffffff91, v57
	v_cndmask_b32_e64 v60, v60, 0x6f, vcc_lo
	v_cndmask_b32_e32 v59, v61, v59, vcc_lo
	v_cndmask_b32_e64 v57, v57, 0xffffff92, vcc_lo
	v_lshl_add_u32 v61, 0x200000, v60, -1
	v_lshrrev_b32_e32 v62, v60, v59
	v_lshlrev_b32_e64 v72, v60, 0x100000
	v_add_nc_u32_e32 v60, v60, v57
	v_and_b32_e32 v59, v61, v59
	v_bfe_u32 v63, v62, 21, 1
	v_cmp_eq_u32_e64 s13, v59, v72
	v_add_nc_u32_e32 v61, -1, v63
	v_cndmask_b32_e64 v59, 0, v61, s13
	v_lshrrev_b32_e32 v61, 23, v62
	s_mov_b32 s13, exec_lo
	v_add_nc_u32_e32 v59, v59, v62
	v_xor_b32_e32 v61, 1, v61
	v_and_b32_e32 v57, 0x1fffff, v59
	v_add_nc_u32_e32 v59, v57, v62
                                        ; implicit-def: $vgpr57
	v_cmpx_ne_u32_e64 v60, v61
	s_xor_b32 s13, exec_lo, s13
; %bb.917:                              ;   in Loop: Header=BB4_130 Depth=2
	v_cmp_lt_u32_e32 vcc_lo, 0xffffff, v59
	v_sub_nc_u32_e32 v57, v60, v61
	v_cndmask_b32_e64 v60, 0, 1, vcc_lo
	v_add_co_ci_u32_e64 v57, null, 0, v57, vcc_lo
	v_lshrrev_b32_e32 v59, v60, v59
; %bb.918:                              ;   in Loop: Header=BB4_130 Depth=2
	s_andn2_saveexec_b32 s13, s13
; %bb.919:                              ;   in Loop: Header=BB4_130 Depth=2
	v_bfe_u32 v57, v59, 23, 1
; %bb.920:                              ;   in Loop: Header=BB4_130 Depth=2
	s_or_b32 exec_lo, exec_lo, s13
	v_lshrrev_b32_e32 v59, 21, v59
	v_min_i32_e32 v60, 31, v57
	v_cmp_gt_i32_e32 vcc_lo, 32, v57
	v_and_b32_sdwa v58, v58, v113 dst_sel:DWORD dst_unused:UNUSED_PAD src0_sel:BYTE_3 src1_sel:DWORD
	v_lshlrev_b32_e32 v60, 2, v60
	v_cndmask_b32_e32 v59, 3, v59, vcc_lo
	v_and_b32_e32 v60, 0xfc, v60
	v_and_b32_e32 v61, 3, v59
	v_or_b32_e32 v57, v57, v59
	v_or3_b32 v58, v58, v60, v61
	v_cmp_ne_u32_e32 vcc_lo, 0, v57
	v_lshlrev_b32_e32 v58, 8, v58
	v_cndmask_b32_e32 v57, 0, v58, vcc_lo
.LBB4_921:                              ;   in Loop: Header=BB4_130 Depth=2
	s_or_b32 exec_lo, exec_lo, s40
.LBB4_922:                              ;   in Loop: Header=BB4_130 Depth=2
	s_or_b32 exec_lo, exec_lo, s29
	v_and_b32_sdwa v58, v15, v115 dst_sel:DWORD dst_unused:UNUSED_PAD src0_sel:WORD_1 src1_sel:DWORD
	s_andn2_b32 vcc_lo, exec_lo, s28
	s_mov_b32 s29, -1
                                        ; implicit-def: $vgpr59
	v_cmp_lt_i16_e64 s13, 0x7f, v58
	s_cbranch_vccnz .LBB4_936
; %bb.923:                              ;   in Loop: Header=BB4_130 Depth=2
	s_mov_b32 s29, 0
	s_and_saveexec_b32 s40, s13
	s_xor_b32 s13, exec_lo, s40
	s_cbranch_execz .LBB4_1456
; %bb.924:                              ;   in Loop: Header=BB4_130 Depth=2
	s_mov_b32 s29, -1
	s_mov_b32 s40, exec_lo
	v_cmpx_eq_u16_e32 0x80, v58
; %bb.925:                              ;   in Loop: Header=BB4_130 Depth=2
	s_xor_b32 s29, exec_lo, -1
; %bb.926:                              ;   in Loop: Header=BB4_130 Depth=2
	s_or_b32 exec_lo, exec_lo, s40
	s_and_b32 s29, s29, exec_lo
	s_or_saveexec_b32 s13, s13
	v_mov_b32_e32 v59, 0x7f800001
	s_xor_b32 exec_lo, exec_lo, s13
	s_cbranch_execnz .LBB4_1457
.LBB4_927:                              ;   in Loop: Header=BB4_130 Depth=2
	s_or_b32 exec_lo, exec_lo, s13
	s_and_saveexec_b32 s13, s29
	s_cbranch_execz .LBB4_929
.LBB4_928:                              ;   in Loop: Header=BB4_130 Depth=2
	v_bfe_u32 v59, v15, 16, 2
	v_bfe_u32 v62, v15, 18, 5
	v_lshlrev_b32_sdwa v63, v116, v15 dst_sel:DWORD dst_unused:UNUSED_PAD src0_sel:DWORD src1_sel:WORD_1
	v_ffbh_u32_e32 v60, v59
	v_cmp_eq_u32_e32 vcc_lo, 0, v62
	v_min_u32_e32 v60, 32, v60
	v_subrev_nc_u32_e32 v61, 29, v60
	v_sub_nc_u32_e32 v60, 30, v60
	v_lshlrev_b32_sdwa v61, v61, v15 dst_sel:DWORD dst_unused:UNUSED_PAD src0_sel:DWORD src1_sel:WORD_1
	v_cndmask_b32_e32 v60, v62, v60, vcc_lo
	v_and_b32_e32 v61, 3, v61
	v_lshl_add_u32 v60, v60, 23, 0x37800000
	v_cndmask_b32_e32 v59, v59, v61, vcc_lo
	v_and_b32_e32 v61, 0x80000000, v63
	v_lshlrev_b32_e32 v59, 21, v59
	v_or3_b32 v59, v61, v60, v59
.LBB4_929:                              ;   in Loop: Header=BB4_130 Depth=2
	s_or_b32 exec_lo, exec_lo, s13
	v_and_b32_sdwa v61, v11, v115 dst_sel:DWORD dst_unused:UNUSED_PAD src0_sel:WORD_1 src1_sel:DWORD
	s_mov_b32 s13, 0
	s_mov_b32 s29, exec_lo
	v_cmpx_lt_i16_e32 0x7f, v61
	s_xor_b32 s29, exec_lo, s29
	s_cbranch_execz .LBB4_1458
; %bb.930:                              ;   in Loop: Header=BB4_130 Depth=2
	s_mov_b32 s13, -1
	s_mov_b32 s40, exec_lo
	v_cmpx_eq_u16_e32 0x80, v61
; %bb.931:                              ;   in Loop: Header=BB4_130 Depth=2
	s_xor_b32 s13, exec_lo, -1
; %bb.932:                              ;   in Loop: Header=BB4_130 Depth=2
	s_or_b32 exec_lo, exec_lo, s40
	s_and_b32 s13, s13, exec_lo
                                        ; implicit-def: $vgpr61
	s_or_saveexec_b32 s29, s29
	v_mov_b32_e32 v60, 0x7f800001
	s_xor_b32 exec_lo, exec_lo, s29
	s_cbranch_execnz .LBB4_1459
.LBB4_933:                              ;   in Loop: Header=BB4_130 Depth=2
	s_or_b32 exec_lo, exec_lo, s29
	s_and_saveexec_b32 s29, s13
	s_cbranch_execz .LBB4_935
.LBB4_934:                              ;   in Loop: Header=BB4_130 Depth=2
	v_bfe_u32 v60, v11, 16, 2
	v_bfe_u32 v63, v11, 18, 5
	v_lshlrev_b32_sdwa v72, v116, v11 dst_sel:DWORD dst_unused:UNUSED_PAD src0_sel:DWORD src1_sel:WORD_1
	v_ffbh_u32_e32 v61, v60
	v_cmp_eq_u32_e32 vcc_lo, 0, v63
	v_min_u32_e32 v61, 32, v61
	v_subrev_nc_u32_e32 v62, 29, v61
	v_sub_nc_u32_e32 v61, 30, v61
	v_lshlrev_b32_sdwa v62, v62, v11 dst_sel:DWORD dst_unused:UNUSED_PAD src0_sel:DWORD src1_sel:WORD_1
	v_cndmask_b32_e32 v61, v63, v61, vcc_lo
	v_and_b32_e32 v62, 3, v62
	v_lshl_add_u32 v61, v61, 23, 0x37800000
	v_cndmask_b32_e32 v60, v60, v62, vcc_lo
	v_and_b32_e32 v62, 0x80000000, v72
	v_lshlrev_b32_e32 v60, 21, v60
	v_or3_b32 v60, v62, v61, v60
.LBB4_935:                              ;   in Loop: Header=BB4_130 Depth=2
	s_or_b32 exec_lo, exec_lo, s29
	v_max_f32_e32 v60, v60, v60
	v_max_f32_e32 v59, v59, v59
	s_mov_b32 s29, 0
	v_max_f32_e32 v59, v59, v60
.LBB4_936:                              ;   in Loop: Header=BB4_130 Depth=2
	s_and_b32 vcc_lo, exec_lo, s29
	s_cbranch_vccz .LBB4_950
; %bb.937:                              ;   in Loop: Header=BB4_130 Depth=2
	s_mov_b32 s13, 0
	s_mov_b32 s29, exec_lo
	v_cmpx_lt_i16_e32 0x7f, v58
	s_xor_b32 s29, exec_lo, s29
	s_cbranch_execz .LBB4_1460
; %bb.938:                              ;   in Loop: Header=BB4_130 Depth=2
	s_mov_b32 s13, -1
	s_mov_b32 s40, exec_lo
	v_cmpx_eq_u16_e32 0x80, v58
; %bb.939:                              ;   in Loop: Header=BB4_130 Depth=2
	s_xor_b32 s13, exec_lo, -1
; %bb.940:                              ;   in Loop: Header=BB4_130 Depth=2
	s_or_b32 exec_lo, exec_lo, s40
	s_and_b32 s13, s13, exec_lo
                                        ; implicit-def: $vgpr58
	s_or_saveexec_b32 s29, s29
	v_mov_b32_e32 v59, 0x7f800001
	s_xor_b32 exec_lo, exec_lo, s29
	s_cbranch_execnz .LBB4_1461
.LBB4_941:                              ;   in Loop: Header=BB4_130 Depth=2
	s_or_b32 exec_lo, exec_lo, s29
	s_and_saveexec_b32 s29, s13
	s_cbranch_execz .LBB4_943
.LBB4_942:                              ;   in Loop: Header=BB4_130 Depth=2
	v_bfe_u32 v58, v15, 16, 2
	v_bfe_u32 v61, v15, 18, 5
	v_lshlrev_b32_sdwa v62, v116, v15 dst_sel:DWORD dst_unused:UNUSED_PAD src0_sel:DWORD src1_sel:WORD_1
	v_ffbh_u32_e32 v59, v58
	v_cmp_eq_u32_e32 vcc_lo, 0, v61
	v_min_u32_e32 v59, 32, v59
	v_subrev_nc_u32_e32 v60, 29, v59
	v_sub_nc_u32_e32 v59, 30, v59
	v_lshlrev_b32_sdwa v60, v60, v15 dst_sel:DWORD dst_unused:UNUSED_PAD src0_sel:DWORD src1_sel:WORD_1
	v_cndmask_b32_e32 v59, v61, v59, vcc_lo
	v_and_b32_e32 v60, 3, v60
	v_lshl_add_u32 v59, v59, 23, 0x37800000
	v_cndmask_b32_e32 v58, v58, v60, vcc_lo
	v_and_b32_e32 v60, 0x80000000, v62
	v_lshlrev_b32_e32 v58, 21, v58
	v_or3_b32 v59, v60, v59, v58
.LBB4_943:                              ;   in Loop: Header=BB4_130 Depth=2
	s_or_b32 exec_lo, exec_lo, s29
	v_and_b32_sdwa v60, v11, v115 dst_sel:DWORD dst_unused:UNUSED_PAD src0_sel:WORD_1 src1_sel:DWORD
	s_mov_b32 s13, 0
	s_mov_b32 s29, exec_lo
	v_cmpx_lt_i16_e32 0x7f, v60
	s_xor_b32 s29, exec_lo, s29
	s_cbranch_execz .LBB4_1462
; %bb.944:                              ;   in Loop: Header=BB4_130 Depth=2
	s_mov_b32 s13, -1
	s_mov_b32 s40, exec_lo
	v_cmpx_eq_u16_e32 0x80, v60
; %bb.945:                              ;   in Loop: Header=BB4_130 Depth=2
	s_xor_b32 s13, exec_lo, -1
; %bb.946:                              ;   in Loop: Header=BB4_130 Depth=2
	s_or_b32 exec_lo, exec_lo, s40
	s_and_b32 s13, s13, exec_lo
                                        ; implicit-def: $vgpr60
	s_or_saveexec_b32 s29, s29
	v_mov_b32_e32 v58, 0x7f800001
	s_xor_b32 exec_lo, exec_lo, s29
	s_cbranch_execnz .LBB4_1463
.LBB4_947:                              ;   in Loop: Header=BB4_130 Depth=2
	s_or_b32 exec_lo, exec_lo, s29
	s_and_saveexec_b32 s29, s13
	s_cbranch_execz .LBB4_949
.LBB4_948:                              ;   in Loop: Header=BB4_130 Depth=2
	v_bfe_u32 v58, v11, 16, 2
	v_bfe_u32 v62, v11, 18, 5
	v_lshlrev_b32_sdwa v63, v116, v11 dst_sel:DWORD dst_unused:UNUSED_PAD src0_sel:DWORD src1_sel:WORD_1
	v_ffbh_u32_e32 v60, v58
	v_cmp_eq_u32_e32 vcc_lo, 0, v62
	v_min_u32_e32 v60, 32, v60
	v_subrev_nc_u32_e32 v61, 29, v60
	v_sub_nc_u32_e32 v60, 30, v60
	v_lshlrev_b32_sdwa v61, v61, v11 dst_sel:DWORD dst_unused:UNUSED_PAD src0_sel:DWORD src1_sel:WORD_1
	v_cndmask_b32_e32 v60, v62, v60, vcc_lo
	v_and_b32_e32 v61, 3, v61
	v_lshl_add_u32 v60, v60, 23, 0x37800000
	v_cndmask_b32_e32 v58, v58, v61, vcc_lo
	v_and_b32_e32 v61, 0x80000000, v63
	v_lshlrev_b32_e32 v58, 21, v58
	v_or3_b32 v58, v61, v60, v58
.LBB4_949:                              ;   in Loop: Header=BB4_130 Depth=2
	s_or_b32 exec_lo, exec_lo, s29
	v_max_f32_e32 v58, v58, v58
	v_max_f32_e32 v59, v59, v59
	v_min_f32_e32 v59, v59, v58
.LBB4_950:                              ;   in Loop: Header=BB4_130 Depth=2
	v_and_b32_e32 v58, 0x7f800000, v59
	v_cmp_ne_u32_e32 vcc_lo, 0x7f800000, v58
	v_mov_b32_e32 v58, 0x80
	s_and_saveexec_b32 s29, vcc_lo
	s_cbranch_execz .LBB4_958
; %bb.951:                              ;   in Loop: Header=BB4_130 Depth=2
	v_mov_b32_e32 v58, 0
	s_mov_b32 s40, exec_lo
	v_cmpx_ne_u32_e32 0, v59
	s_cbranch_execz .LBB4_957
; %bb.952:                              ;   in Loop: Header=BB4_130 Depth=2
	v_bfe_u32 v58, v59, 23, 8
	v_and_b32_e32 v60, 0x7fffff, v59
	v_sub_nc_u32_e32 v61, 0x70, v58
	v_cmp_gt_u32_e32 vcc_lo, 0x71, v58
	v_or_b32_e32 v62, 0x800000, v60
	v_cndmask_b32_e32 v61, 0, v61, vcc_lo
	v_cmp_eq_u32_e32 vcc_lo, 0, v58
	v_add_nc_u32_e32 v58, 0xffffff91, v58
	v_cndmask_b32_e64 v61, v61, 0x6f, vcc_lo
	v_cndmask_b32_e32 v60, v62, v60, vcc_lo
	v_cndmask_b32_e64 v58, v58, 0xffffff92, vcc_lo
	v_lshl_add_u32 v62, 0x200000, v61, -1
	v_lshrrev_b32_e32 v63, v61, v60
	v_lshlrev_b32_e64 v73, v61, 0x100000
	v_add_nc_u32_e32 v61, v61, v58
	v_and_b32_e32 v60, v62, v60
	v_bfe_u32 v72, v63, 21, 1
	v_cmp_eq_u32_e64 s13, v60, v73
	v_add_nc_u32_e32 v62, -1, v72
	v_cndmask_b32_e64 v60, 0, v62, s13
	v_lshrrev_b32_e32 v62, 23, v63
	s_mov_b32 s13, exec_lo
	v_add_nc_u32_e32 v60, v60, v63
	v_xor_b32_e32 v62, 1, v62
	v_and_b32_e32 v58, 0x1fffff, v60
	v_add_nc_u32_e32 v60, v58, v63
                                        ; implicit-def: $vgpr58
	v_cmpx_ne_u32_e64 v61, v62
	s_xor_b32 s13, exec_lo, s13
; %bb.953:                              ;   in Loop: Header=BB4_130 Depth=2
	v_cmp_lt_u32_e32 vcc_lo, 0xffffff, v60
	v_sub_nc_u32_e32 v58, v61, v62
	v_cndmask_b32_e64 v61, 0, 1, vcc_lo
	v_add_co_ci_u32_e64 v58, null, 0, v58, vcc_lo
	v_lshrrev_b32_e32 v60, v61, v60
; %bb.954:                              ;   in Loop: Header=BB4_130 Depth=2
	s_andn2_saveexec_b32 s13, s13
; %bb.955:                              ;   in Loop: Header=BB4_130 Depth=2
	v_bfe_u32 v58, v60, 23, 1
; %bb.956:                              ;   in Loop: Header=BB4_130 Depth=2
	s_or_b32 exec_lo, exec_lo, s13
	v_lshrrev_b32_e32 v60, 21, v60
	v_min_i32_e32 v61, 31, v58
	v_cmp_gt_i32_e32 vcc_lo, 32, v58
	v_and_b32_sdwa v59, v59, v113 dst_sel:DWORD dst_unused:UNUSED_PAD src0_sel:BYTE_3 src1_sel:DWORD
	v_lshlrev_b32_e32 v61, 2, v61
	v_cndmask_b32_e32 v60, 3, v60, vcc_lo
	v_and_b32_e32 v61, 0xfc, v61
	v_and_b32_e32 v62, 3, v60
	v_or_b32_e32 v58, v58, v60
	v_or3_b32 v59, v61, v59, v62
	v_cmp_ne_u32_e32 vcc_lo, 0, v58
	v_cndmask_b32_e32 v58, 0, v59, vcc_lo
.LBB4_957:                              ;   in Loop: Header=BB4_130 Depth=2
	s_or_b32 exec_lo, exec_lo, s40
.LBB4_958:                              ;   in Loop: Header=BB4_130 Depth=2
	s_or_b32 exec_lo, exec_lo, s29
	v_cmp_gt_i16_sdwa s29, v15, v112 src0_sel:BYTE_3 src1_sel:DWORD
	s_andn2_b32 vcc_lo, exec_lo, s28
	s_mov_b32 s13, -1
                                        ; implicit-def: $vgpr59
	s_cbranch_vccnz .LBB4_972
; %bb.959:                              ;   in Loop: Header=BB4_130 Depth=2
	s_mov_b32 s13, 0
	s_and_saveexec_b32 s40, s29
	s_xor_b32 s29, exec_lo, s40
	s_cbranch_execz .LBB4_1464
; %bb.960:                              ;   in Loop: Header=BB4_130 Depth=2
	v_cmp_eq_u16_sdwa s41, v15, v113 src0_sel:BYTE_3 src1_sel:DWORD
	s_mov_b32 s13, -1
	s_and_saveexec_b32 s40, s41
; %bb.961:                              ;   in Loop: Header=BB4_130 Depth=2
	s_xor_b32 s13, exec_lo, -1
; %bb.962:                              ;   in Loop: Header=BB4_130 Depth=2
	s_or_b32 exec_lo, exec_lo, s40
	s_and_b32 s13, s13, exec_lo
	s_or_saveexec_b32 s29, s29
	v_mov_b32_e32 v59, 0x7f800001
	s_xor_b32 exec_lo, exec_lo, s29
	s_cbranch_execnz .LBB4_1465
.LBB4_963:                              ;   in Loop: Header=BB4_130 Depth=2
	s_or_b32 exec_lo, exec_lo, s29
	s_and_saveexec_b32 s29, s13
	s_cbranch_execz .LBB4_965
.LBB4_964:                              ;   in Loop: Header=BB4_130 Depth=2
	v_bfe_u32 v59, v15, 24, 2
	v_bfe_u32 v62, v15, 26, 5
	v_ffbh_u32_e32 v60, v59
	v_cmp_eq_u32_e32 vcc_lo, 0, v62
	v_min_u32_e32 v60, 32, v60
	v_subrev_nc_u32_e32 v61, 29, v60
	v_sub_nc_u32_e32 v60, 30, v60
	v_lshlrev_b32_sdwa v61, v61, v15 dst_sel:DWORD dst_unused:UNUSED_PAD src0_sel:DWORD src1_sel:BYTE_3
	v_cndmask_b32_e32 v60, v62, v60, vcc_lo
	v_and_b32_e32 v61, 3, v61
	v_lshl_add_u32 v60, v60, 23, 0x37800000
	v_cndmask_b32_e32 v59, v59, v61, vcc_lo
	v_and_b32_e32 v61, 0x80000000, v15
	v_lshlrev_b32_e32 v59, 21, v59
	v_or3_b32 v59, v61, v60, v59
.LBB4_965:                              ;   in Loop: Header=BB4_130 Depth=2
	s_or_b32 exec_lo, exec_lo, s29
	v_cmp_gt_i16_sdwa s29, v11, v112 src0_sel:BYTE_3 src1_sel:DWORD
	s_mov_b32 s13, 0
	s_and_saveexec_b32 s40, s29
	s_xor_b32 s29, exec_lo, s40
	s_cbranch_execz .LBB4_1466
; %bb.966:                              ;   in Loop: Header=BB4_130 Depth=2
	v_cmp_eq_u16_sdwa s41, v11, v113 src0_sel:BYTE_3 src1_sel:DWORD
	s_mov_b32 s13, -1
	s_and_saveexec_b32 s40, s41
; %bb.967:                              ;   in Loop: Header=BB4_130 Depth=2
	s_xor_b32 s13, exec_lo, -1
; %bb.968:                              ;   in Loop: Header=BB4_130 Depth=2
	s_or_b32 exec_lo, exec_lo, s40
	s_and_b32 s13, s13, exec_lo
	s_or_saveexec_b32 s29, s29
	v_mov_b32_e32 v60, 0x7f800001
	s_xor_b32 exec_lo, exec_lo, s29
	s_cbranch_execnz .LBB4_1467
.LBB4_969:                              ;   in Loop: Header=BB4_130 Depth=2
	s_or_b32 exec_lo, exec_lo, s29
	s_and_saveexec_b32 s29, s13
	s_cbranch_execz .LBB4_971
.LBB4_970:                              ;   in Loop: Header=BB4_130 Depth=2
	v_bfe_u32 v60, v11, 24, 2
	v_bfe_u32 v63, v11, 26, 5
	v_ffbh_u32_e32 v61, v60
	v_cmp_eq_u32_e32 vcc_lo, 0, v63
	v_min_u32_e32 v61, 32, v61
	v_subrev_nc_u32_e32 v62, 29, v61
	v_sub_nc_u32_e32 v61, 30, v61
	v_lshlrev_b32_sdwa v62, v62, v11 dst_sel:DWORD dst_unused:UNUSED_PAD src0_sel:DWORD src1_sel:BYTE_3
	v_cndmask_b32_e32 v61, v63, v61, vcc_lo
	v_and_b32_e32 v62, 3, v62
	v_lshl_add_u32 v61, v61, 23, 0x37800000
	v_cndmask_b32_e32 v60, v60, v62, vcc_lo
	v_and_b32_e32 v62, 0x80000000, v11
	v_lshlrev_b32_e32 v60, 21, v60
	v_or3_b32 v60, v62, v61, v60
.LBB4_971:                              ;   in Loop: Header=BB4_130 Depth=2
	s_or_b32 exec_lo, exec_lo, s29
	v_max_f32_e32 v60, v60, v60
	v_max_f32_e32 v59, v59, v59
	s_mov_b32 s13, 0
	v_max_f32_e32 v59, v59, v60
.LBB4_972:                              ;   in Loop: Header=BB4_130 Depth=2
	s_and_b32 vcc_lo, exec_lo, s13
	s_cbranch_vccz .LBB4_986
; %bb.973:                              ;   in Loop: Header=BB4_130 Depth=2
	v_cmp_gt_i16_sdwa s29, v15, v112 src0_sel:BYTE_3 src1_sel:DWORD
	s_mov_b32 s13, 0
	s_and_saveexec_b32 s40, s29
	s_xor_b32 s29, exec_lo, s40
	s_cbranch_execz .LBB4_1468
; %bb.974:                              ;   in Loop: Header=BB4_130 Depth=2
	v_cmp_eq_u16_sdwa s41, v15, v113 src0_sel:BYTE_3 src1_sel:DWORD
	s_mov_b32 s13, -1
	s_and_saveexec_b32 s40, s41
; %bb.975:                              ;   in Loop: Header=BB4_130 Depth=2
	s_xor_b32 s13, exec_lo, -1
; %bb.976:                              ;   in Loop: Header=BB4_130 Depth=2
	s_or_b32 exec_lo, exec_lo, s40
	s_and_b32 s13, s13, exec_lo
	s_or_saveexec_b32 s29, s29
	v_mov_b32_e32 v59, 0x7f800001
	s_xor_b32 exec_lo, exec_lo, s29
	s_cbranch_execnz .LBB4_1469
.LBB4_977:                              ;   in Loop: Header=BB4_130 Depth=2
	s_or_b32 exec_lo, exec_lo, s29
	s_and_saveexec_b32 s29, s13
	s_cbranch_execz .LBB4_979
.LBB4_978:                              ;   in Loop: Header=BB4_130 Depth=2
	v_bfe_u32 v59, v15, 24, 2
	v_bfe_u32 v62, v15, 26, 5
	v_ffbh_u32_e32 v60, v59
	v_cmp_eq_u32_e32 vcc_lo, 0, v62
	v_min_u32_e32 v60, 32, v60
	v_subrev_nc_u32_e32 v61, 29, v60
	v_sub_nc_u32_e32 v60, 30, v60
	v_lshlrev_b32_sdwa v61, v61, v15 dst_sel:DWORD dst_unused:UNUSED_PAD src0_sel:DWORD src1_sel:BYTE_3
	v_cndmask_b32_e32 v60, v62, v60, vcc_lo
	v_and_b32_e32 v15, 0x80000000, v15
	v_and_b32_e32 v61, 3, v61
	v_lshl_add_u32 v60, v60, 23, 0x37800000
	v_cndmask_b32_e32 v59, v59, v61, vcc_lo
	v_lshlrev_b32_e32 v59, 21, v59
	v_or3_b32 v59, v15, v60, v59
.LBB4_979:                              ;   in Loop: Header=BB4_130 Depth=2
	s_or_b32 exec_lo, exec_lo, s29
	v_cmp_gt_i16_sdwa s29, v11, v112 src0_sel:BYTE_3 src1_sel:DWORD
	s_mov_b32 s13, 0
	s_and_saveexec_b32 s40, s29
	s_xor_b32 s29, exec_lo, s40
	s_cbranch_execz .LBB4_1470
; %bb.980:                              ;   in Loop: Header=BB4_130 Depth=2
	v_cmp_eq_u16_sdwa s41, v11, v113 src0_sel:BYTE_3 src1_sel:DWORD
	s_mov_b32 s13, -1
	s_and_saveexec_b32 s40, s41
; %bb.981:                              ;   in Loop: Header=BB4_130 Depth=2
	s_xor_b32 s13, exec_lo, -1
; %bb.982:                              ;   in Loop: Header=BB4_130 Depth=2
	s_or_b32 exec_lo, exec_lo, s40
	s_and_b32 s13, s13, exec_lo
	s_or_saveexec_b32 s29, s29
	v_mov_b32_e32 v15, 0x7f800001
	s_xor_b32 exec_lo, exec_lo, s29
	s_cbranch_execnz .LBB4_1471
.LBB4_983:                              ;   in Loop: Header=BB4_130 Depth=2
	s_or_b32 exec_lo, exec_lo, s29
	s_and_saveexec_b32 s29, s13
	s_cbranch_execz .LBB4_985
.LBB4_984:                              ;   in Loop: Header=BB4_130 Depth=2
	v_bfe_u32 v15, v11, 24, 2
	v_bfe_u32 v62, v11, 26, 5
	v_ffbh_u32_e32 v60, v15
	v_cmp_eq_u32_e32 vcc_lo, 0, v62
	v_min_u32_e32 v60, 32, v60
	v_subrev_nc_u32_e32 v61, 29, v60
	v_sub_nc_u32_e32 v60, 30, v60
	v_lshlrev_b32_sdwa v61, v61, v11 dst_sel:DWORD dst_unused:UNUSED_PAD src0_sel:DWORD src1_sel:BYTE_3
	v_cndmask_b32_e32 v60, v62, v60, vcc_lo
	v_and_b32_e32 v11, 0x80000000, v11
	v_and_b32_e32 v61, 3, v61
	v_lshl_add_u32 v60, v60, 23, 0x37800000
	v_cndmask_b32_e32 v15, v15, v61, vcc_lo
	v_lshlrev_b32_e32 v15, 21, v15
	v_or3_b32 v15, v11, v60, v15
.LBB4_985:                              ;   in Loop: Header=BB4_130 Depth=2
	s_or_b32 exec_lo, exec_lo, s29
	v_max_f32_e32 v11, v15, v15
	v_max_f32_e32 v15, v59, v59
	v_min_f32_e32 v59, v15, v11
.LBB4_986:                              ;   in Loop: Header=BB4_130 Depth=2
	v_and_b32_e32 v11, 0x7f800000, v59
	v_cmp_ne_u32_e32 vcc_lo, 0x7f800000, v11
	v_mov_b32_e32 v11, 0x8000
	s_and_saveexec_b32 s29, vcc_lo
	s_cbranch_execz .LBB4_994
; %bb.987:                              ;   in Loop: Header=BB4_130 Depth=2
	v_mov_b32_e32 v11, 0
	s_mov_b32 s40, exec_lo
	v_cmpx_ne_u32_e32 0, v59
	s_cbranch_execz .LBB4_993
; %bb.988:                              ;   in Loop: Header=BB4_130 Depth=2
	v_bfe_u32 v11, v59, 23, 8
	v_and_b32_e32 v15, 0x7fffff, v59
	v_sub_nc_u32_e32 v60, 0x70, v11
	v_cmp_gt_u32_e32 vcc_lo, 0x71, v11
	v_or_b32_e32 v61, 0x800000, v15
	v_cndmask_b32_e32 v60, 0, v60, vcc_lo
	v_cmp_eq_u32_e32 vcc_lo, 0, v11
	v_add_nc_u32_e32 v11, 0xffffff91, v11
	v_cndmask_b32_e64 v60, v60, 0x6f, vcc_lo
	v_cndmask_b32_e32 v15, v61, v15, vcc_lo
	v_cndmask_b32_e64 v11, v11, 0xffffff92, vcc_lo
	v_lshl_add_u32 v61, 0x200000, v60, -1
	v_lshrrev_b32_e32 v62, v60, v15
	v_lshlrev_b32_e64 v72, v60, 0x100000
	v_add_nc_u32_e32 v60, v60, v11
	v_and_b32_e32 v15, v61, v15
	v_bfe_u32 v63, v62, 21, 1
	v_cmp_eq_u32_e64 s13, v15, v72
	v_add_nc_u32_e32 v61, -1, v63
	v_cndmask_b32_e64 v15, 0, v61, s13
	v_lshrrev_b32_e32 v61, 23, v62
	s_mov_b32 s13, exec_lo
	v_add_nc_u32_e32 v15, v15, v62
	v_xor_b32_e32 v61, 1, v61
	v_and_b32_e32 v11, 0x1fffff, v15
	v_add_nc_u32_e32 v15, v11, v62
                                        ; implicit-def: $vgpr11
	v_cmpx_ne_u32_e64 v60, v61
	s_xor_b32 s13, exec_lo, s13
; %bb.989:                              ;   in Loop: Header=BB4_130 Depth=2
	v_cmp_lt_u32_e32 vcc_lo, 0xffffff, v15
	v_sub_nc_u32_e32 v11, v60, v61
	v_cndmask_b32_e64 v60, 0, 1, vcc_lo
	v_add_co_ci_u32_e64 v11, null, 0, v11, vcc_lo
	v_lshrrev_b32_e32 v15, v60, v15
; %bb.990:                              ;   in Loop: Header=BB4_130 Depth=2
	s_andn2_saveexec_b32 s13, s13
; %bb.991:                              ;   in Loop: Header=BB4_130 Depth=2
	v_bfe_u32 v11, v15, 23, 1
; %bb.992:                              ;   in Loop: Header=BB4_130 Depth=2
	s_or_b32 exec_lo, exec_lo, s13
	v_lshrrev_b32_e32 v15, 21, v15
	v_min_i32_e32 v60, 31, v11
	v_cmp_gt_i32_e32 vcc_lo, 32, v11
	v_and_b32_sdwa v59, v59, v113 dst_sel:DWORD dst_unused:UNUSED_PAD src0_sel:BYTE_3 src1_sel:DWORD
	v_lshlrev_b32_e32 v60, 2, v60
	v_cndmask_b32_e32 v15, 3, v15, vcc_lo
	v_and_b32_e32 v60, 0xfc, v60
	v_and_b32_e32 v61, 3, v15
	v_or_b32_e32 v11, v11, v15
	v_or3_b32 v59, v59, v60, v61
	v_cmp_ne_u32_e32 vcc_lo, 0, v11
	v_lshlrev_b32_e32 v15, 8, v59
	v_cndmask_b32_e32 v11, 0, v15, vcc_lo
.LBB4_993:                              ;   in Loop: Header=BB4_130 Depth=2
	s_or_b32 exec_lo, exec_lo, s40
.LBB4_994:                              ;   in Loop: Header=BB4_130 Depth=2
	s_or_b32 exec_lo, exec_lo, s29
	v_cmp_gt_i16_sdwa s29, v16, v112 src0_sel:BYTE_0 src1_sel:DWORD
	s_andn2_b32 vcc_lo, exec_lo, s28
	s_mov_b32 s13, -1
                                        ; implicit-def: $vgpr59
	s_cbranch_vccnz .LBB4_1008
; %bb.995:                              ;   in Loop: Header=BB4_130 Depth=2
	s_mov_b32 s13, 0
	s_and_saveexec_b32 s40, s29
	s_xor_b32 s29, exec_lo, s40
	s_cbranch_execz .LBB4_1472
; %bb.996:                              ;   in Loop: Header=BB4_130 Depth=2
	v_cmp_eq_u16_sdwa s41, v16, v113 src0_sel:BYTE_0 src1_sel:DWORD
	s_mov_b32 s13, -1
	s_and_saveexec_b32 s40, s41
; %bb.997:                              ;   in Loop: Header=BB4_130 Depth=2
	s_xor_b32 s13, exec_lo, -1
; %bb.998:                              ;   in Loop: Header=BB4_130 Depth=2
	s_or_b32 exec_lo, exec_lo, s40
	s_and_b32 s13, s13, exec_lo
	s_or_saveexec_b32 s29, s29
	v_mov_b32_e32 v15, 0x7f800001
	s_xor_b32 exec_lo, exec_lo, s29
	s_cbranch_execnz .LBB4_1473
.LBB4_999:                              ;   in Loop: Header=BB4_130 Depth=2
	s_or_b32 exec_lo, exec_lo, s29
	s_and_saveexec_b32 s29, s13
	s_cbranch_execz .LBB4_1001
.LBB4_1000:                             ;   in Loop: Header=BB4_130 Depth=2
	v_and_b32_e32 v15, 3, v16
	v_bfe_u32 v61, v16, 2, 5
	v_lshlrev_b32_e32 v62, 24, v16
	v_ffbh_u32_e32 v59, v15
	v_cmp_eq_u32_e32 vcc_lo, 0, v61
	v_min_u32_e32 v59, 32, v59
	v_subrev_nc_u32_e32 v60, 29, v59
	v_sub_nc_u32_e32 v59, 30, v59
	v_lshlrev_b32_e32 v60, v60, v16
	v_cndmask_b32_e32 v59, v61, v59, vcc_lo
	v_and_b32_e32 v60, 3, v60
	v_lshl_add_u32 v59, v59, 23, 0x37800000
	v_cndmask_b32_e32 v15, v15, v60, vcc_lo
	v_and_b32_e32 v60, 0x80000000, v62
	v_lshlrev_b32_e32 v15, 21, v15
	v_or3_b32 v15, v60, v59, v15
.LBB4_1001:                             ;   in Loop: Header=BB4_130 Depth=2
	s_or_b32 exec_lo, exec_lo, s29
	v_cmp_gt_i16_sdwa s29, v12, v112 src0_sel:BYTE_0 src1_sel:DWORD
	s_mov_b32 s13, 0
	s_and_saveexec_b32 s40, s29
	s_xor_b32 s29, exec_lo, s40
	s_cbranch_execz .LBB4_1474
; %bb.1002:                             ;   in Loop: Header=BB4_130 Depth=2
	v_cmp_eq_u16_sdwa s41, v12, v113 src0_sel:BYTE_0 src1_sel:DWORD
	s_mov_b32 s13, -1
	s_and_saveexec_b32 s40, s41
; %bb.1003:                             ;   in Loop: Header=BB4_130 Depth=2
	s_xor_b32 s13, exec_lo, -1
; %bb.1004:                             ;   in Loop: Header=BB4_130 Depth=2
	s_or_b32 exec_lo, exec_lo, s40
	s_and_b32 s13, s13, exec_lo
	s_or_saveexec_b32 s29, s29
	v_mov_b32_e32 v59, 0x7f800001
	s_xor_b32 exec_lo, exec_lo, s29
	s_cbranch_execnz .LBB4_1475
.LBB4_1005:                             ;   in Loop: Header=BB4_130 Depth=2
	s_or_b32 exec_lo, exec_lo, s29
	s_and_saveexec_b32 s29, s13
	s_cbranch_execz .LBB4_1007
.LBB4_1006:                             ;   in Loop: Header=BB4_130 Depth=2
	v_and_b32_e32 v59, 3, v12
	v_bfe_u32 v62, v12, 2, 5
	v_lshlrev_b32_e32 v63, 24, v12
	v_ffbh_u32_e32 v60, v59
	v_cmp_eq_u32_e32 vcc_lo, 0, v62
	v_min_u32_e32 v60, 32, v60
	v_subrev_nc_u32_e32 v61, 29, v60
	v_sub_nc_u32_e32 v60, 30, v60
	v_lshlrev_b32_e32 v61, v61, v12
	v_cndmask_b32_e32 v60, v62, v60, vcc_lo
	v_and_b32_e32 v61, 3, v61
	v_lshl_add_u32 v60, v60, 23, 0x37800000
	v_cndmask_b32_e32 v59, v59, v61, vcc_lo
	v_and_b32_e32 v61, 0x80000000, v63
	v_lshlrev_b32_e32 v59, 21, v59
	v_or3_b32 v59, v61, v60, v59
.LBB4_1007:                             ;   in Loop: Header=BB4_130 Depth=2
	s_or_b32 exec_lo, exec_lo, s29
	v_max_f32_e32 v59, v59, v59
	v_max_f32_e32 v15, v15, v15
	s_mov_b32 s13, 0
	v_max_f32_e32 v59, v15, v59
.LBB4_1008:                             ;   in Loop: Header=BB4_130 Depth=2
	s_and_b32 vcc_lo, exec_lo, s13
	s_cbranch_vccz .LBB4_1022
; %bb.1009:                             ;   in Loop: Header=BB4_130 Depth=2
	v_cmp_gt_i16_sdwa s29, v16, v112 src0_sel:BYTE_0 src1_sel:DWORD
	s_mov_b32 s13, 0
	s_and_saveexec_b32 s40, s29
	s_xor_b32 s29, exec_lo, s40
	s_cbranch_execz .LBB4_1476
; %bb.1010:                             ;   in Loop: Header=BB4_130 Depth=2
	v_cmp_eq_u16_sdwa s41, v16, v113 src0_sel:BYTE_0 src1_sel:DWORD
	s_mov_b32 s13, -1
	s_and_saveexec_b32 s40, s41
; %bb.1011:                             ;   in Loop: Header=BB4_130 Depth=2
	s_xor_b32 s13, exec_lo, -1
; %bb.1012:                             ;   in Loop: Header=BB4_130 Depth=2
	s_or_b32 exec_lo, exec_lo, s40
	s_and_b32 s13, s13, exec_lo
	s_or_saveexec_b32 s29, s29
	v_mov_b32_e32 v15, 0x7f800001
	s_xor_b32 exec_lo, exec_lo, s29
	s_cbranch_execnz .LBB4_1477
.LBB4_1013:                             ;   in Loop: Header=BB4_130 Depth=2
	s_or_b32 exec_lo, exec_lo, s29
	s_and_saveexec_b32 s29, s13
	s_cbranch_execz .LBB4_1015
.LBB4_1014:                             ;   in Loop: Header=BB4_130 Depth=2
	v_and_b32_e32 v15, 3, v16
	v_bfe_u32 v61, v16, 2, 5
	v_lshlrev_b32_e32 v62, 24, v16
	v_ffbh_u32_e32 v59, v15
	v_cmp_eq_u32_e32 vcc_lo, 0, v61
	v_min_u32_e32 v59, 32, v59
	v_subrev_nc_u32_e32 v60, 29, v59
	v_sub_nc_u32_e32 v59, 30, v59
	v_lshlrev_b32_e32 v60, v60, v16
	v_cndmask_b32_e32 v59, v61, v59, vcc_lo
	v_and_b32_e32 v60, 3, v60
	v_lshl_add_u32 v59, v59, 23, 0x37800000
	v_cndmask_b32_e32 v15, v15, v60, vcc_lo
	v_and_b32_e32 v60, 0x80000000, v62
	v_lshlrev_b32_e32 v15, 21, v15
	v_or3_b32 v15, v60, v59, v15
.LBB4_1015:                             ;   in Loop: Header=BB4_130 Depth=2
	s_or_b32 exec_lo, exec_lo, s29
	v_cmp_gt_i16_sdwa s29, v12, v112 src0_sel:BYTE_0 src1_sel:DWORD
	s_mov_b32 s13, 0
	s_and_saveexec_b32 s40, s29
	s_xor_b32 s29, exec_lo, s40
	s_cbranch_execz .LBB4_1478
; %bb.1016:                             ;   in Loop: Header=BB4_130 Depth=2
	v_cmp_eq_u16_sdwa s41, v12, v113 src0_sel:BYTE_0 src1_sel:DWORD
	s_mov_b32 s13, -1
	s_and_saveexec_b32 s40, s41
; %bb.1017:                             ;   in Loop: Header=BB4_130 Depth=2
	s_xor_b32 s13, exec_lo, -1
; %bb.1018:                             ;   in Loop: Header=BB4_130 Depth=2
	s_or_b32 exec_lo, exec_lo, s40
	s_and_b32 s13, s13, exec_lo
	s_or_saveexec_b32 s29, s29
	v_mov_b32_e32 v59, 0x7f800001
	s_xor_b32 exec_lo, exec_lo, s29
	s_cbranch_execnz .LBB4_1479
.LBB4_1019:                             ;   in Loop: Header=BB4_130 Depth=2
	s_or_b32 exec_lo, exec_lo, s29
	s_and_saveexec_b32 s29, s13
	s_cbranch_execz .LBB4_1021
.LBB4_1020:                             ;   in Loop: Header=BB4_130 Depth=2
	v_and_b32_e32 v59, 3, v12
	v_bfe_u32 v62, v12, 2, 5
	v_lshlrev_b32_e32 v63, 24, v12
	v_ffbh_u32_e32 v60, v59
	v_cmp_eq_u32_e32 vcc_lo, 0, v62
	v_min_u32_e32 v60, 32, v60
	v_subrev_nc_u32_e32 v61, 29, v60
	v_sub_nc_u32_e32 v60, 30, v60
	v_lshlrev_b32_e32 v61, v61, v12
	v_cndmask_b32_e32 v60, v62, v60, vcc_lo
	v_and_b32_e32 v61, 3, v61
	v_lshl_add_u32 v60, v60, 23, 0x37800000
	v_cndmask_b32_e32 v59, v59, v61, vcc_lo
	v_and_b32_e32 v61, 0x80000000, v63
	v_lshlrev_b32_e32 v59, 21, v59
	v_or3_b32 v59, v61, v60, v59
.LBB4_1021:                             ;   in Loop: Header=BB4_130 Depth=2
	s_or_b32 exec_lo, exec_lo, s29
	v_max_f32_e32 v59, v59, v59
	v_max_f32_e32 v15, v15, v15
	v_min_f32_e32 v59, v15, v59
.LBB4_1022:                             ;   in Loop: Header=BB4_130 Depth=2
	v_and_b32_e32 v15, 0x7f800000, v59
	v_cmp_ne_u32_e32 vcc_lo, 0x7f800000, v15
	v_mov_b32_e32 v15, 0x80
	s_and_saveexec_b32 s29, vcc_lo
	s_cbranch_execz .LBB4_1030
; %bb.1023:                             ;   in Loop: Header=BB4_130 Depth=2
	v_mov_b32_e32 v15, 0
	s_mov_b32 s40, exec_lo
	v_cmpx_ne_u32_e32 0, v59
	s_cbranch_execz .LBB4_1029
; %bb.1024:                             ;   in Loop: Header=BB4_130 Depth=2
	v_bfe_u32 v15, v59, 23, 8
	v_and_b32_e32 v60, 0x7fffff, v59
	v_sub_nc_u32_e32 v61, 0x70, v15
	v_cmp_gt_u32_e32 vcc_lo, 0x71, v15
	v_or_b32_e32 v62, 0x800000, v60
	v_cndmask_b32_e32 v61, 0, v61, vcc_lo
	v_cmp_eq_u32_e32 vcc_lo, 0, v15
	v_add_nc_u32_e32 v15, 0xffffff91, v15
	v_cndmask_b32_e64 v61, v61, 0x6f, vcc_lo
	v_cndmask_b32_e32 v60, v62, v60, vcc_lo
	v_cndmask_b32_e64 v15, v15, 0xffffff92, vcc_lo
	v_lshl_add_u32 v62, 0x200000, v61, -1
	v_lshrrev_b32_e32 v63, v61, v60
	v_lshlrev_b32_e64 v73, v61, 0x100000
	v_add_nc_u32_e32 v61, v61, v15
	v_and_b32_e32 v60, v62, v60
	v_bfe_u32 v72, v63, 21, 1
	v_cmp_eq_u32_e64 s13, v60, v73
	v_add_nc_u32_e32 v62, -1, v72
	v_cndmask_b32_e64 v60, 0, v62, s13
	v_lshrrev_b32_e32 v62, 23, v63
	s_mov_b32 s13, exec_lo
	v_add_nc_u32_e32 v60, v60, v63
	v_xor_b32_e32 v62, 1, v62
	v_and_b32_e32 v15, 0x1fffff, v60
	v_add_nc_u32_e32 v60, v15, v63
                                        ; implicit-def: $vgpr15
	v_cmpx_ne_u32_e64 v61, v62
	s_xor_b32 s13, exec_lo, s13
; %bb.1025:                             ;   in Loop: Header=BB4_130 Depth=2
	v_cmp_lt_u32_e32 vcc_lo, 0xffffff, v60
	v_sub_nc_u32_e32 v15, v61, v62
	v_cndmask_b32_e64 v61, 0, 1, vcc_lo
	v_add_co_ci_u32_e64 v15, null, 0, v15, vcc_lo
	v_lshrrev_b32_e32 v60, v61, v60
; %bb.1026:                             ;   in Loop: Header=BB4_130 Depth=2
	s_andn2_saveexec_b32 s13, s13
; %bb.1027:                             ;   in Loop: Header=BB4_130 Depth=2
	v_bfe_u32 v15, v60, 23, 1
; %bb.1028:                             ;   in Loop: Header=BB4_130 Depth=2
	s_or_b32 exec_lo, exec_lo, s13
	v_lshrrev_b32_e32 v60, 21, v60
	v_min_i32_e32 v61, 31, v15
	v_cmp_gt_i32_e32 vcc_lo, 32, v15
	v_and_b32_sdwa v59, v59, v113 dst_sel:DWORD dst_unused:UNUSED_PAD src0_sel:BYTE_3 src1_sel:DWORD
	v_lshlrev_b32_e32 v61, 2, v61
	v_cndmask_b32_e32 v60, 3, v60, vcc_lo
	v_and_b32_e32 v61, 0xfc, v61
	v_and_b32_e32 v62, 3, v60
	v_or_b32_e32 v15, v15, v60
	v_or3_b32 v59, v61, v59, v62
	v_cmp_ne_u32_e32 vcc_lo, 0, v15
	v_cndmask_b32_e32 v15, 0, v59, vcc_lo
.LBB4_1029:                             ;   in Loop: Header=BB4_130 Depth=2
	s_or_b32 exec_lo, exec_lo, s40
.LBB4_1030:                             ;   in Loop: Header=BB4_130 Depth=2
	s_or_b32 exec_lo, exec_lo, s29
	v_cmp_gt_i16_sdwa s29, v16, v112 src0_sel:BYTE_1 src1_sel:DWORD
	s_andn2_b32 vcc_lo, exec_lo, s28
	s_mov_b32 s13, -1
                                        ; implicit-def: $vgpr60
	s_cbranch_vccnz .LBB4_1044
; %bb.1031:                             ;   in Loop: Header=BB4_130 Depth=2
	s_mov_b32 s13, 0
	s_and_saveexec_b32 s40, s29
	s_xor_b32 s29, exec_lo, s40
	s_cbranch_execz .LBB4_1480
; %bb.1032:                             ;   in Loop: Header=BB4_130 Depth=2
	v_cmp_eq_u16_sdwa s41, v16, v113 src0_sel:BYTE_1 src1_sel:DWORD
	s_mov_b32 s13, -1
	s_and_saveexec_b32 s40, s41
; %bb.1033:                             ;   in Loop: Header=BB4_130 Depth=2
	s_xor_b32 s13, exec_lo, -1
; %bb.1034:                             ;   in Loop: Header=BB4_130 Depth=2
	s_or_b32 exec_lo, exec_lo, s40
	s_and_b32 s13, s13, exec_lo
	s_or_saveexec_b32 s29, s29
	v_mov_b32_e32 v59, 0x7f800001
	s_xor_b32 exec_lo, exec_lo, s29
	s_cbranch_execnz .LBB4_1481
.LBB4_1035:                             ;   in Loop: Header=BB4_130 Depth=2
	s_or_b32 exec_lo, exec_lo, s29
	s_and_saveexec_b32 s29, s13
	s_cbranch_execz .LBB4_1037
.LBB4_1036:                             ;   in Loop: Header=BB4_130 Depth=2
	v_and_b32_sdwa v59, v114, v16 dst_sel:DWORD dst_unused:UNUSED_PAD src0_sel:DWORD src1_sel:BYTE_1
	v_and_b32_e32 v60, 3, v59
	v_bfe_u32 v63, v59, 2, 5
	v_ffbh_u32_e32 v61, v60
	v_cmp_eq_u32_e32 vcc_lo, 0, v63
	v_min_u32_e32 v61, 32, v61
	v_subrev_nc_u32_e32 v62, 29, v61
	v_sub_nc_u32_e32 v61, 30, v61
	v_lshlrev_b32_e32 v59, v62, v59
	v_lshlrev_b32_e32 v62, 16, v16
	v_cndmask_b32_e32 v61, v63, v61, vcc_lo
	v_and_b32_e32 v59, 3, v59
	v_lshl_add_u32 v61, v61, 23, 0x37800000
	v_cndmask_b32_e32 v59, v60, v59, vcc_lo
	v_and_b32_e32 v60, 0x80000000, v62
	v_lshlrev_b32_e32 v59, 21, v59
	v_or3_b32 v59, v60, v61, v59
.LBB4_1037:                             ;   in Loop: Header=BB4_130 Depth=2
	s_or_b32 exec_lo, exec_lo, s29
	v_cmp_gt_i16_sdwa s29, v12, v112 src0_sel:BYTE_1 src1_sel:DWORD
	s_mov_b32 s13, 0
	s_and_saveexec_b32 s40, s29
	s_xor_b32 s29, exec_lo, s40
	s_cbranch_execz .LBB4_1482
; %bb.1038:                             ;   in Loop: Header=BB4_130 Depth=2
	v_cmp_eq_u16_sdwa s41, v12, v113 src0_sel:BYTE_1 src1_sel:DWORD
	s_mov_b32 s13, -1
	s_and_saveexec_b32 s40, s41
; %bb.1039:                             ;   in Loop: Header=BB4_130 Depth=2
	s_xor_b32 s13, exec_lo, -1
; %bb.1040:                             ;   in Loop: Header=BB4_130 Depth=2
	s_or_b32 exec_lo, exec_lo, s40
	s_and_b32 s13, s13, exec_lo
	s_or_saveexec_b32 s29, s29
	v_mov_b32_e32 v60, 0x7f800001
	s_xor_b32 exec_lo, exec_lo, s29
	s_cbranch_execnz .LBB4_1483
.LBB4_1041:                             ;   in Loop: Header=BB4_130 Depth=2
	s_or_b32 exec_lo, exec_lo, s29
	s_and_saveexec_b32 s29, s13
	s_cbranch_execz .LBB4_1043
.LBB4_1042:                             ;   in Loop: Header=BB4_130 Depth=2
	v_and_b32_sdwa v60, v114, v12 dst_sel:DWORD dst_unused:UNUSED_PAD src0_sel:DWORD src1_sel:BYTE_1
	v_and_b32_e32 v61, 3, v60
	v_bfe_u32 v72, v60, 2, 5
	v_ffbh_u32_e32 v62, v61
	v_cmp_eq_u32_e32 vcc_lo, 0, v72
	v_min_u32_e32 v62, 32, v62
	v_subrev_nc_u32_e32 v63, 29, v62
	v_sub_nc_u32_e32 v62, 30, v62
	v_lshlrev_b32_e32 v60, v63, v60
	v_lshlrev_b32_e32 v63, 16, v12
	v_cndmask_b32_e32 v62, v72, v62, vcc_lo
	v_and_b32_e32 v60, 3, v60
	v_lshl_add_u32 v62, v62, 23, 0x37800000
	v_cndmask_b32_e32 v60, v61, v60, vcc_lo
	v_and_b32_e32 v61, 0x80000000, v63
	v_lshlrev_b32_e32 v60, 21, v60
	v_or3_b32 v60, v61, v62, v60
.LBB4_1043:                             ;   in Loop: Header=BB4_130 Depth=2
	s_or_b32 exec_lo, exec_lo, s29
	v_max_f32_e32 v60, v60, v60
	v_max_f32_e32 v59, v59, v59
	s_mov_b32 s13, 0
	v_max_f32_e32 v60, v59, v60
.LBB4_1044:                             ;   in Loop: Header=BB4_130 Depth=2
	s_and_b32 vcc_lo, exec_lo, s13
	s_cbranch_vccz .LBB4_1058
; %bb.1045:                             ;   in Loop: Header=BB4_130 Depth=2
	v_cmp_gt_i16_sdwa s29, v16, v112 src0_sel:BYTE_1 src1_sel:DWORD
	s_mov_b32 s13, 0
	s_and_saveexec_b32 s40, s29
	s_xor_b32 s29, exec_lo, s40
	s_cbranch_execz .LBB4_1484
; %bb.1046:                             ;   in Loop: Header=BB4_130 Depth=2
	v_cmp_eq_u16_sdwa s41, v16, v113 src0_sel:BYTE_1 src1_sel:DWORD
	s_mov_b32 s13, -1
	s_and_saveexec_b32 s40, s41
; %bb.1047:                             ;   in Loop: Header=BB4_130 Depth=2
	s_xor_b32 s13, exec_lo, -1
; %bb.1048:                             ;   in Loop: Header=BB4_130 Depth=2
	s_or_b32 exec_lo, exec_lo, s40
	s_and_b32 s13, s13, exec_lo
	s_or_saveexec_b32 s29, s29
	v_mov_b32_e32 v59, 0x7f800001
	s_xor_b32 exec_lo, exec_lo, s29
	s_cbranch_execnz .LBB4_1485
.LBB4_1049:                             ;   in Loop: Header=BB4_130 Depth=2
	s_or_b32 exec_lo, exec_lo, s29
	s_and_saveexec_b32 s29, s13
	s_cbranch_execz .LBB4_1051
.LBB4_1050:                             ;   in Loop: Header=BB4_130 Depth=2
	v_and_b32_sdwa v59, v114, v16 dst_sel:DWORD dst_unused:UNUSED_PAD src0_sel:DWORD src1_sel:BYTE_1
	v_and_b32_e32 v60, 3, v59
	v_bfe_u32 v63, v59, 2, 5
	v_ffbh_u32_e32 v61, v60
	v_cmp_eq_u32_e32 vcc_lo, 0, v63
	v_min_u32_e32 v61, 32, v61
	v_subrev_nc_u32_e32 v62, 29, v61
	v_sub_nc_u32_e32 v61, 30, v61
	v_lshlrev_b32_e32 v59, v62, v59
	v_lshlrev_b32_e32 v62, 16, v16
	v_cndmask_b32_e32 v61, v63, v61, vcc_lo
	v_and_b32_e32 v59, 3, v59
	v_lshl_add_u32 v61, v61, 23, 0x37800000
	v_cndmask_b32_e32 v59, v60, v59, vcc_lo
	v_and_b32_e32 v60, 0x80000000, v62
	v_lshlrev_b32_e32 v59, 21, v59
	v_or3_b32 v59, v60, v61, v59
.LBB4_1051:                             ;   in Loop: Header=BB4_130 Depth=2
	s_or_b32 exec_lo, exec_lo, s29
	v_cmp_gt_i16_sdwa s29, v12, v112 src0_sel:BYTE_1 src1_sel:DWORD
	s_mov_b32 s13, 0
	s_and_saveexec_b32 s40, s29
	s_xor_b32 s29, exec_lo, s40
	s_cbranch_execz .LBB4_1486
; %bb.1052:                             ;   in Loop: Header=BB4_130 Depth=2
	v_cmp_eq_u16_sdwa s41, v12, v113 src0_sel:BYTE_1 src1_sel:DWORD
	s_mov_b32 s13, -1
	s_and_saveexec_b32 s40, s41
; %bb.1053:                             ;   in Loop: Header=BB4_130 Depth=2
	s_xor_b32 s13, exec_lo, -1
; %bb.1054:                             ;   in Loop: Header=BB4_130 Depth=2
	s_or_b32 exec_lo, exec_lo, s40
	s_and_b32 s13, s13, exec_lo
	s_or_saveexec_b32 s29, s29
	v_mov_b32_e32 v60, 0x7f800001
	s_xor_b32 exec_lo, exec_lo, s29
	s_cbranch_execnz .LBB4_1487
.LBB4_1055:                             ;   in Loop: Header=BB4_130 Depth=2
	s_or_b32 exec_lo, exec_lo, s29
	s_and_saveexec_b32 s29, s13
	s_cbranch_execz .LBB4_1057
.LBB4_1056:                             ;   in Loop: Header=BB4_130 Depth=2
	v_and_b32_sdwa v60, v114, v12 dst_sel:DWORD dst_unused:UNUSED_PAD src0_sel:DWORD src1_sel:BYTE_1
	v_and_b32_e32 v61, 3, v60
	v_bfe_u32 v72, v60, 2, 5
	v_ffbh_u32_e32 v62, v61
	v_cmp_eq_u32_e32 vcc_lo, 0, v72
	v_min_u32_e32 v62, 32, v62
	v_subrev_nc_u32_e32 v63, 29, v62
	v_sub_nc_u32_e32 v62, 30, v62
	v_lshlrev_b32_e32 v60, v63, v60
	v_lshlrev_b32_e32 v63, 16, v12
	v_cndmask_b32_e32 v62, v72, v62, vcc_lo
	v_and_b32_e32 v60, 3, v60
	v_lshl_add_u32 v62, v62, 23, 0x37800000
	v_cndmask_b32_e32 v60, v61, v60, vcc_lo
	v_and_b32_e32 v61, 0x80000000, v63
	v_lshlrev_b32_e32 v60, 21, v60
	v_or3_b32 v60, v61, v62, v60
.LBB4_1057:                             ;   in Loop: Header=BB4_130 Depth=2
	s_or_b32 exec_lo, exec_lo, s29
	v_max_f32_e32 v60, v60, v60
	v_max_f32_e32 v59, v59, v59
	v_min_f32_e32 v60, v59, v60
.LBB4_1058:                             ;   in Loop: Header=BB4_130 Depth=2
	v_and_b32_e32 v59, 0x7f800000, v60
	v_cmp_ne_u32_e32 vcc_lo, 0x7f800000, v59
	v_mov_b32_e32 v59, 0x8000
	s_and_saveexec_b32 s29, vcc_lo
	s_cbranch_execz .LBB4_1066
; %bb.1059:                             ;   in Loop: Header=BB4_130 Depth=2
	v_mov_b32_e32 v59, 0
	s_mov_b32 s40, exec_lo
	v_cmpx_ne_u32_e32 0, v60
	s_cbranch_execz .LBB4_1065
; %bb.1060:                             ;   in Loop: Header=BB4_130 Depth=2
	v_bfe_u32 v59, v60, 23, 8
	v_and_b32_e32 v61, 0x7fffff, v60
	v_sub_nc_u32_e32 v62, 0x70, v59
	v_cmp_gt_u32_e32 vcc_lo, 0x71, v59
	v_or_b32_e32 v63, 0x800000, v61
	v_cndmask_b32_e32 v62, 0, v62, vcc_lo
	v_cmp_eq_u32_e32 vcc_lo, 0, v59
	v_add_nc_u32_e32 v59, 0xffffff91, v59
	v_cndmask_b32_e64 v62, v62, 0x6f, vcc_lo
	v_cndmask_b32_e32 v61, v63, v61, vcc_lo
	v_cndmask_b32_e64 v59, v59, 0xffffff92, vcc_lo
	v_lshl_add_u32 v63, 0x200000, v62, -1
	v_lshrrev_b32_e32 v72, v62, v61
	v_lshlrev_b32_e64 v74, v62, 0x100000
	v_add_nc_u32_e32 v62, v62, v59
	v_and_b32_e32 v61, v63, v61
	v_bfe_u32 v73, v72, 21, 1
	v_cmp_eq_u32_e64 s13, v61, v74
	v_add_nc_u32_e32 v63, -1, v73
	v_cndmask_b32_e64 v61, 0, v63, s13
	v_lshrrev_b32_e32 v63, 23, v72
	s_mov_b32 s13, exec_lo
	v_add_nc_u32_e32 v61, v61, v72
	v_xor_b32_e32 v63, 1, v63
	v_and_b32_e32 v59, 0x1fffff, v61
	v_add_nc_u32_e32 v61, v59, v72
                                        ; implicit-def: $vgpr59
	v_cmpx_ne_u32_e64 v62, v63
	s_xor_b32 s13, exec_lo, s13
; %bb.1061:                             ;   in Loop: Header=BB4_130 Depth=2
	v_cmp_lt_u32_e32 vcc_lo, 0xffffff, v61
	v_sub_nc_u32_e32 v59, v62, v63
	v_cndmask_b32_e64 v62, 0, 1, vcc_lo
	v_add_co_ci_u32_e64 v59, null, 0, v59, vcc_lo
	v_lshrrev_b32_e32 v61, v62, v61
; %bb.1062:                             ;   in Loop: Header=BB4_130 Depth=2
	s_andn2_saveexec_b32 s13, s13
; %bb.1063:                             ;   in Loop: Header=BB4_130 Depth=2
	v_bfe_u32 v59, v61, 23, 1
; %bb.1064:                             ;   in Loop: Header=BB4_130 Depth=2
	s_or_b32 exec_lo, exec_lo, s13
	v_lshrrev_b32_e32 v61, 21, v61
	v_min_i32_e32 v62, 31, v59
	v_cmp_gt_i32_e32 vcc_lo, 32, v59
	v_and_b32_sdwa v60, v60, v113 dst_sel:DWORD dst_unused:UNUSED_PAD src0_sel:BYTE_3 src1_sel:DWORD
	v_lshlrev_b32_e32 v62, 2, v62
	v_cndmask_b32_e32 v61, 3, v61, vcc_lo
	v_and_b32_e32 v62, 0xfc, v62
	v_and_b32_e32 v63, 3, v61
	v_or_b32_e32 v59, v59, v61
	v_or3_b32 v60, v60, v62, v63
	v_cmp_ne_u32_e32 vcc_lo, 0, v59
	v_lshlrev_b32_e32 v60, 8, v60
	v_cndmask_b32_e32 v59, 0, v60, vcc_lo
.LBB4_1065:                             ;   in Loop: Header=BB4_130 Depth=2
	s_or_b32 exec_lo, exec_lo, s40
.LBB4_1066:                             ;   in Loop: Header=BB4_130 Depth=2
	s_or_b32 exec_lo, exec_lo, s29
	v_and_b32_sdwa v60, v16, v115 dst_sel:DWORD dst_unused:UNUSED_PAD src0_sel:WORD_1 src1_sel:DWORD
	s_andn2_b32 vcc_lo, exec_lo, s28
	s_mov_b32 s29, -1
                                        ; implicit-def: $vgpr61
	v_cmp_lt_i16_e64 s13, 0x7f, v60
	s_cbranch_vccnz .LBB4_1080
; %bb.1067:                             ;   in Loop: Header=BB4_130 Depth=2
	s_mov_b32 s29, 0
	s_and_saveexec_b32 s40, s13
	s_xor_b32 s13, exec_lo, s40
	s_cbranch_execz .LBB4_1488
; %bb.1068:                             ;   in Loop: Header=BB4_130 Depth=2
	s_mov_b32 s29, -1
	s_mov_b32 s40, exec_lo
	v_cmpx_eq_u16_e32 0x80, v60
; %bb.1069:                             ;   in Loop: Header=BB4_130 Depth=2
	s_xor_b32 s29, exec_lo, -1
; %bb.1070:                             ;   in Loop: Header=BB4_130 Depth=2
	s_or_b32 exec_lo, exec_lo, s40
	s_and_b32 s29, s29, exec_lo
	s_or_saveexec_b32 s13, s13
	v_mov_b32_e32 v61, 0x7f800001
	s_xor_b32 exec_lo, exec_lo, s13
	s_cbranch_execnz .LBB4_1489
.LBB4_1071:                             ;   in Loop: Header=BB4_130 Depth=2
	s_or_b32 exec_lo, exec_lo, s13
	s_and_saveexec_b32 s13, s29
	s_cbranch_execz .LBB4_1073
.LBB4_1072:                             ;   in Loop: Header=BB4_130 Depth=2
	v_bfe_u32 v61, v16, 16, 2
	v_bfe_u32 v72, v16, 18, 5
	v_lshlrev_b32_sdwa v73, v116, v16 dst_sel:DWORD dst_unused:UNUSED_PAD src0_sel:DWORD src1_sel:WORD_1
	v_ffbh_u32_e32 v62, v61
	v_cmp_eq_u32_e32 vcc_lo, 0, v72
	v_min_u32_e32 v62, 32, v62
	v_subrev_nc_u32_e32 v63, 29, v62
	v_sub_nc_u32_e32 v62, 30, v62
	v_lshlrev_b32_sdwa v63, v63, v16 dst_sel:DWORD dst_unused:UNUSED_PAD src0_sel:DWORD src1_sel:WORD_1
	v_cndmask_b32_e32 v62, v72, v62, vcc_lo
	v_and_b32_e32 v63, 3, v63
	v_lshl_add_u32 v62, v62, 23, 0x37800000
	v_cndmask_b32_e32 v61, v61, v63, vcc_lo
	v_and_b32_e32 v63, 0x80000000, v73
	v_lshlrev_b32_e32 v61, 21, v61
	v_or3_b32 v61, v63, v62, v61
.LBB4_1073:                             ;   in Loop: Header=BB4_130 Depth=2
	s_or_b32 exec_lo, exec_lo, s13
	v_and_b32_sdwa v63, v12, v115 dst_sel:DWORD dst_unused:UNUSED_PAD src0_sel:WORD_1 src1_sel:DWORD
	s_mov_b32 s13, 0
	s_mov_b32 s29, exec_lo
	v_cmpx_lt_i16_e32 0x7f, v63
	s_xor_b32 s29, exec_lo, s29
	s_cbranch_execz .LBB4_1490
; %bb.1074:                             ;   in Loop: Header=BB4_130 Depth=2
	s_mov_b32 s13, -1
	s_mov_b32 s40, exec_lo
	v_cmpx_eq_u16_e32 0x80, v63
; %bb.1075:                             ;   in Loop: Header=BB4_130 Depth=2
	s_xor_b32 s13, exec_lo, -1
; %bb.1076:                             ;   in Loop: Header=BB4_130 Depth=2
	s_or_b32 exec_lo, exec_lo, s40
	s_and_b32 s13, s13, exec_lo
                                        ; implicit-def: $vgpr63
	s_or_saveexec_b32 s29, s29
	v_mov_b32_e32 v62, 0x7f800001
	s_xor_b32 exec_lo, exec_lo, s29
	s_cbranch_execnz .LBB4_1491
.LBB4_1077:                             ;   in Loop: Header=BB4_130 Depth=2
	s_or_b32 exec_lo, exec_lo, s29
	s_and_saveexec_b32 s29, s13
	s_cbranch_execz .LBB4_1079
.LBB4_1078:                             ;   in Loop: Header=BB4_130 Depth=2
	v_bfe_u32 v62, v12, 16, 2
	v_bfe_u32 v73, v12, 18, 5
	v_lshlrev_b32_sdwa v74, v116, v12 dst_sel:DWORD dst_unused:UNUSED_PAD src0_sel:DWORD src1_sel:WORD_1
	v_ffbh_u32_e32 v63, v62
	v_cmp_eq_u32_e32 vcc_lo, 0, v73
	v_min_u32_e32 v63, 32, v63
	v_subrev_nc_u32_e32 v72, 29, v63
	v_sub_nc_u32_e32 v63, 30, v63
	v_lshlrev_b32_sdwa v72, v72, v12 dst_sel:DWORD dst_unused:UNUSED_PAD src0_sel:DWORD src1_sel:WORD_1
	v_cndmask_b32_e32 v63, v73, v63, vcc_lo
	v_and_b32_e32 v72, 3, v72
	v_lshl_add_u32 v63, v63, 23, 0x37800000
	v_cndmask_b32_e32 v62, v62, v72, vcc_lo
	v_and_b32_e32 v72, 0x80000000, v74
	v_lshlrev_b32_e32 v62, 21, v62
	v_or3_b32 v62, v72, v63, v62
.LBB4_1079:                             ;   in Loop: Header=BB4_130 Depth=2
	s_or_b32 exec_lo, exec_lo, s29
	v_max_f32_e32 v62, v62, v62
	v_max_f32_e32 v61, v61, v61
	s_mov_b32 s29, 0
	v_max_f32_e32 v61, v61, v62
.LBB4_1080:                             ;   in Loop: Header=BB4_130 Depth=2
	s_and_b32 vcc_lo, exec_lo, s29
	s_cbranch_vccz .LBB4_1094
; %bb.1081:                             ;   in Loop: Header=BB4_130 Depth=2
	s_mov_b32 s13, 0
	s_mov_b32 s29, exec_lo
	v_cmpx_lt_i16_e32 0x7f, v60
	s_xor_b32 s29, exec_lo, s29
	s_cbranch_execz .LBB4_1492
; %bb.1082:                             ;   in Loop: Header=BB4_130 Depth=2
	s_mov_b32 s13, -1
	s_mov_b32 s40, exec_lo
	v_cmpx_eq_u16_e32 0x80, v60
; %bb.1083:                             ;   in Loop: Header=BB4_130 Depth=2
	s_xor_b32 s13, exec_lo, -1
; %bb.1084:                             ;   in Loop: Header=BB4_130 Depth=2
	s_or_b32 exec_lo, exec_lo, s40
	s_and_b32 s13, s13, exec_lo
                                        ; implicit-def: $vgpr60
	s_or_saveexec_b32 s29, s29
	v_mov_b32_e32 v61, 0x7f800001
	s_xor_b32 exec_lo, exec_lo, s29
	s_cbranch_execnz .LBB4_1493
.LBB4_1085:                             ;   in Loop: Header=BB4_130 Depth=2
	s_or_b32 exec_lo, exec_lo, s29
	s_and_saveexec_b32 s29, s13
	s_cbranch_execz .LBB4_1087
.LBB4_1086:                             ;   in Loop: Header=BB4_130 Depth=2
	v_bfe_u32 v60, v16, 16, 2
	v_bfe_u32 v63, v16, 18, 5
	v_lshlrev_b32_sdwa v72, v116, v16 dst_sel:DWORD dst_unused:UNUSED_PAD src0_sel:DWORD src1_sel:WORD_1
	v_ffbh_u32_e32 v61, v60
	v_cmp_eq_u32_e32 vcc_lo, 0, v63
	v_min_u32_e32 v61, 32, v61
	v_subrev_nc_u32_e32 v62, 29, v61
	v_sub_nc_u32_e32 v61, 30, v61
	v_lshlrev_b32_sdwa v62, v62, v16 dst_sel:DWORD dst_unused:UNUSED_PAD src0_sel:DWORD src1_sel:WORD_1
	v_cndmask_b32_e32 v61, v63, v61, vcc_lo
	v_and_b32_e32 v62, 3, v62
	v_lshl_add_u32 v61, v61, 23, 0x37800000
	v_cndmask_b32_e32 v60, v60, v62, vcc_lo
	v_and_b32_e32 v62, 0x80000000, v72
	v_lshlrev_b32_e32 v60, 21, v60
	v_or3_b32 v61, v62, v61, v60
.LBB4_1087:                             ;   in Loop: Header=BB4_130 Depth=2
	s_or_b32 exec_lo, exec_lo, s29
	v_and_b32_sdwa v62, v12, v115 dst_sel:DWORD dst_unused:UNUSED_PAD src0_sel:WORD_1 src1_sel:DWORD
	s_mov_b32 s13, 0
	s_mov_b32 s29, exec_lo
	v_cmpx_lt_i16_e32 0x7f, v62
	s_xor_b32 s29, exec_lo, s29
	s_cbranch_execz .LBB4_1494
; %bb.1088:                             ;   in Loop: Header=BB4_130 Depth=2
	s_mov_b32 s13, -1
	s_mov_b32 s40, exec_lo
	v_cmpx_eq_u16_e32 0x80, v62
; %bb.1089:                             ;   in Loop: Header=BB4_130 Depth=2
	s_xor_b32 s13, exec_lo, -1
; %bb.1090:                             ;   in Loop: Header=BB4_130 Depth=2
	s_or_b32 exec_lo, exec_lo, s40
	s_and_b32 s13, s13, exec_lo
                                        ; implicit-def: $vgpr62
	s_or_saveexec_b32 s29, s29
	v_mov_b32_e32 v60, 0x7f800001
	s_xor_b32 exec_lo, exec_lo, s29
	s_cbranch_execnz .LBB4_1495
.LBB4_1091:                             ;   in Loop: Header=BB4_130 Depth=2
	s_or_b32 exec_lo, exec_lo, s29
	s_and_saveexec_b32 s29, s13
	s_cbranch_execz .LBB4_1093
.LBB4_1092:                             ;   in Loop: Header=BB4_130 Depth=2
	v_bfe_u32 v60, v12, 16, 2
	v_bfe_u32 v72, v12, 18, 5
	v_lshlrev_b32_sdwa v73, v116, v12 dst_sel:DWORD dst_unused:UNUSED_PAD src0_sel:DWORD src1_sel:WORD_1
	v_ffbh_u32_e32 v62, v60
	v_cmp_eq_u32_e32 vcc_lo, 0, v72
	v_min_u32_e32 v62, 32, v62
	v_subrev_nc_u32_e32 v63, 29, v62
	v_sub_nc_u32_e32 v62, 30, v62
	v_lshlrev_b32_sdwa v63, v63, v12 dst_sel:DWORD dst_unused:UNUSED_PAD src0_sel:DWORD src1_sel:WORD_1
	v_cndmask_b32_e32 v62, v72, v62, vcc_lo
	v_and_b32_e32 v63, 3, v63
	v_lshl_add_u32 v62, v62, 23, 0x37800000
	v_cndmask_b32_e32 v60, v60, v63, vcc_lo
	v_and_b32_e32 v63, 0x80000000, v73
	v_lshlrev_b32_e32 v60, 21, v60
	v_or3_b32 v60, v63, v62, v60
.LBB4_1093:                             ;   in Loop: Header=BB4_130 Depth=2
	s_or_b32 exec_lo, exec_lo, s29
	v_max_f32_e32 v60, v60, v60
	v_max_f32_e32 v61, v61, v61
	v_min_f32_e32 v61, v61, v60
.LBB4_1094:                             ;   in Loop: Header=BB4_130 Depth=2
	v_and_b32_e32 v60, 0x7f800000, v61
	v_cmp_ne_u32_e32 vcc_lo, 0x7f800000, v60
	v_mov_b32_e32 v60, 0x80
	s_and_saveexec_b32 s29, vcc_lo
	s_cbranch_execz .LBB4_1102
; %bb.1095:                             ;   in Loop: Header=BB4_130 Depth=2
	v_mov_b32_e32 v60, 0
	s_mov_b32 s40, exec_lo
	v_cmpx_ne_u32_e32 0, v61
	s_cbranch_execz .LBB4_1101
; %bb.1096:                             ;   in Loop: Header=BB4_130 Depth=2
	v_bfe_u32 v60, v61, 23, 8
	v_and_b32_e32 v62, 0x7fffff, v61
	v_sub_nc_u32_e32 v63, 0x70, v60
	v_cmp_gt_u32_e32 vcc_lo, 0x71, v60
	v_or_b32_e32 v72, 0x800000, v62
	v_cndmask_b32_e32 v63, 0, v63, vcc_lo
	v_cmp_eq_u32_e32 vcc_lo, 0, v60
	v_add_nc_u32_e32 v60, 0xffffff91, v60
	v_cndmask_b32_e64 v63, v63, 0x6f, vcc_lo
	v_cndmask_b32_e32 v62, v72, v62, vcc_lo
	v_cndmask_b32_e64 v60, v60, 0xffffff92, vcc_lo
	v_lshl_add_u32 v72, 0x200000, v63, -1
	v_lshrrev_b32_e32 v73, v63, v62
	v_lshlrev_b32_e64 v75, v63, 0x100000
	v_add_nc_u32_e32 v63, v63, v60
	v_and_b32_e32 v62, v72, v62
	v_bfe_u32 v74, v73, 21, 1
	v_cmp_eq_u32_e64 s13, v62, v75
	v_add_nc_u32_e32 v72, -1, v74
	v_cndmask_b32_e64 v62, 0, v72, s13
	v_lshrrev_b32_e32 v72, 23, v73
	s_mov_b32 s13, exec_lo
	v_add_nc_u32_e32 v62, v62, v73
	v_xor_b32_e32 v72, 1, v72
	v_and_b32_e32 v60, 0x1fffff, v62
	v_add_nc_u32_e32 v62, v60, v73
                                        ; implicit-def: $vgpr60
	v_cmpx_ne_u32_e64 v63, v72
	s_xor_b32 s13, exec_lo, s13
; %bb.1097:                             ;   in Loop: Header=BB4_130 Depth=2
	v_cmp_lt_u32_e32 vcc_lo, 0xffffff, v62
	v_sub_nc_u32_e32 v60, v63, v72
	v_cndmask_b32_e64 v63, 0, 1, vcc_lo
	v_add_co_ci_u32_e64 v60, null, 0, v60, vcc_lo
	v_lshrrev_b32_e32 v62, v63, v62
; %bb.1098:                             ;   in Loop: Header=BB4_130 Depth=2
	s_andn2_saveexec_b32 s13, s13
; %bb.1099:                             ;   in Loop: Header=BB4_130 Depth=2
	v_bfe_u32 v60, v62, 23, 1
; %bb.1100:                             ;   in Loop: Header=BB4_130 Depth=2
	s_or_b32 exec_lo, exec_lo, s13
	v_lshrrev_b32_e32 v62, 21, v62
	v_min_i32_e32 v63, 31, v60
	v_cmp_gt_i32_e32 vcc_lo, 32, v60
	v_and_b32_sdwa v61, v61, v113 dst_sel:DWORD dst_unused:UNUSED_PAD src0_sel:BYTE_3 src1_sel:DWORD
	v_lshlrev_b32_e32 v63, 2, v63
	v_cndmask_b32_e32 v62, 3, v62, vcc_lo
	v_and_b32_e32 v63, 0xfc, v63
	v_and_b32_e32 v72, 3, v62
	v_or_b32_e32 v60, v60, v62
	v_or3_b32 v61, v63, v61, v72
	v_cmp_ne_u32_e32 vcc_lo, 0, v60
	v_cndmask_b32_e32 v60, 0, v61, vcc_lo
.LBB4_1101:                             ;   in Loop: Header=BB4_130 Depth=2
	s_or_b32 exec_lo, exec_lo, s40
.LBB4_1102:                             ;   in Loop: Header=BB4_130 Depth=2
	s_or_b32 exec_lo, exec_lo, s29
	v_cmp_gt_i16_sdwa s29, v16, v112 src0_sel:BYTE_3 src1_sel:DWORD
	s_andn2_b32 vcc_lo, exec_lo, s28
	s_mov_b32 s13, -1
                                        ; implicit-def: $vgpr61
	s_cbranch_vccnz .LBB4_1116
; %bb.1103:                             ;   in Loop: Header=BB4_130 Depth=2
	s_mov_b32 s13, 0
	s_and_saveexec_b32 s40, s29
	s_xor_b32 s29, exec_lo, s40
	s_cbranch_execz .LBB4_1496
; %bb.1104:                             ;   in Loop: Header=BB4_130 Depth=2
	v_cmp_eq_u16_sdwa s41, v16, v113 src0_sel:BYTE_3 src1_sel:DWORD
	s_mov_b32 s13, -1
	s_and_saveexec_b32 s40, s41
; %bb.1105:                             ;   in Loop: Header=BB4_130 Depth=2
	s_xor_b32 s13, exec_lo, -1
; %bb.1106:                             ;   in Loop: Header=BB4_130 Depth=2
	s_or_b32 exec_lo, exec_lo, s40
	s_and_b32 s13, s13, exec_lo
	s_or_saveexec_b32 s29, s29
	v_mov_b32_e32 v61, 0x7f800001
	s_xor_b32 exec_lo, exec_lo, s29
	s_cbranch_execnz .LBB4_1497
.LBB4_1107:                             ;   in Loop: Header=BB4_130 Depth=2
	s_or_b32 exec_lo, exec_lo, s29
	s_and_saveexec_b32 s29, s13
	s_cbranch_execz .LBB4_1109
.LBB4_1108:                             ;   in Loop: Header=BB4_130 Depth=2
	v_bfe_u32 v61, v16, 24, 2
	v_bfe_u32 v72, v16, 26, 5
	v_ffbh_u32_e32 v62, v61
	v_cmp_eq_u32_e32 vcc_lo, 0, v72
	v_min_u32_e32 v62, 32, v62
	v_subrev_nc_u32_e32 v63, 29, v62
	v_sub_nc_u32_e32 v62, 30, v62
	v_lshlrev_b32_sdwa v63, v63, v16 dst_sel:DWORD dst_unused:UNUSED_PAD src0_sel:DWORD src1_sel:BYTE_3
	v_cndmask_b32_e32 v62, v72, v62, vcc_lo
	v_and_b32_e32 v63, 3, v63
	v_lshl_add_u32 v62, v62, 23, 0x37800000
	v_cndmask_b32_e32 v61, v61, v63, vcc_lo
	v_and_b32_e32 v63, 0x80000000, v16
	v_lshlrev_b32_e32 v61, 21, v61
	v_or3_b32 v61, v63, v62, v61
.LBB4_1109:                             ;   in Loop: Header=BB4_130 Depth=2
	s_or_b32 exec_lo, exec_lo, s29
	v_cmp_gt_i16_sdwa s29, v12, v112 src0_sel:BYTE_3 src1_sel:DWORD
	s_mov_b32 s13, 0
	s_and_saveexec_b32 s40, s29
	s_xor_b32 s29, exec_lo, s40
	s_cbranch_execz .LBB4_1498
; %bb.1110:                             ;   in Loop: Header=BB4_130 Depth=2
	v_cmp_eq_u16_sdwa s41, v12, v113 src0_sel:BYTE_3 src1_sel:DWORD
	s_mov_b32 s13, -1
	s_and_saveexec_b32 s40, s41
; %bb.1111:                             ;   in Loop: Header=BB4_130 Depth=2
	s_xor_b32 s13, exec_lo, -1
; %bb.1112:                             ;   in Loop: Header=BB4_130 Depth=2
	s_or_b32 exec_lo, exec_lo, s40
	s_and_b32 s13, s13, exec_lo
	s_or_saveexec_b32 s29, s29
	v_mov_b32_e32 v62, 0x7f800001
	s_xor_b32 exec_lo, exec_lo, s29
	s_cbranch_execnz .LBB4_1499
.LBB4_1113:                             ;   in Loop: Header=BB4_130 Depth=2
	s_or_b32 exec_lo, exec_lo, s29
	s_and_saveexec_b32 s29, s13
	s_cbranch_execz .LBB4_1115
.LBB4_1114:                             ;   in Loop: Header=BB4_130 Depth=2
	v_bfe_u32 v62, v12, 24, 2
	v_bfe_u32 v73, v12, 26, 5
	v_ffbh_u32_e32 v63, v62
	v_cmp_eq_u32_e32 vcc_lo, 0, v73
	v_min_u32_e32 v63, 32, v63
	v_subrev_nc_u32_e32 v72, 29, v63
	v_sub_nc_u32_e32 v63, 30, v63
	v_lshlrev_b32_sdwa v72, v72, v12 dst_sel:DWORD dst_unused:UNUSED_PAD src0_sel:DWORD src1_sel:BYTE_3
	v_cndmask_b32_e32 v63, v73, v63, vcc_lo
	v_and_b32_e32 v72, 3, v72
	v_lshl_add_u32 v63, v63, 23, 0x37800000
	v_cndmask_b32_e32 v62, v62, v72, vcc_lo
	v_and_b32_e32 v72, 0x80000000, v12
	v_lshlrev_b32_e32 v62, 21, v62
	v_or3_b32 v62, v72, v63, v62
.LBB4_1115:                             ;   in Loop: Header=BB4_130 Depth=2
	s_or_b32 exec_lo, exec_lo, s29
	v_max_f32_e32 v62, v62, v62
	v_max_f32_e32 v61, v61, v61
	s_mov_b32 s13, 0
	v_max_f32_e32 v61, v61, v62
.LBB4_1116:                             ;   in Loop: Header=BB4_130 Depth=2
	s_and_b32 vcc_lo, exec_lo, s13
	s_cbranch_vccz .LBB4_1130
; %bb.1117:                             ;   in Loop: Header=BB4_130 Depth=2
	v_cmp_gt_i16_sdwa s29, v16, v112 src0_sel:BYTE_3 src1_sel:DWORD
	s_mov_b32 s13, 0
	s_and_saveexec_b32 s40, s29
	s_xor_b32 s29, exec_lo, s40
	s_cbranch_execz .LBB4_1500
; %bb.1118:                             ;   in Loop: Header=BB4_130 Depth=2
	v_cmp_eq_u16_sdwa s41, v16, v113 src0_sel:BYTE_3 src1_sel:DWORD
	s_mov_b32 s13, -1
	s_and_saveexec_b32 s40, s41
; %bb.1119:                             ;   in Loop: Header=BB4_130 Depth=2
	s_xor_b32 s13, exec_lo, -1
; %bb.1120:                             ;   in Loop: Header=BB4_130 Depth=2
	s_or_b32 exec_lo, exec_lo, s40
	s_and_b32 s13, s13, exec_lo
	s_or_saveexec_b32 s29, s29
	v_mov_b32_e32 v61, 0x7f800001
	s_xor_b32 exec_lo, exec_lo, s29
	s_cbranch_execnz .LBB4_1501
.LBB4_1121:                             ;   in Loop: Header=BB4_130 Depth=2
	s_or_b32 exec_lo, exec_lo, s29
	s_and_saveexec_b32 s29, s13
	s_cbranch_execz .LBB4_1123
.LBB4_1122:                             ;   in Loop: Header=BB4_130 Depth=2
	v_bfe_u32 v61, v16, 24, 2
	v_bfe_u32 v72, v16, 26, 5
	v_ffbh_u32_e32 v62, v61
	v_cmp_eq_u32_e32 vcc_lo, 0, v72
	v_min_u32_e32 v62, 32, v62
	v_subrev_nc_u32_e32 v63, 29, v62
	v_sub_nc_u32_e32 v62, 30, v62
	v_lshlrev_b32_sdwa v63, v63, v16 dst_sel:DWORD dst_unused:UNUSED_PAD src0_sel:DWORD src1_sel:BYTE_3
	v_cndmask_b32_e32 v62, v72, v62, vcc_lo
	v_and_b32_e32 v16, 0x80000000, v16
	v_and_b32_e32 v63, 3, v63
	v_lshl_add_u32 v62, v62, 23, 0x37800000
	v_cndmask_b32_e32 v61, v61, v63, vcc_lo
	v_lshlrev_b32_e32 v61, 21, v61
	v_or3_b32 v61, v16, v62, v61
.LBB4_1123:                             ;   in Loop: Header=BB4_130 Depth=2
	s_or_b32 exec_lo, exec_lo, s29
	v_cmp_gt_i16_sdwa s29, v12, v112 src0_sel:BYTE_3 src1_sel:DWORD
	s_mov_b32 s13, 0
	s_and_saveexec_b32 s40, s29
	s_xor_b32 s29, exec_lo, s40
	s_cbranch_execz .LBB4_1502
; %bb.1124:                             ;   in Loop: Header=BB4_130 Depth=2
	v_cmp_eq_u16_sdwa s41, v12, v113 src0_sel:BYTE_3 src1_sel:DWORD
	s_mov_b32 s13, -1
	s_and_saveexec_b32 s40, s41
; %bb.1125:                             ;   in Loop: Header=BB4_130 Depth=2
	s_xor_b32 s13, exec_lo, -1
; %bb.1126:                             ;   in Loop: Header=BB4_130 Depth=2
	s_or_b32 exec_lo, exec_lo, s40
	s_and_b32 s13, s13, exec_lo
	s_or_saveexec_b32 s29, s29
	v_mov_b32_e32 v16, 0x7f800001
	s_xor_b32 exec_lo, exec_lo, s29
	s_cbranch_execnz .LBB4_1503
.LBB4_1127:                             ;   in Loop: Header=BB4_130 Depth=2
	s_or_b32 exec_lo, exec_lo, s29
	s_and_saveexec_b32 s29, s13
	s_cbranch_execz .LBB4_1129
.LBB4_1128:                             ;   in Loop: Header=BB4_130 Depth=2
	v_bfe_u32 v16, v12, 24, 2
	v_bfe_u32 v72, v12, 26, 5
	v_ffbh_u32_e32 v62, v16
	v_cmp_eq_u32_e32 vcc_lo, 0, v72
	v_min_u32_e32 v62, 32, v62
	v_subrev_nc_u32_e32 v63, 29, v62
	v_sub_nc_u32_e32 v62, 30, v62
	v_lshlrev_b32_sdwa v63, v63, v12 dst_sel:DWORD dst_unused:UNUSED_PAD src0_sel:DWORD src1_sel:BYTE_3
	v_cndmask_b32_e32 v62, v72, v62, vcc_lo
	v_and_b32_e32 v12, 0x80000000, v12
	v_and_b32_e32 v63, 3, v63
	v_lshl_add_u32 v62, v62, 23, 0x37800000
	v_cndmask_b32_e32 v16, v16, v63, vcc_lo
	v_lshlrev_b32_e32 v16, 21, v16
	v_or3_b32 v16, v12, v62, v16
.LBB4_1129:                             ;   in Loop: Header=BB4_130 Depth=2
	s_or_b32 exec_lo, exec_lo, s29
	v_max_f32_e32 v12, v16, v16
	v_max_f32_e32 v16, v61, v61
	v_min_f32_e32 v61, v16, v12
.LBB4_1130:                             ;   in Loop: Header=BB4_130 Depth=2
	v_and_b32_e32 v12, 0x7f800000, v61
	v_cmp_ne_u32_e32 vcc_lo, 0x7f800000, v12
	v_mov_b32_e32 v12, 0x8000
	s_and_saveexec_b32 s29, vcc_lo
	s_cbranch_execz .LBB4_1138
; %bb.1131:                             ;   in Loop: Header=BB4_130 Depth=2
	v_mov_b32_e32 v12, 0
	s_mov_b32 s40, exec_lo
	v_cmpx_ne_u32_e32 0, v61
	s_cbranch_execz .LBB4_1137
; %bb.1132:                             ;   in Loop: Header=BB4_130 Depth=2
	v_bfe_u32 v12, v61, 23, 8
	v_and_b32_e32 v16, 0x7fffff, v61
	v_sub_nc_u32_e32 v62, 0x70, v12
	v_cmp_gt_u32_e32 vcc_lo, 0x71, v12
	v_or_b32_e32 v63, 0x800000, v16
	v_cndmask_b32_e32 v62, 0, v62, vcc_lo
	v_cmp_eq_u32_e32 vcc_lo, 0, v12
	v_add_nc_u32_e32 v12, 0xffffff91, v12
	v_cndmask_b32_e64 v62, v62, 0x6f, vcc_lo
	v_cndmask_b32_e32 v16, v63, v16, vcc_lo
	v_cndmask_b32_e64 v12, v12, 0xffffff92, vcc_lo
	v_lshl_add_u32 v63, 0x200000, v62, -1
	v_lshrrev_b32_e32 v72, v62, v16
	v_lshlrev_b32_e64 v74, v62, 0x100000
	v_add_nc_u32_e32 v62, v62, v12
	v_and_b32_e32 v16, v63, v16
	v_bfe_u32 v73, v72, 21, 1
	v_cmp_eq_u32_e64 s13, v16, v74
	v_add_nc_u32_e32 v63, -1, v73
	v_cndmask_b32_e64 v16, 0, v63, s13
	v_lshrrev_b32_e32 v63, 23, v72
	s_mov_b32 s13, exec_lo
	v_add_nc_u32_e32 v16, v16, v72
	v_xor_b32_e32 v63, 1, v63
	v_and_b32_e32 v12, 0x1fffff, v16
	v_add_nc_u32_e32 v16, v12, v72
                                        ; implicit-def: $vgpr12
	v_cmpx_ne_u32_e64 v62, v63
	s_xor_b32 s13, exec_lo, s13
; %bb.1133:                             ;   in Loop: Header=BB4_130 Depth=2
	v_cmp_lt_u32_e32 vcc_lo, 0xffffff, v16
	v_sub_nc_u32_e32 v12, v62, v63
	v_cndmask_b32_e64 v62, 0, 1, vcc_lo
	v_add_co_ci_u32_e64 v12, null, 0, v12, vcc_lo
	v_lshrrev_b32_e32 v16, v62, v16
; %bb.1134:                             ;   in Loop: Header=BB4_130 Depth=2
	s_andn2_saveexec_b32 s13, s13
; %bb.1135:                             ;   in Loop: Header=BB4_130 Depth=2
	v_bfe_u32 v12, v16, 23, 1
; %bb.1136:                             ;   in Loop: Header=BB4_130 Depth=2
	s_or_b32 exec_lo, exec_lo, s13
	v_lshrrev_b32_e32 v16, 21, v16
	v_min_i32_e32 v62, 31, v12
	v_cmp_gt_i32_e32 vcc_lo, 32, v12
	v_and_b32_sdwa v61, v61, v113 dst_sel:DWORD dst_unused:UNUSED_PAD src0_sel:BYTE_3 src1_sel:DWORD
	v_lshlrev_b32_e32 v62, 2, v62
	v_cndmask_b32_e32 v16, 3, v16, vcc_lo
	v_and_b32_e32 v62, 0xfc, v62
	v_and_b32_e32 v63, 3, v16
	v_or_b32_e32 v12, v12, v16
	v_or3_b32 v61, v61, v62, v63
	v_cmp_ne_u32_e32 vcc_lo, 0, v12
	v_lshlrev_b32_e32 v16, 8, v61
	v_cndmask_b32_e32 v12, 0, v16, vcc_lo
.LBB4_1137:                             ;   in Loop: Header=BB4_130 Depth=2
	s_or_b32 exec_lo, exec_lo, s40
.LBB4_1138:                             ;   in Loop: Header=BB4_130 Depth=2
	s_or_b32 exec_lo, exec_lo, s29
	v_cmp_gt_i16_sdwa s29, v17, v112 src0_sel:BYTE_0 src1_sel:DWORD
	s_andn2_b32 vcc_lo, exec_lo, s28
	s_mov_b32 s13, -1
                                        ; implicit-def: $vgpr61
	s_cbranch_vccnz .LBB4_1152
; %bb.1139:                             ;   in Loop: Header=BB4_130 Depth=2
	s_mov_b32 s13, 0
	s_and_saveexec_b32 s40, s29
	s_xor_b32 s29, exec_lo, s40
	s_cbranch_execz .LBB4_1504
; %bb.1140:                             ;   in Loop: Header=BB4_130 Depth=2
	v_cmp_eq_u16_sdwa s41, v17, v113 src0_sel:BYTE_0 src1_sel:DWORD
	s_mov_b32 s13, -1
	s_and_saveexec_b32 s40, s41
; %bb.1141:                             ;   in Loop: Header=BB4_130 Depth=2
	s_xor_b32 s13, exec_lo, -1
; %bb.1142:                             ;   in Loop: Header=BB4_130 Depth=2
	s_or_b32 exec_lo, exec_lo, s40
	s_and_b32 s13, s13, exec_lo
	s_or_saveexec_b32 s29, s29
	v_mov_b32_e32 v16, 0x7f800001
	s_xor_b32 exec_lo, exec_lo, s29
	s_cbranch_execnz .LBB4_1505
.LBB4_1143:                             ;   in Loop: Header=BB4_130 Depth=2
	s_or_b32 exec_lo, exec_lo, s29
	s_and_saveexec_b32 s29, s13
	s_cbranch_execz .LBB4_1145
.LBB4_1144:                             ;   in Loop: Header=BB4_130 Depth=2
	v_and_b32_e32 v16, 3, v17
	v_bfe_u32 v63, v17, 2, 5
	v_lshlrev_b32_e32 v72, 24, v17
	v_ffbh_u32_e32 v61, v16
	v_cmp_eq_u32_e32 vcc_lo, 0, v63
	v_min_u32_e32 v61, 32, v61
	v_subrev_nc_u32_e32 v62, 29, v61
	v_sub_nc_u32_e32 v61, 30, v61
	v_lshlrev_b32_e32 v62, v62, v17
	v_cndmask_b32_e32 v61, v63, v61, vcc_lo
	v_and_b32_e32 v62, 3, v62
	v_lshl_add_u32 v61, v61, 23, 0x37800000
	v_cndmask_b32_e32 v16, v16, v62, vcc_lo
	v_and_b32_e32 v62, 0x80000000, v72
	v_lshlrev_b32_e32 v16, 21, v16
	v_or3_b32 v16, v62, v61, v16
.LBB4_1145:                             ;   in Loop: Header=BB4_130 Depth=2
	s_or_b32 exec_lo, exec_lo, s29
	v_cmp_gt_i16_sdwa s29, v13, v112 src0_sel:BYTE_0 src1_sel:DWORD
	s_mov_b32 s13, 0
	s_and_saveexec_b32 s40, s29
	s_xor_b32 s29, exec_lo, s40
	s_cbranch_execz .LBB4_1506
; %bb.1146:                             ;   in Loop: Header=BB4_130 Depth=2
	v_cmp_eq_u16_sdwa s41, v13, v113 src0_sel:BYTE_0 src1_sel:DWORD
	s_mov_b32 s13, -1
	s_and_saveexec_b32 s40, s41
; %bb.1147:                             ;   in Loop: Header=BB4_130 Depth=2
	s_xor_b32 s13, exec_lo, -1
; %bb.1148:                             ;   in Loop: Header=BB4_130 Depth=2
	s_or_b32 exec_lo, exec_lo, s40
	s_and_b32 s13, s13, exec_lo
	s_or_saveexec_b32 s29, s29
	v_mov_b32_e32 v61, 0x7f800001
	s_xor_b32 exec_lo, exec_lo, s29
	s_cbranch_execnz .LBB4_1507
.LBB4_1149:                             ;   in Loop: Header=BB4_130 Depth=2
	s_or_b32 exec_lo, exec_lo, s29
	s_and_saveexec_b32 s29, s13
	s_cbranch_execz .LBB4_1151
.LBB4_1150:                             ;   in Loop: Header=BB4_130 Depth=2
	v_and_b32_e32 v61, 3, v13
	v_bfe_u32 v72, v13, 2, 5
	v_lshlrev_b32_e32 v73, 24, v13
	v_ffbh_u32_e32 v62, v61
	v_cmp_eq_u32_e32 vcc_lo, 0, v72
	v_min_u32_e32 v62, 32, v62
	v_subrev_nc_u32_e32 v63, 29, v62
	v_sub_nc_u32_e32 v62, 30, v62
	v_lshlrev_b32_e32 v63, v63, v13
	v_cndmask_b32_e32 v62, v72, v62, vcc_lo
	v_and_b32_e32 v63, 3, v63
	v_lshl_add_u32 v62, v62, 23, 0x37800000
	v_cndmask_b32_e32 v61, v61, v63, vcc_lo
	v_and_b32_e32 v63, 0x80000000, v73
	v_lshlrev_b32_e32 v61, 21, v61
	v_or3_b32 v61, v63, v62, v61
.LBB4_1151:                             ;   in Loop: Header=BB4_130 Depth=2
	s_or_b32 exec_lo, exec_lo, s29
	v_max_f32_e32 v61, v61, v61
	v_max_f32_e32 v16, v16, v16
	s_mov_b32 s13, 0
	v_max_f32_e32 v61, v16, v61
.LBB4_1152:                             ;   in Loop: Header=BB4_130 Depth=2
	s_and_b32 vcc_lo, exec_lo, s13
	s_cbranch_vccz .LBB4_1166
; %bb.1153:                             ;   in Loop: Header=BB4_130 Depth=2
	v_cmp_gt_i16_sdwa s29, v17, v112 src0_sel:BYTE_0 src1_sel:DWORD
	s_mov_b32 s13, 0
	s_and_saveexec_b32 s40, s29
	s_xor_b32 s29, exec_lo, s40
	s_cbranch_execz .LBB4_1508
; %bb.1154:                             ;   in Loop: Header=BB4_130 Depth=2
	v_cmp_eq_u16_sdwa s41, v17, v113 src0_sel:BYTE_0 src1_sel:DWORD
	s_mov_b32 s13, -1
	s_and_saveexec_b32 s40, s41
; %bb.1155:                             ;   in Loop: Header=BB4_130 Depth=2
	s_xor_b32 s13, exec_lo, -1
; %bb.1156:                             ;   in Loop: Header=BB4_130 Depth=2
	s_or_b32 exec_lo, exec_lo, s40
	s_and_b32 s13, s13, exec_lo
	s_or_saveexec_b32 s29, s29
	v_mov_b32_e32 v16, 0x7f800001
	s_xor_b32 exec_lo, exec_lo, s29
	s_cbranch_execnz .LBB4_1509
.LBB4_1157:                             ;   in Loop: Header=BB4_130 Depth=2
	s_or_b32 exec_lo, exec_lo, s29
	s_and_saveexec_b32 s29, s13
	s_cbranch_execz .LBB4_1159
.LBB4_1158:                             ;   in Loop: Header=BB4_130 Depth=2
	v_and_b32_e32 v16, 3, v17
	v_bfe_u32 v63, v17, 2, 5
	v_lshlrev_b32_e32 v72, 24, v17
	v_ffbh_u32_e32 v61, v16
	v_cmp_eq_u32_e32 vcc_lo, 0, v63
	v_min_u32_e32 v61, 32, v61
	v_subrev_nc_u32_e32 v62, 29, v61
	v_sub_nc_u32_e32 v61, 30, v61
	v_lshlrev_b32_e32 v62, v62, v17
	v_cndmask_b32_e32 v61, v63, v61, vcc_lo
	v_and_b32_e32 v62, 3, v62
	v_lshl_add_u32 v61, v61, 23, 0x37800000
	v_cndmask_b32_e32 v16, v16, v62, vcc_lo
	v_and_b32_e32 v62, 0x80000000, v72
	v_lshlrev_b32_e32 v16, 21, v16
	v_or3_b32 v16, v62, v61, v16
.LBB4_1159:                             ;   in Loop: Header=BB4_130 Depth=2
	s_or_b32 exec_lo, exec_lo, s29
	v_cmp_gt_i16_sdwa s29, v13, v112 src0_sel:BYTE_0 src1_sel:DWORD
	s_mov_b32 s13, 0
	s_and_saveexec_b32 s40, s29
	s_xor_b32 s29, exec_lo, s40
	s_cbranch_execz .LBB4_1510
; %bb.1160:                             ;   in Loop: Header=BB4_130 Depth=2
	v_cmp_eq_u16_sdwa s41, v13, v113 src0_sel:BYTE_0 src1_sel:DWORD
	s_mov_b32 s13, -1
	s_and_saveexec_b32 s40, s41
; %bb.1161:                             ;   in Loop: Header=BB4_130 Depth=2
	s_xor_b32 s13, exec_lo, -1
; %bb.1162:                             ;   in Loop: Header=BB4_130 Depth=2
	s_or_b32 exec_lo, exec_lo, s40
	s_and_b32 s13, s13, exec_lo
	s_or_saveexec_b32 s29, s29
	v_mov_b32_e32 v61, 0x7f800001
	s_xor_b32 exec_lo, exec_lo, s29
	s_cbranch_execnz .LBB4_1511
.LBB4_1163:                             ;   in Loop: Header=BB4_130 Depth=2
	s_or_b32 exec_lo, exec_lo, s29
	s_and_saveexec_b32 s29, s13
	s_cbranch_execz .LBB4_1165
.LBB4_1164:                             ;   in Loop: Header=BB4_130 Depth=2
	v_and_b32_e32 v61, 3, v13
	v_bfe_u32 v72, v13, 2, 5
	v_lshlrev_b32_e32 v73, 24, v13
	v_ffbh_u32_e32 v62, v61
	v_cmp_eq_u32_e32 vcc_lo, 0, v72
	v_min_u32_e32 v62, 32, v62
	v_subrev_nc_u32_e32 v63, 29, v62
	v_sub_nc_u32_e32 v62, 30, v62
	v_lshlrev_b32_e32 v63, v63, v13
	v_cndmask_b32_e32 v62, v72, v62, vcc_lo
	v_and_b32_e32 v63, 3, v63
	v_lshl_add_u32 v62, v62, 23, 0x37800000
	v_cndmask_b32_e32 v61, v61, v63, vcc_lo
	v_and_b32_e32 v63, 0x80000000, v73
	v_lshlrev_b32_e32 v61, 21, v61
	v_or3_b32 v61, v63, v62, v61
.LBB4_1165:                             ;   in Loop: Header=BB4_130 Depth=2
	s_or_b32 exec_lo, exec_lo, s29
	v_max_f32_e32 v61, v61, v61
	v_max_f32_e32 v16, v16, v16
	v_min_f32_e32 v61, v16, v61
.LBB4_1166:                             ;   in Loop: Header=BB4_130 Depth=2
	v_and_b32_e32 v16, 0x7f800000, v61
	v_cmp_ne_u32_e32 vcc_lo, 0x7f800000, v16
	v_mov_b32_e32 v16, 0x80
	s_and_saveexec_b32 s29, vcc_lo
	s_cbranch_execz .LBB4_1174
; %bb.1167:                             ;   in Loop: Header=BB4_130 Depth=2
	v_mov_b32_e32 v16, 0
	s_mov_b32 s40, exec_lo
	v_cmpx_ne_u32_e32 0, v61
	s_cbranch_execz .LBB4_1173
; %bb.1168:                             ;   in Loop: Header=BB4_130 Depth=2
	v_bfe_u32 v16, v61, 23, 8
	v_and_b32_e32 v62, 0x7fffff, v61
	v_sub_nc_u32_e32 v63, 0x70, v16
	v_cmp_gt_u32_e32 vcc_lo, 0x71, v16
	v_or_b32_e32 v72, 0x800000, v62
	v_cndmask_b32_e32 v63, 0, v63, vcc_lo
	v_cmp_eq_u32_e32 vcc_lo, 0, v16
	v_add_nc_u32_e32 v16, 0xffffff91, v16
	v_cndmask_b32_e64 v63, v63, 0x6f, vcc_lo
	v_cndmask_b32_e32 v62, v72, v62, vcc_lo
	v_cndmask_b32_e64 v16, v16, 0xffffff92, vcc_lo
	v_lshl_add_u32 v72, 0x200000, v63, -1
	v_lshrrev_b32_e32 v73, v63, v62
	v_lshlrev_b32_e64 v75, v63, 0x100000
	v_add_nc_u32_e32 v63, v63, v16
	v_and_b32_e32 v62, v72, v62
	v_bfe_u32 v74, v73, 21, 1
	v_cmp_eq_u32_e64 s13, v62, v75
	v_add_nc_u32_e32 v72, -1, v74
	v_cndmask_b32_e64 v62, 0, v72, s13
	v_lshrrev_b32_e32 v72, 23, v73
	s_mov_b32 s13, exec_lo
	v_add_nc_u32_e32 v62, v62, v73
	v_xor_b32_e32 v72, 1, v72
	v_and_b32_e32 v16, 0x1fffff, v62
	v_add_nc_u32_e32 v62, v16, v73
                                        ; implicit-def: $vgpr16
	v_cmpx_ne_u32_e64 v63, v72
	s_xor_b32 s13, exec_lo, s13
; %bb.1169:                             ;   in Loop: Header=BB4_130 Depth=2
	v_cmp_lt_u32_e32 vcc_lo, 0xffffff, v62
	v_sub_nc_u32_e32 v16, v63, v72
	v_cndmask_b32_e64 v63, 0, 1, vcc_lo
	v_add_co_ci_u32_e64 v16, null, 0, v16, vcc_lo
	v_lshrrev_b32_e32 v62, v63, v62
; %bb.1170:                             ;   in Loop: Header=BB4_130 Depth=2
	s_andn2_saveexec_b32 s13, s13
; %bb.1171:                             ;   in Loop: Header=BB4_130 Depth=2
	v_bfe_u32 v16, v62, 23, 1
; %bb.1172:                             ;   in Loop: Header=BB4_130 Depth=2
	s_or_b32 exec_lo, exec_lo, s13
	v_lshrrev_b32_e32 v62, 21, v62
	v_min_i32_e32 v63, 31, v16
	v_cmp_gt_i32_e32 vcc_lo, 32, v16
	v_and_b32_sdwa v61, v61, v113 dst_sel:DWORD dst_unused:UNUSED_PAD src0_sel:BYTE_3 src1_sel:DWORD
	v_lshlrev_b32_e32 v63, 2, v63
	v_cndmask_b32_e32 v62, 3, v62, vcc_lo
	v_and_b32_e32 v63, 0xfc, v63
	v_and_b32_e32 v72, 3, v62
	v_or_b32_e32 v16, v16, v62
	v_or3_b32 v61, v63, v61, v72
	v_cmp_ne_u32_e32 vcc_lo, 0, v16
	v_cndmask_b32_e32 v16, 0, v61, vcc_lo
.LBB4_1173:                             ;   in Loop: Header=BB4_130 Depth=2
	s_or_b32 exec_lo, exec_lo, s40
.LBB4_1174:                             ;   in Loop: Header=BB4_130 Depth=2
	s_or_b32 exec_lo, exec_lo, s29
	v_cmp_gt_i16_sdwa s29, v17, v112 src0_sel:BYTE_1 src1_sel:DWORD
	s_andn2_b32 vcc_lo, exec_lo, s28
	s_mov_b32 s13, -1
                                        ; implicit-def: $vgpr62
	s_cbranch_vccnz .LBB4_1188
; %bb.1175:                             ;   in Loop: Header=BB4_130 Depth=2
	s_mov_b32 s13, 0
	s_and_saveexec_b32 s40, s29
	s_xor_b32 s29, exec_lo, s40
	s_cbranch_execz .LBB4_1512
; %bb.1176:                             ;   in Loop: Header=BB4_130 Depth=2
	v_cmp_eq_u16_sdwa s41, v17, v113 src0_sel:BYTE_1 src1_sel:DWORD
	s_mov_b32 s13, -1
	s_and_saveexec_b32 s40, s41
; %bb.1177:                             ;   in Loop: Header=BB4_130 Depth=2
	s_xor_b32 s13, exec_lo, -1
; %bb.1178:                             ;   in Loop: Header=BB4_130 Depth=2
	s_or_b32 exec_lo, exec_lo, s40
	s_and_b32 s13, s13, exec_lo
	s_or_saveexec_b32 s29, s29
	v_mov_b32_e32 v61, 0x7f800001
	s_xor_b32 exec_lo, exec_lo, s29
	s_cbranch_execnz .LBB4_1513
.LBB4_1179:                             ;   in Loop: Header=BB4_130 Depth=2
	s_or_b32 exec_lo, exec_lo, s29
	s_and_saveexec_b32 s29, s13
	s_cbranch_execz .LBB4_1181
.LBB4_1180:                             ;   in Loop: Header=BB4_130 Depth=2
	v_and_b32_sdwa v61, v114, v17 dst_sel:DWORD dst_unused:UNUSED_PAD src0_sel:DWORD src1_sel:BYTE_1
	v_and_b32_e32 v62, 3, v61
	v_bfe_u32 v73, v61, 2, 5
	v_ffbh_u32_e32 v63, v62
	v_cmp_eq_u32_e32 vcc_lo, 0, v73
	v_min_u32_e32 v63, 32, v63
	v_subrev_nc_u32_e32 v72, 29, v63
	v_sub_nc_u32_e32 v63, 30, v63
	v_lshlrev_b32_e32 v61, v72, v61
	v_lshlrev_b32_e32 v72, 16, v17
	v_cndmask_b32_e32 v63, v73, v63, vcc_lo
	v_and_b32_e32 v61, 3, v61
	v_lshl_add_u32 v63, v63, 23, 0x37800000
	v_cndmask_b32_e32 v61, v62, v61, vcc_lo
	v_and_b32_e32 v62, 0x80000000, v72
	v_lshlrev_b32_e32 v61, 21, v61
	v_or3_b32 v61, v62, v63, v61
.LBB4_1181:                             ;   in Loop: Header=BB4_130 Depth=2
	s_or_b32 exec_lo, exec_lo, s29
	v_cmp_gt_i16_sdwa s29, v13, v112 src0_sel:BYTE_1 src1_sel:DWORD
	s_mov_b32 s13, 0
	s_and_saveexec_b32 s40, s29
	s_xor_b32 s29, exec_lo, s40
	s_cbranch_execz .LBB4_1514
; %bb.1182:                             ;   in Loop: Header=BB4_130 Depth=2
	v_cmp_eq_u16_sdwa s41, v13, v113 src0_sel:BYTE_1 src1_sel:DWORD
	s_mov_b32 s13, -1
	s_and_saveexec_b32 s40, s41
; %bb.1183:                             ;   in Loop: Header=BB4_130 Depth=2
	s_xor_b32 s13, exec_lo, -1
; %bb.1184:                             ;   in Loop: Header=BB4_130 Depth=2
	s_or_b32 exec_lo, exec_lo, s40
	s_and_b32 s13, s13, exec_lo
	s_or_saveexec_b32 s29, s29
	v_mov_b32_e32 v62, 0x7f800001
	s_xor_b32 exec_lo, exec_lo, s29
	s_cbranch_execnz .LBB4_1515
.LBB4_1185:                             ;   in Loop: Header=BB4_130 Depth=2
	s_or_b32 exec_lo, exec_lo, s29
	s_and_saveexec_b32 s29, s13
	s_cbranch_execz .LBB4_1187
.LBB4_1186:                             ;   in Loop: Header=BB4_130 Depth=2
	v_and_b32_sdwa v62, v114, v13 dst_sel:DWORD dst_unused:UNUSED_PAD src0_sel:DWORD src1_sel:BYTE_1
	v_and_b32_e32 v63, 3, v62
	v_bfe_u32 v74, v62, 2, 5
	v_ffbh_u32_e32 v72, v63
	v_cmp_eq_u32_e32 vcc_lo, 0, v74
	v_min_u32_e32 v72, 32, v72
	v_subrev_nc_u32_e32 v73, 29, v72
	v_sub_nc_u32_e32 v72, 30, v72
	v_lshlrev_b32_e32 v62, v73, v62
	v_lshlrev_b32_e32 v73, 16, v13
	v_cndmask_b32_e32 v72, v74, v72, vcc_lo
	v_and_b32_e32 v62, 3, v62
	v_lshl_add_u32 v72, v72, 23, 0x37800000
	v_cndmask_b32_e32 v62, v63, v62, vcc_lo
	v_and_b32_e32 v63, 0x80000000, v73
	v_lshlrev_b32_e32 v62, 21, v62
	v_or3_b32 v62, v63, v72, v62
.LBB4_1187:                             ;   in Loop: Header=BB4_130 Depth=2
	s_or_b32 exec_lo, exec_lo, s29
	v_max_f32_e32 v62, v62, v62
	v_max_f32_e32 v61, v61, v61
	s_mov_b32 s13, 0
	v_max_f32_e32 v62, v61, v62
.LBB4_1188:                             ;   in Loop: Header=BB4_130 Depth=2
	s_and_b32 vcc_lo, exec_lo, s13
	s_cbranch_vccz .LBB4_1202
; %bb.1189:                             ;   in Loop: Header=BB4_130 Depth=2
	v_cmp_gt_i16_sdwa s29, v17, v112 src0_sel:BYTE_1 src1_sel:DWORD
	s_mov_b32 s13, 0
	s_and_saveexec_b32 s40, s29
	s_xor_b32 s29, exec_lo, s40
	s_cbranch_execz .LBB4_1516
; %bb.1190:                             ;   in Loop: Header=BB4_130 Depth=2
	v_cmp_eq_u16_sdwa s41, v17, v113 src0_sel:BYTE_1 src1_sel:DWORD
	s_mov_b32 s13, -1
	s_and_saveexec_b32 s40, s41
; %bb.1191:                             ;   in Loop: Header=BB4_130 Depth=2
	s_xor_b32 s13, exec_lo, -1
; %bb.1192:                             ;   in Loop: Header=BB4_130 Depth=2
	s_or_b32 exec_lo, exec_lo, s40
	s_and_b32 s13, s13, exec_lo
	s_or_saveexec_b32 s29, s29
	v_mov_b32_e32 v61, 0x7f800001
	s_xor_b32 exec_lo, exec_lo, s29
	s_cbranch_execnz .LBB4_1517
.LBB4_1193:                             ;   in Loop: Header=BB4_130 Depth=2
	s_or_b32 exec_lo, exec_lo, s29
	s_and_saveexec_b32 s29, s13
	s_cbranch_execz .LBB4_1195
.LBB4_1194:                             ;   in Loop: Header=BB4_130 Depth=2
	v_and_b32_sdwa v61, v114, v17 dst_sel:DWORD dst_unused:UNUSED_PAD src0_sel:DWORD src1_sel:BYTE_1
	v_and_b32_e32 v62, 3, v61
	v_bfe_u32 v73, v61, 2, 5
	v_ffbh_u32_e32 v63, v62
	v_cmp_eq_u32_e32 vcc_lo, 0, v73
	v_min_u32_e32 v63, 32, v63
	v_subrev_nc_u32_e32 v72, 29, v63
	v_sub_nc_u32_e32 v63, 30, v63
	v_lshlrev_b32_e32 v61, v72, v61
	v_lshlrev_b32_e32 v72, 16, v17
	v_cndmask_b32_e32 v63, v73, v63, vcc_lo
	v_and_b32_e32 v61, 3, v61
	v_lshl_add_u32 v63, v63, 23, 0x37800000
	v_cndmask_b32_e32 v61, v62, v61, vcc_lo
	v_and_b32_e32 v62, 0x80000000, v72
	v_lshlrev_b32_e32 v61, 21, v61
	v_or3_b32 v61, v62, v63, v61
.LBB4_1195:                             ;   in Loop: Header=BB4_130 Depth=2
	s_or_b32 exec_lo, exec_lo, s29
	v_cmp_gt_i16_sdwa s29, v13, v112 src0_sel:BYTE_1 src1_sel:DWORD
	s_mov_b32 s13, 0
	s_and_saveexec_b32 s40, s29
	s_xor_b32 s29, exec_lo, s40
	s_cbranch_execz .LBB4_1518
; %bb.1196:                             ;   in Loop: Header=BB4_130 Depth=2
	v_cmp_eq_u16_sdwa s41, v13, v113 src0_sel:BYTE_1 src1_sel:DWORD
	s_mov_b32 s13, -1
	s_and_saveexec_b32 s40, s41
; %bb.1197:                             ;   in Loop: Header=BB4_130 Depth=2
	s_xor_b32 s13, exec_lo, -1
; %bb.1198:                             ;   in Loop: Header=BB4_130 Depth=2
	s_or_b32 exec_lo, exec_lo, s40
	s_and_b32 s13, s13, exec_lo
	s_or_saveexec_b32 s29, s29
	v_mov_b32_e32 v62, 0x7f800001
	s_xor_b32 exec_lo, exec_lo, s29
	s_cbranch_execnz .LBB4_1519
.LBB4_1199:                             ;   in Loop: Header=BB4_130 Depth=2
	s_or_b32 exec_lo, exec_lo, s29
	s_and_saveexec_b32 s29, s13
	s_cbranch_execz .LBB4_1201
.LBB4_1200:                             ;   in Loop: Header=BB4_130 Depth=2
	v_and_b32_sdwa v62, v114, v13 dst_sel:DWORD dst_unused:UNUSED_PAD src0_sel:DWORD src1_sel:BYTE_1
	v_and_b32_e32 v63, 3, v62
	v_bfe_u32 v74, v62, 2, 5
	v_ffbh_u32_e32 v72, v63
	v_cmp_eq_u32_e32 vcc_lo, 0, v74
	v_min_u32_e32 v72, 32, v72
	v_subrev_nc_u32_e32 v73, 29, v72
	v_sub_nc_u32_e32 v72, 30, v72
	v_lshlrev_b32_e32 v62, v73, v62
	v_lshlrev_b32_e32 v73, 16, v13
	v_cndmask_b32_e32 v72, v74, v72, vcc_lo
	v_and_b32_e32 v62, 3, v62
	v_lshl_add_u32 v72, v72, 23, 0x37800000
	v_cndmask_b32_e32 v62, v63, v62, vcc_lo
	v_and_b32_e32 v63, 0x80000000, v73
	v_lshlrev_b32_e32 v62, 21, v62
	v_or3_b32 v62, v63, v72, v62
.LBB4_1201:                             ;   in Loop: Header=BB4_130 Depth=2
	s_or_b32 exec_lo, exec_lo, s29
	v_max_f32_e32 v62, v62, v62
	v_max_f32_e32 v61, v61, v61
	v_min_f32_e32 v62, v61, v62
.LBB4_1202:                             ;   in Loop: Header=BB4_130 Depth=2
	v_and_b32_e32 v61, 0x7f800000, v62
	v_cmp_ne_u32_e32 vcc_lo, 0x7f800000, v61
	v_mov_b32_e32 v61, 0x8000
	s_and_saveexec_b32 s29, vcc_lo
	s_cbranch_execz .LBB4_1210
; %bb.1203:                             ;   in Loop: Header=BB4_130 Depth=2
	v_mov_b32_e32 v61, 0
	s_mov_b32 s40, exec_lo
	v_cmpx_ne_u32_e32 0, v62
	s_cbranch_execz .LBB4_1209
; %bb.1204:                             ;   in Loop: Header=BB4_130 Depth=2
	v_bfe_u32 v61, v62, 23, 8
	v_and_b32_e32 v63, 0x7fffff, v62
	v_sub_nc_u32_e32 v72, 0x70, v61
	v_cmp_gt_u32_e32 vcc_lo, 0x71, v61
	v_or_b32_e32 v73, 0x800000, v63
	v_cndmask_b32_e32 v72, 0, v72, vcc_lo
	v_cmp_eq_u32_e32 vcc_lo, 0, v61
	v_add_nc_u32_e32 v61, 0xffffff91, v61
	v_cndmask_b32_e64 v72, v72, 0x6f, vcc_lo
	v_cndmask_b32_e32 v63, v73, v63, vcc_lo
	v_cndmask_b32_e64 v61, v61, 0xffffff92, vcc_lo
	v_lshl_add_u32 v73, 0x200000, v72, -1
	v_lshrrev_b32_e32 v74, v72, v63
	v_lshlrev_b32_e64 v76, v72, 0x100000
	v_add_nc_u32_e32 v72, v72, v61
	v_and_b32_e32 v63, v73, v63
	v_bfe_u32 v75, v74, 21, 1
	v_cmp_eq_u32_e64 s13, v63, v76
	v_add_nc_u32_e32 v73, -1, v75
	v_cndmask_b32_e64 v63, 0, v73, s13
	v_lshrrev_b32_e32 v73, 23, v74
	s_mov_b32 s13, exec_lo
	v_add_nc_u32_e32 v63, v63, v74
	v_xor_b32_e32 v73, 1, v73
	v_and_b32_e32 v61, 0x1fffff, v63
	v_add_nc_u32_e32 v63, v61, v74
                                        ; implicit-def: $vgpr61
	v_cmpx_ne_u32_e64 v72, v73
	s_xor_b32 s13, exec_lo, s13
; %bb.1205:                             ;   in Loop: Header=BB4_130 Depth=2
	v_cmp_lt_u32_e32 vcc_lo, 0xffffff, v63
	v_sub_nc_u32_e32 v61, v72, v73
	v_cndmask_b32_e64 v72, 0, 1, vcc_lo
	v_add_co_ci_u32_e64 v61, null, 0, v61, vcc_lo
	v_lshrrev_b32_e32 v63, v72, v63
; %bb.1206:                             ;   in Loop: Header=BB4_130 Depth=2
	s_andn2_saveexec_b32 s13, s13
; %bb.1207:                             ;   in Loop: Header=BB4_130 Depth=2
	v_bfe_u32 v61, v63, 23, 1
; %bb.1208:                             ;   in Loop: Header=BB4_130 Depth=2
	s_or_b32 exec_lo, exec_lo, s13
	v_lshrrev_b32_e32 v63, 21, v63
	v_min_i32_e32 v72, 31, v61
	v_cmp_gt_i32_e32 vcc_lo, 32, v61
	v_and_b32_sdwa v62, v62, v113 dst_sel:DWORD dst_unused:UNUSED_PAD src0_sel:BYTE_3 src1_sel:DWORD
	v_lshlrev_b32_e32 v72, 2, v72
	v_cndmask_b32_e32 v63, 3, v63, vcc_lo
	v_and_b32_e32 v72, 0xfc, v72
	v_and_b32_e32 v73, 3, v63
	v_or_b32_e32 v61, v61, v63
	v_or3_b32 v62, v62, v72, v73
	v_cmp_ne_u32_e32 vcc_lo, 0, v61
	v_lshlrev_b32_e32 v62, 8, v62
	v_cndmask_b32_e32 v61, 0, v62, vcc_lo
.LBB4_1209:                             ;   in Loop: Header=BB4_130 Depth=2
	s_or_b32 exec_lo, exec_lo, s40
.LBB4_1210:                             ;   in Loop: Header=BB4_130 Depth=2
	s_or_b32 exec_lo, exec_lo, s29
	v_and_b32_sdwa v62, v17, v115 dst_sel:DWORD dst_unused:UNUSED_PAD src0_sel:WORD_1 src1_sel:DWORD
	s_andn2_b32 vcc_lo, exec_lo, s28
	s_mov_b32 s29, -1
                                        ; implicit-def: $vgpr63
	v_cmp_lt_i16_e64 s13, 0x7f, v62
	s_cbranch_vccnz .LBB4_1224
; %bb.1211:                             ;   in Loop: Header=BB4_130 Depth=2
	s_mov_b32 s29, 0
	s_and_saveexec_b32 s40, s13
	s_xor_b32 s13, exec_lo, s40
	s_cbranch_execz .LBB4_1520
; %bb.1212:                             ;   in Loop: Header=BB4_130 Depth=2
	s_mov_b32 s29, -1
	s_mov_b32 s40, exec_lo
	v_cmpx_eq_u16_e32 0x80, v62
; %bb.1213:                             ;   in Loop: Header=BB4_130 Depth=2
	s_xor_b32 s29, exec_lo, -1
; %bb.1214:                             ;   in Loop: Header=BB4_130 Depth=2
	s_or_b32 exec_lo, exec_lo, s40
	s_and_b32 s29, s29, exec_lo
	s_or_saveexec_b32 s13, s13
	v_mov_b32_e32 v63, 0x7f800001
	s_xor_b32 exec_lo, exec_lo, s13
	s_cbranch_execnz .LBB4_1521
.LBB4_1215:                             ;   in Loop: Header=BB4_130 Depth=2
	s_or_b32 exec_lo, exec_lo, s13
	s_and_saveexec_b32 s13, s29
	s_cbranch_execz .LBB4_1217
.LBB4_1216:                             ;   in Loop: Header=BB4_130 Depth=2
	v_bfe_u32 v63, v17, 16, 2
	v_bfe_u32 v74, v17, 18, 5
	v_lshlrev_b32_sdwa v75, v116, v17 dst_sel:DWORD dst_unused:UNUSED_PAD src0_sel:DWORD src1_sel:WORD_1
	v_ffbh_u32_e32 v72, v63
	v_cmp_eq_u32_e32 vcc_lo, 0, v74
	v_min_u32_e32 v72, 32, v72
	v_subrev_nc_u32_e32 v73, 29, v72
	v_sub_nc_u32_e32 v72, 30, v72
	v_lshlrev_b32_sdwa v73, v73, v17 dst_sel:DWORD dst_unused:UNUSED_PAD src0_sel:DWORD src1_sel:WORD_1
	v_cndmask_b32_e32 v72, v74, v72, vcc_lo
	v_and_b32_e32 v73, 3, v73
	v_lshl_add_u32 v72, v72, 23, 0x37800000
	v_cndmask_b32_e32 v63, v63, v73, vcc_lo
	v_and_b32_e32 v73, 0x80000000, v75
	v_lshlrev_b32_e32 v63, 21, v63
	v_or3_b32 v63, v73, v72, v63
.LBB4_1217:                             ;   in Loop: Header=BB4_130 Depth=2
	s_or_b32 exec_lo, exec_lo, s13
	v_and_b32_sdwa v73, v13, v115 dst_sel:DWORD dst_unused:UNUSED_PAD src0_sel:WORD_1 src1_sel:DWORD
	s_mov_b32 s13, 0
	s_mov_b32 s29, exec_lo
	v_cmpx_lt_i16_e32 0x7f, v73
	s_xor_b32 s29, exec_lo, s29
	s_cbranch_execz .LBB4_1522
; %bb.1218:                             ;   in Loop: Header=BB4_130 Depth=2
	s_mov_b32 s13, -1
	s_mov_b32 s40, exec_lo
	v_cmpx_eq_u16_e32 0x80, v73
; %bb.1219:                             ;   in Loop: Header=BB4_130 Depth=2
	s_xor_b32 s13, exec_lo, -1
; %bb.1220:                             ;   in Loop: Header=BB4_130 Depth=2
	s_or_b32 exec_lo, exec_lo, s40
	s_and_b32 s13, s13, exec_lo
                                        ; implicit-def: $vgpr73
	s_or_saveexec_b32 s29, s29
	v_mov_b32_e32 v72, 0x7f800001
	s_xor_b32 exec_lo, exec_lo, s29
	s_cbranch_execnz .LBB4_1523
.LBB4_1221:                             ;   in Loop: Header=BB4_130 Depth=2
	s_or_b32 exec_lo, exec_lo, s29
	s_and_saveexec_b32 s29, s13
	s_cbranch_execz .LBB4_1223
.LBB4_1222:                             ;   in Loop: Header=BB4_130 Depth=2
	v_bfe_u32 v72, v13, 16, 2
	v_bfe_u32 v75, v13, 18, 5
	v_lshlrev_b32_sdwa v76, v116, v13 dst_sel:DWORD dst_unused:UNUSED_PAD src0_sel:DWORD src1_sel:WORD_1
	v_ffbh_u32_e32 v73, v72
	v_cmp_eq_u32_e32 vcc_lo, 0, v75
	v_min_u32_e32 v73, 32, v73
	v_subrev_nc_u32_e32 v74, 29, v73
	v_sub_nc_u32_e32 v73, 30, v73
	v_lshlrev_b32_sdwa v74, v74, v13 dst_sel:DWORD dst_unused:UNUSED_PAD src0_sel:DWORD src1_sel:WORD_1
	v_cndmask_b32_e32 v73, v75, v73, vcc_lo
	v_and_b32_e32 v74, 3, v74
	v_lshl_add_u32 v73, v73, 23, 0x37800000
	v_cndmask_b32_e32 v72, v72, v74, vcc_lo
	v_and_b32_e32 v74, 0x80000000, v76
	v_lshlrev_b32_e32 v72, 21, v72
	v_or3_b32 v72, v74, v73, v72
.LBB4_1223:                             ;   in Loop: Header=BB4_130 Depth=2
	s_or_b32 exec_lo, exec_lo, s29
	v_max_f32_e32 v72, v72, v72
	v_max_f32_e32 v63, v63, v63
	s_mov_b32 s29, 0
	v_max_f32_e32 v63, v63, v72
.LBB4_1224:                             ;   in Loop: Header=BB4_130 Depth=2
	s_and_b32 vcc_lo, exec_lo, s29
	s_cbranch_vccz .LBB4_1238
; %bb.1225:                             ;   in Loop: Header=BB4_130 Depth=2
	s_mov_b32 s13, 0
	s_mov_b32 s29, exec_lo
	v_cmpx_lt_i16_e32 0x7f, v62
	s_xor_b32 s29, exec_lo, s29
	s_cbranch_execz .LBB4_1524
; %bb.1226:                             ;   in Loop: Header=BB4_130 Depth=2
	s_mov_b32 s13, -1
	s_mov_b32 s40, exec_lo
	v_cmpx_eq_u16_e32 0x80, v62
; %bb.1227:                             ;   in Loop: Header=BB4_130 Depth=2
	s_xor_b32 s13, exec_lo, -1
; %bb.1228:                             ;   in Loop: Header=BB4_130 Depth=2
	s_or_b32 exec_lo, exec_lo, s40
	s_and_b32 s13, s13, exec_lo
                                        ; implicit-def: $vgpr62
	s_or_saveexec_b32 s29, s29
	v_mov_b32_e32 v63, 0x7f800001
	s_xor_b32 exec_lo, exec_lo, s29
	s_cbranch_execnz .LBB4_1525
.LBB4_1229:                             ;   in Loop: Header=BB4_130 Depth=2
	s_or_b32 exec_lo, exec_lo, s29
	s_and_saveexec_b32 s29, s13
	s_cbranch_execz .LBB4_1231
.LBB4_1230:                             ;   in Loop: Header=BB4_130 Depth=2
	v_bfe_u32 v62, v17, 16, 2
	v_bfe_u32 v73, v17, 18, 5
	v_lshlrev_b32_sdwa v74, v116, v17 dst_sel:DWORD dst_unused:UNUSED_PAD src0_sel:DWORD src1_sel:WORD_1
	v_ffbh_u32_e32 v63, v62
	v_cmp_eq_u32_e32 vcc_lo, 0, v73
	v_min_u32_e32 v63, 32, v63
	v_subrev_nc_u32_e32 v72, 29, v63
	v_sub_nc_u32_e32 v63, 30, v63
	v_lshlrev_b32_sdwa v72, v72, v17 dst_sel:DWORD dst_unused:UNUSED_PAD src0_sel:DWORD src1_sel:WORD_1
	v_cndmask_b32_e32 v63, v73, v63, vcc_lo
	v_and_b32_e32 v72, 3, v72
	v_lshl_add_u32 v63, v63, 23, 0x37800000
	v_cndmask_b32_e32 v62, v62, v72, vcc_lo
	v_and_b32_e32 v72, 0x80000000, v74
	v_lshlrev_b32_e32 v62, 21, v62
	v_or3_b32 v63, v72, v63, v62
.LBB4_1231:                             ;   in Loop: Header=BB4_130 Depth=2
	s_or_b32 exec_lo, exec_lo, s29
	v_and_b32_sdwa v72, v13, v115 dst_sel:DWORD dst_unused:UNUSED_PAD src0_sel:WORD_1 src1_sel:DWORD
	s_mov_b32 s13, 0
	s_mov_b32 s29, exec_lo
	v_cmpx_lt_i16_e32 0x7f, v72
	s_xor_b32 s29, exec_lo, s29
	s_cbranch_execz .LBB4_1526
; %bb.1232:                             ;   in Loop: Header=BB4_130 Depth=2
	s_mov_b32 s13, -1
	s_mov_b32 s40, exec_lo
	v_cmpx_eq_u16_e32 0x80, v72
; %bb.1233:                             ;   in Loop: Header=BB4_130 Depth=2
	s_xor_b32 s13, exec_lo, -1
; %bb.1234:                             ;   in Loop: Header=BB4_130 Depth=2
	s_or_b32 exec_lo, exec_lo, s40
	s_and_b32 s13, s13, exec_lo
                                        ; implicit-def: $vgpr72
	s_or_saveexec_b32 s29, s29
	v_mov_b32_e32 v62, 0x7f800001
	s_xor_b32 exec_lo, exec_lo, s29
	s_cbranch_execnz .LBB4_1527
.LBB4_1235:                             ;   in Loop: Header=BB4_130 Depth=2
	s_or_b32 exec_lo, exec_lo, s29
	s_and_saveexec_b32 s29, s13
	s_cbranch_execz .LBB4_1237
.LBB4_1236:                             ;   in Loop: Header=BB4_130 Depth=2
	v_bfe_u32 v62, v13, 16, 2
	v_bfe_u32 v74, v13, 18, 5
	v_lshlrev_b32_sdwa v75, v116, v13 dst_sel:DWORD dst_unused:UNUSED_PAD src0_sel:DWORD src1_sel:WORD_1
	v_ffbh_u32_e32 v72, v62
	v_cmp_eq_u32_e32 vcc_lo, 0, v74
	v_min_u32_e32 v72, 32, v72
	v_subrev_nc_u32_e32 v73, 29, v72
	v_sub_nc_u32_e32 v72, 30, v72
	v_lshlrev_b32_sdwa v73, v73, v13 dst_sel:DWORD dst_unused:UNUSED_PAD src0_sel:DWORD src1_sel:WORD_1
	v_cndmask_b32_e32 v72, v74, v72, vcc_lo
	v_and_b32_e32 v73, 3, v73
	v_lshl_add_u32 v72, v72, 23, 0x37800000
	v_cndmask_b32_e32 v62, v62, v73, vcc_lo
	v_and_b32_e32 v73, 0x80000000, v75
	v_lshlrev_b32_e32 v62, 21, v62
	v_or3_b32 v62, v73, v72, v62
.LBB4_1237:                             ;   in Loop: Header=BB4_130 Depth=2
	s_or_b32 exec_lo, exec_lo, s29
	v_max_f32_e32 v62, v62, v62
	v_max_f32_e32 v63, v63, v63
	v_min_f32_e32 v63, v63, v62
.LBB4_1238:                             ;   in Loop: Header=BB4_130 Depth=2
	v_and_b32_e32 v62, 0x7f800000, v63
	v_cmp_ne_u32_e32 vcc_lo, 0x7f800000, v62
	v_mov_b32_e32 v62, 0x80
	s_and_saveexec_b32 s29, vcc_lo
	s_cbranch_execz .LBB4_1246
; %bb.1239:                             ;   in Loop: Header=BB4_130 Depth=2
	v_mov_b32_e32 v62, 0
	s_mov_b32 s40, exec_lo
	v_cmpx_ne_u32_e32 0, v63
	s_cbranch_execz .LBB4_1245
; %bb.1240:                             ;   in Loop: Header=BB4_130 Depth=2
	v_bfe_u32 v62, v63, 23, 8
	v_and_b32_e32 v72, 0x7fffff, v63
	v_sub_nc_u32_e32 v73, 0x70, v62
	v_cmp_gt_u32_e32 vcc_lo, 0x71, v62
	v_or_b32_e32 v74, 0x800000, v72
	v_cndmask_b32_e32 v73, 0, v73, vcc_lo
	v_cmp_eq_u32_e32 vcc_lo, 0, v62
	v_add_nc_u32_e32 v62, 0xffffff91, v62
	v_cndmask_b32_e64 v73, v73, 0x6f, vcc_lo
	v_cndmask_b32_e32 v72, v74, v72, vcc_lo
	v_cndmask_b32_e64 v62, v62, 0xffffff92, vcc_lo
	v_lshl_add_u32 v74, 0x200000, v73, -1
	v_lshrrev_b32_e32 v75, v73, v72
	v_lshlrev_b32_e64 v77, v73, 0x100000
	v_add_nc_u32_e32 v73, v73, v62
	v_and_b32_e32 v72, v74, v72
	v_bfe_u32 v76, v75, 21, 1
	v_cmp_eq_u32_e64 s13, v72, v77
	v_add_nc_u32_e32 v74, -1, v76
	v_cndmask_b32_e64 v72, 0, v74, s13
	v_lshrrev_b32_e32 v74, 23, v75
	s_mov_b32 s13, exec_lo
	v_add_nc_u32_e32 v72, v72, v75
	v_xor_b32_e32 v74, 1, v74
	v_and_b32_e32 v62, 0x1fffff, v72
	v_add_nc_u32_e32 v72, v62, v75
                                        ; implicit-def: $vgpr62
	v_cmpx_ne_u32_e64 v73, v74
	s_xor_b32 s13, exec_lo, s13
; %bb.1241:                             ;   in Loop: Header=BB4_130 Depth=2
	v_cmp_lt_u32_e32 vcc_lo, 0xffffff, v72
	v_sub_nc_u32_e32 v62, v73, v74
	v_cndmask_b32_e64 v73, 0, 1, vcc_lo
	v_add_co_ci_u32_e64 v62, null, 0, v62, vcc_lo
	v_lshrrev_b32_e32 v72, v73, v72
; %bb.1242:                             ;   in Loop: Header=BB4_130 Depth=2
	s_andn2_saveexec_b32 s13, s13
; %bb.1243:                             ;   in Loop: Header=BB4_130 Depth=2
	v_bfe_u32 v62, v72, 23, 1
; %bb.1244:                             ;   in Loop: Header=BB4_130 Depth=2
	s_or_b32 exec_lo, exec_lo, s13
	v_lshrrev_b32_e32 v72, 21, v72
	v_min_i32_e32 v73, 31, v62
	v_cmp_gt_i32_e32 vcc_lo, 32, v62
	v_and_b32_sdwa v63, v63, v113 dst_sel:DWORD dst_unused:UNUSED_PAD src0_sel:BYTE_3 src1_sel:DWORD
	v_lshlrev_b32_e32 v73, 2, v73
	v_cndmask_b32_e32 v72, 3, v72, vcc_lo
	v_and_b32_e32 v73, 0xfc, v73
	v_and_b32_e32 v74, 3, v72
	v_or_b32_e32 v62, v62, v72
	v_or3_b32 v63, v73, v63, v74
	v_cmp_ne_u32_e32 vcc_lo, 0, v62
	v_cndmask_b32_e32 v62, 0, v63, vcc_lo
.LBB4_1245:                             ;   in Loop: Header=BB4_130 Depth=2
	s_or_b32 exec_lo, exec_lo, s40
.LBB4_1246:                             ;   in Loop: Header=BB4_130 Depth=2
	s_or_b32 exec_lo, exec_lo, s29
	v_cmp_gt_i16_sdwa s29, v17, v112 src0_sel:BYTE_3 src1_sel:DWORD
	s_andn2_b32 vcc_lo, exec_lo, s28
	s_mov_b32 s13, -1
                                        ; implicit-def: $vgpr63
	s_cbranch_vccnz .LBB4_1260
; %bb.1247:                             ;   in Loop: Header=BB4_130 Depth=2
	s_mov_b32 s13, 0
	s_and_saveexec_b32 s40, s29
	s_xor_b32 s29, exec_lo, s40
	s_cbranch_execz .LBB4_1528
; %bb.1248:                             ;   in Loop: Header=BB4_130 Depth=2
	v_cmp_eq_u16_sdwa s41, v17, v113 src0_sel:BYTE_3 src1_sel:DWORD
	s_mov_b32 s13, -1
	s_and_saveexec_b32 s40, s41
; %bb.1249:                             ;   in Loop: Header=BB4_130 Depth=2
	s_xor_b32 s13, exec_lo, -1
; %bb.1250:                             ;   in Loop: Header=BB4_130 Depth=2
	s_or_b32 exec_lo, exec_lo, s40
	s_and_b32 s13, s13, exec_lo
	s_or_saveexec_b32 s29, s29
	v_mov_b32_e32 v63, 0x7f800001
	s_xor_b32 exec_lo, exec_lo, s29
	s_cbranch_execnz .LBB4_1529
.LBB4_1251:                             ;   in Loop: Header=BB4_130 Depth=2
	s_or_b32 exec_lo, exec_lo, s29
	s_and_saveexec_b32 s29, s13
	s_cbranch_execz .LBB4_1253
.LBB4_1252:                             ;   in Loop: Header=BB4_130 Depth=2
	v_bfe_u32 v63, v17, 24, 2
	v_bfe_u32 v74, v17, 26, 5
	v_ffbh_u32_e32 v72, v63
	v_cmp_eq_u32_e32 vcc_lo, 0, v74
	v_min_u32_e32 v72, 32, v72
	v_subrev_nc_u32_e32 v73, 29, v72
	v_sub_nc_u32_e32 v72, 30, v72
	v_lshlrev_b32_sdwa v73, v73, v17 dst_sel:DWORD dst_unused:UNUSED_PAD src0_sel:DWORD src1_sel:BYTE_3
	v_cndmask_b32_e32 v72, v74, v72, vcc_lo
	v_and_b32_e32 v73, 3, v73
	v_lshl_add_u32 v72, v72, 23, 0x37800000
	v_cndmask_b32_e32 v63, v63, v73, vcc_lo
	v_and_b32_e32 v73, 0x80000000, v17
	v_lshlrev_b32_e32 v63, 21, v63
	v_or3_b32 v63, v73, v72, v63
.LBB4_1253:                             ;   in Loop: Header=BB4_130 Depth=2
	s_or_b32 exec_lo, exec_lo, s29
	v_cmp_gt_i16_sdwa s29, v13, v112 src0_sel:BYTE_3 src1_sel:DWORD
	s_mov_b32 s13, 0
	s_and_saveexec_b32 s40, s29
	s_xor_b32 s29, exec_lo, s40
	s_cbranch_execz .LBB4_1530
; %bb.1254:                             ;   in Loop: Header=BB4_130 Depth=2
	v_cmp_eq_u16_sdwa s41, v13, v113 src0_sel:BYTE_3 src1_sel:DWORD
	s_mov_b32 s13, -1
	s_and_saveexec_b32 s40, s41
; %bb.1255:                             ;   in Loop: Header=BB4_130 Depth=2
	s_xor_b32 s13, exec_lo, -1
; %bb.1256:                             ;   in Loop: Header=BB4_130 Depth=2
	s_or_b32 exec_lo, exec_lo, s40
	s_and_b32 s13, s13, exec_lo
	s_or_saveexec_b32 s29, s29
	v_mov_b32_e32 v72, 0x7f800001
	s_xor_b32 exec_lo, exec_lo, s29
	s_cbranch_execnz .LBB4_1531
.LBB4_1257:                             ;   in Loop: Header=BB4_130 Depth=2
	s_or_b32 exec_lo, exec_lo, s29
	s_and_saveexec_b32 s29, s13
	s_cbranch_execz .LBB4_1259
.LBB4_1258:                             ;   in Loop: Header=BB4_130 Depth=2
	v_bfe_u32 v72, v13, 24, 2
	v_bfe_u32 v75, v13, 26, 5
	v_ffbh_u32_e32 v73, v72
	v_cmp_eq_u32_e32 vcc_lo, 0, v75
	v_min_u32_e32 v73, 32, v73
	v_subrev_nc_u32_e32 v74, 29, v73
	v_sub_nc_u32_e32 v73, 30, v73
	v_lshlrev_b32_sdwa v74, v74, v13 dst_sel:DWORD dst_unused:UNUSED_PAD src0_sel:DWORD src1_sel:BYTE_3
	v_cndmask_b32_e32 v73, v75, v73, vcc_lo
	v_and_b32_e32 v74, 3, v74
	v_lshl_add_u32 v73, v73, 23, 0x37800000
	v_cndmask_b32_e32 v72, v72, v74, vcc_lo
	v_and_b32_e32 v74, 0x80000000, v13
	v_lshlrev_b32_e32 v72, 21, v72
	v_or3_b32 v72, v74, v73, v72
.LBB4_1259:                             ;   in Loop: Header=BB4_130 Depth=2
	s_or_b32 exec_lo, exec_lo, s29
	v_max_f32_e32 v72, v72, v72
	v_max_f32_e32 v63, v63, v63
	s_mov_b32 s13, 0
	v_max_f32_e32 v63, v63, v72
.LBB4_1260:                             ;   in Loop: Header=BB4_130 Depth=2
	s_and_b32 vcc_lo, exec_lo, s13
	s_cbranch_vccz .LBB4_1274
; %bb.1261:                             ;   in Loop: Header=BB4_130 Depth=2
	v_cmp_gt_i16_sdwa s29, v17, v112 src0_sel:BYTE_3 src1_sel:DWORD
	s_mov_b32 s13, 0
	s_and_saveexec_b32 s40, s29
	s_xor_b32 s29, exec_lo, s40
	s_cbranch_execz .LBB4_1532
; %bb.1262:                             ;   in Loop: Header=BB4_130 Depth=2
	v_cmp_eq_u16_sdwa s41, v17, v113 src0_sel:BYTE_3 src1_sel:DWORD
	s_mov_b32 s13, -1
	s_and_saveexec_b32 s40, s41
; %bb.1263:                             ;   in Loop: Header=BB4_130 Depth=2
	s_xor_b32 s13, exec_lo, -1
; %bb.1264:                             ;   in Loop: Header=BB4_130 Depth=2
	s_or_b32 exec_lo, exec_lo, s40
	s_and_b32 s13, s13, exec_lo
	s_or_saveexec_b32 s29, s29
	v_mov_b32_e32 v63, 0x7f800001
	s_xor_b32 exec_lo, exec_lo, s29
	s_cbranch_execnz .LBB4_1533
.LBB4_1265:                             ;   in Loop: Header=BB4_130 Depth=2
	s_or_b32 exec_lo, exec_lo, s29
	s_and_saveexec_b32 s29, s13
	s_cbranch_execz .LBB4_1267
.LBB4_1266:                             ;   in Loop: Header=BB4_130 Depth=2
	v_bfe_u32 v63, v17, 24, 2
	v_bfe_u32 v74, v17, 26, 5
	v_ffbh_u32_e32 v72, v63
	v_cmp_eq_u32_e32 vcc_lo, 0, v74
	v_min_u32_e32 v72, 32, v72
	v_subrev_nc_u32_e32 v73, 29, v72
	v_sub_nc_u32_e32 v72, 30, v72
	v_lshlrev_b32_sdwa v73, v73, v17 dst_sel:DWORD dst_unused:UNUSED_PAD src0_sel:DWORD src1_sel:BYTE_3
	v_cndmask_b32_e32 v72, v74, v72, vcc_lo
	v_and_b32_e32 v17, 0x80000000, v17
	v_and_b32_e32 v73, 3, v73
	v_lshl_add_u32 v72, v72, 23, 0x37800000
	v_cndmask_b32_e32 v63, v63, v73, vcc_lo
	v_lshlrev_b32_e32 v63, 21, v63
	v_or3_b32 v63, v17, v72, v63
.LBB4_1267:                             ;   in Loop: Header=BB4_130 Depth=2
	s_or_b32 exec_lo, exec_lo, s29
	v_cmp_gt_i16_sdwa s29, v13, v112 src0_sel:BYTE_3 src1_sel:DWORD
	s_mov_b32 s13, 0
	s_and_saveexec_b32 s40, s29
	s_xor_b32 s29, exec_lo, s40
	s_cbranch_execz .LBB4_1534
; %bb.1268:                             ;   in Loop: Header=BB4_130 Depth=2
	v_cmp_eq_u16_sdwa s41, v13, v113 src0_sel:BYTE_3 src1_sel:DWORD
	s_mov_b32 s13, -1
	s_and_saveexec_b32 s40, s41
; %bb.1269:                             ;   in Loop: Header=BB4_130 Depth=2
	s_xor_b32 s13, exec_lo, -1
; %bb.1270:                             ;   in Loop: Header=BB4_130 Depth=2
	s_or_b32 exec_lo, exec_lo, s40
	s_and_b32 s13, s13, exec_lo
	s_or_saveexec_b32 s29, s29
	v_mov_b32_e32 v17, 0x7f800001
	s_xor_b32 exec_lo, exec_lo, s29
	s_cbranch_execnz .LBB4_1535
.LBB4_1271:                             ;   in Loop: Header=BB4_130 Depth=2
	s_or_b32 exec_lo, exec_lo, s29
	s_and_saveexec_b32 s29, s13
	s_cbranch_execz .LBB4_1273
.LBB4_1272:                             ;   in Loop: Header=BB4_130 Depth=2
	v_bfe_u32 v17, v13, 24, 2
	v_bfe_u32 v74, v13, 26, 5
	v_ffbh_u32_e32 v72, v17
	v_cmp_eq_u32_e32 vcc_lo, 0, v74
	v_min_u32_e32 v72, 32, v72
	v_subrev_nc_u32_e32 v73, 29, v72
	v_sub_nc_u32_e32 v72, 30, v72
	v_lshlrev_b32_sdwa v73, v73, v13 dst_sel:DWORD dst_unused:UNUSED_PAD src0_sel:DWORD src1_sel:BYTE_3
	v_cndmask_b32_e32 v72, v74, v72, vcc_lo
	v_and_b32_e32 v13, 0x80000000, v13
	v_and_b32_e32 v73, 3, v73
	v_lshl_add_u32 v72, v72, 23, 0x37800000
	v_cndmask_b32_e32 v17, v17, v73, vcc_lo
	v_lshlrev_b32_e32 v17, 21, v17
	v_or3_b32 v17, v13, v72, v17
.LBB4_1273:                             ;   in Loop: Header=BB4_130 Depth=2
	s_or_b32 exec_lo, exec_lo, s29
	v_max_f32_e32 v13, v17, v17
	v_max_f32_e32 v17, v63, v63
	v_min_f32_e32 v63, v17, v13
.LBB4_1274:                             ;   in Loop: Header=BB4_130 Depth=2
	v_and_b32_e32 v13, 0x7f800000, v63
	v_cmp_ne_u32_e32 vcc_lo, 0x7f800000, v13
	v_mov_b32_e32 v13, 0x8000
	s_and_saveexec_b32 s29, vcc_lo
	s_cbranch_execz .LBB4_129
; %bb.1275:                             ;   in Loop: Header=BB4_130 Depth=2
	v_mov_b32_e32 v13, 0
	s_mov_b32 s40, exec_lo
	v_cmpx_ne_u32_e32 0, v63
	s_cbranch_execz .LBB4_128
; %bb.1276:                             ;   in Loop: Header=BB4_130 Depth=2
	v_bfe_u32 v13, v63, 23, 8
	v_and_b32_e32 v17, 0x7fffff, v63
	v_sub_nc_u32_e32 v72, 0x70, v13
	v_cmp_gt_u32_e32 vcc_lo, 0x71, v13
	v_or_b32_e32 v73, 0x800000, v17
	v_cndmask_b32_e32 v72, 0, v72, vcc_lo
	v_cmp_eq_u32_e32 vcc_lo, 0, v13
	v_add_nc_u32_e32 v13, 0xffffff91, v13
	v_cndmask_b32_e64 v72, v72, 0x6f, vcc_lo
	v_cndmask_b32_e32 v17, v73, v17, vcc_lo
	v_cndmask_b32_e64 v13, v13, 0xffffff92, vcc_lo
	v_lshl_add_u32 v73, 0x200000, v72, -1
	v_lshrrev_b32_e32 v74, v72, v17
	v_lshlrev_b32_e64 v76, v72, 0x100000
	v_add_nc_u32_e32 v72, v72, v13
	v_and_b32_e32 v17, v73, v17
	v_bfe_u32 v75, v74, 21, 1
	v_cmp_eq_u32_e64 s13, v17, v76
	v_add_nc_u32_e32 v73, -1, v75
	v_cndmask_b32_e64 v17, 0, v73, s13
	v_lshrrev_b32_e32 v73, 23, v74
	s_mov_b32 s13, exec_lo
	v_add_nc_u32_e32 v17, v17, v74
	v_xor_b32_e32 v73, 1, v73
	v_and_b32_e32 v13, 0x1fffff, v17
	v_add_nc_u32_e32 v17, v13, v74
                                        ; implicit-def: $vgpr13
	v_cmpx_ne_u32_e64 v72, v73
	s_xor_b32 s13, exec_lo, s13
; %bb.1277:                             ;   in Loop: Header=BB4_130 Depth=2
	v_cmp_lt_u32_e32 vcc_lo, 0xffffff, v17
	v_sub_nc_u32_e32 v13, v72, v73
	v_cndmask_b32_e64 v72, 0, 1, vcc_lo
	v_add_co_ci_u32_e64 v13, null, 0, v13, vcc_lo
	v_lshrrev_b32_e32 v17, v72, v17
; %bb.1278:                             ;   in Loop: Header=BB4_130 Depth=2
	s_andn2_saveexec_b32 s13, s13
	s_cbranch_execz .LBB4_127
; %bb.1279:                             ;   in Loop: Header=BB4_130 Depth=2
	v_bfe_u32 v13, v17, 23, 1
	s_branch .LBB4_127
.LBB4_1280:                             ;   in Loop: Header=BB4_130 Depth=2
	s_or_saveexec_b32 s29, s29
	v_mov_b32_e32 v118, 0x7f800001
	s_xor_b32 exec_lo, exec_lo, s29
	s_cbranch_execz .LBB4_135
.LBB4_1281:                             ;   in Loop: Header=BB4_130 Depth=2
	v_cmp_ne_u16_sdwa s40, v22, v52 src0_sel:BYTE_0 src1_sel:DWORD
	v_mov_b32_e32 v118, 0
	s_andn2_b32 s13, s13, exec_lo
	s_and_b32 s40, s40, exec_lo
	s_or_b32 s13, s13, s40
	s_or_b32 exec_lo, exec_lo, s29
	s_and_saveexec_b32 s29, s13
	s_cbranch_execnz .LBB4_136
	s_branch .LBB4_137
.LBB4_1282:                             ;   in Loop: Header=BB4_130 Depth=2
	s_or_saveexec_b32 s29, s29
	v_mov_b32_e32 v119, 0x7f800001
	s_xor_b32 exec_lo, exec_lo, s29
	s_cbranch_execz .LBB4_141
.LBB4_1283:                             ;   in Loop: Header=BB4_130 Depth=2
	v_cmp_ne_u16_sdwa s40, v18, v52 src0_sel:BYTE_0 src1_sel:DWORD
	v_mov_b32_e32 v119, 0
	s_andn2_b32 s13, s13, exec_lo
	s_and_b32 s40, s40, exec_lo
	s_or_b32 s13, s13, s40
	s_or_b32 exec_lo, exec_lo, s29
	s_and_saveexec_b32 s29, s13
	s_cbranch_execnz .LBB4_142
	s_branch .LBB4_143
.LBB4_1284:                             ;   in Loop: Header=BB4_130 Depth=2
	s_or_saveexec_b32 s29, s29
	v_mov_b32_e32 v118, 0x7f800001
	s_xor_b32 exec_lo, exec_lo, s29
	s_cbranch_execz .LBB4_149
.LBB4_1285:                             ;   in Loop: Header=BB4_130 Depth=2
	v_cmp_ne_u16_sdwa s40, v22, v52 src0_sel:BYTE_0 src1_sel:DWORD
	v_mov_b32_e32 v118, 0
	s_andn2_b32 s13, s13, exec_lo
	s_and_b32 s40, s40, exec_lo
	s_or_b32 s13, s13, s40
	s_or_b32 exec_lo, exec_lo, s29
	s_and_saveexec_b32 s29, s13
	s_cbranch_execnz .LBB4_150
	s_branch .LBB4_151
.LBB4_1286:                             ;   in Loop: Header=BB4_130 Depth=2
	s_or_saveexec_b32 s29, s29
	v_mov_b32_e32 v119, 0x7f800001
	s_xor_b32 exec_lo, exec_lo, s29
	s_cbranch_execz .LBB4_155
.LBB4_1287:                             ;   in Loop: Header=BB4_130 Depth=2
	v_cmp_ne_u16_sdwa s40, v18, v52 src0_sel:BYTE_0 src1_sel:DWORD
	v_mov_b32_e32 v119, 0
	s_andn2_b32 s13, s13, exec_lo
	s_and_b32 s40, s40, exec_lo
	s_or_b32 s13, s13, s40
	s_or_b32 exec_lo, exec_lo, s29
	s_and_saveexec_b32 s29, s13
	s_cbranch_execnz .LBB4_156
	s_branch .LBB4_157
.LBB4_1288:                             ;   in Loop: Header=BB4_130 Depth=2
	s_or_saveexec_b32 s29, s29
	v_mov_b32_e32 v119, 0x7f800001
	s_xor_b32 exec_lo, exec_lo, s29
	s_cbranch_execz .LBB4_171
.LBB4_1289:                             ;   in Loop: Header=BB4_130 Depth=2
	v_cmp_ne_u16_sdwa s40, v22, v52 src0_sel:BYTE_1 src1_sel:DWORD
	v_mov_b32_e32 v119, 0
	s_andn2_b32 s13, s13, exec_lo
	s_and_b32 s40, s40, exec_lo
	s_or_b32 s13, s13, s40
	s_or_b32 exec_lo, exec_lo, s29
	s_and_saveexec_b32 s29, s13
	s_cbranch_execnz .LBB4_172
	s_branch .LBB4_173
.LBB4_1290:                             ;   in Loop: Header=BB4_130 Depth=2
	s_or_saveexec_b32 s29, s29
	v_mov_b32_e32 v40, 0x7f800001
	s_xor_b32 exec_lo, exec_lo, s29
	s_cbranch_execz .LBB4_177
.LBB4_1291:                             ;   in Loop: Header=BB4_130 Depth=2
	v_cmp_ne_u16_sdwa s40, v18, v52 src0_sel:BYTE_1 src1_sel:DWORD
	v_mov_b32_e32 v40, 0
	s_andn2_b32 s13, s13, exec_lo
	s_and_b32 s40, s40, exec_lo
	s_or_b32 s13, s13, s40
	s_or_b32 exec_lo, exec_lo, s29
	s_and_saveexec_b32 s29, s13
	s_cbranch_execnz .LBB4_178
	s_branch .LBB4_179
.LBB4_1292:                             ;   in Loop: Header=BB4_130 Depth=2
	s_or_saveexec_b32 s29, s29
	v_mov_b32_e32 v119, 0x7f800001
	s_xor_b32 exec_lo, exec_lo, s29
	s_cbranch_execz .LBB4_185
.LBB4_1293:                             ;   in Loop: Header=BB4_130 Depth=2
	v_cmp_ne_u16_sdwa s40, v22, v52 src0_sel:BYTE_1 src1_sel:DWORD
	v_mov_b32_e32 v119, 0
	s_andn2_b32 s13, s13, exec_lo
	s_and_b32 s40, s40, exec_lo
	s_or_b32 s13, s13, s40
	s_or_b32 exec_lo, exec_lo, s29
	s_and_saveexec_b32 s29, s13
	s_cbranch_execnz .LBB4_186
	s_branch .LBB4_187
.LBB4_1294:                             ;   in Loop: Header=BB4_130 Depth=2
	s_or_saveexec_b32 s29, s29
	v_mov_b32_e32 v40, 0x7f800001
	s_xor_b32 exec_lo, exec_lo, s29
	s_cbranch_execz .LBB4_191
.LBB4_1295:                             ;   in Loop: Header=BB4_130 Depth=2
	v_cmp_ne_u16_sdwa s40, v18, v52 src0_sel:BYTE_1 src1_sel:DWORD
	v_mov_b32_e32 v40, 0
	s_andn2_b32 s13, s13, exec_lo
	s_and_b32 s40, s40, exec_lo
	s_or_b32 s13, s13, s40
	s_or_b32 exec_lo, exec_lo, s29
	s_and_saveexec_b32 s29, s13
	s_cbranch_execnz .LBB4_192
	s_branch .LBB4_193
.LBB4_1296:                             ;   in Loop: Header=BB4_130 Depth=2
	s_or_saveexec_b32 s13, s13
	v_mov_b32_e32 v41, 0x7f800001
	s_xor_b32 exec_lo, exec_lo, s13
	s_cbranch_execz .LBB4_207
.LBB4_1297:                             ;   in Loop: Header=BB4_130 Depth=2
	v_cmp_ne_u16_e32 vcc_lo, 0, v40
	v_mov_b32_e32 v41, 0
	s_andn2_b32 s29, s29, exec_lo
	s_and_b32 s40, vcc_lo, exec_lo
	s_or_b32 s29, s29, s40
	s_or_b32 exec_lo, exec_lo, s13
	s_and_saveexec_b32 s13, s29
	s_cbranch_execnz .LBB4_208
	s_branch .LBB4_209
.LBB4_1298:                             ;   in Loop: Header=BB4_130 Depth=2
	s_or_saveexec_b32 s29, s29
	v_mov_b32_e32 v42, 0x7f800001
	s_xor_b32 exec_lo, exec_lo, s29
	s_cbranch_execz .LBB4_213
.LBB4_1299:                             ;   in Loop: Header=BB4_130 Depth=2
	v_cmp_ne_u16_e32 vcc_lo, 0, v43
	v_mov_b32_e32 v42, 0
	s_andn2_b32 s13, s13, exec_lo
	s_and_b32 s40, vcc_lo, exec_lo
	s_or_b32 s13, s13, s40
	s_or_b32 exec_lo, exec_lo, s29
	s_and_saveexec_b32 s29, s13
	s_cbranch_execnz .LBB4_214
	s_branch .LBB4_215
.LBB4_1300:                             ;   in Loop: Header=BB4_130 Depth=2
	s_or_saveexec_b32 s29, s29
	v_mov_b32_e32 v41, 0x7f800001
	s_xor_b32 exec_lo, exec_lo, s29
	s_cbranch_execz .LBB4_221
.LBB4_1301:                             ;   in Loop: Header=BB4_130 Depth=2
	v_cmp_ne_u16_e32 vcc_lo, 0, v40
	v_mov_b32_e32 v41, 0
	s_andn2_b32 s13, s13, exec_lo
	s_and_b32 s40, vcc_lo, exec_lo
	s_or_b32 s13, s13, s40
	s_or_b32 exec_lo, exec_lo, s29
	s_and_saveexec_b32 s29, s13
	s_cbranch_execnz .LBB4_222
	s_branch .LBB4_223
.LBB4_1302:                             ;   in Loop: Header=BB4_130 Depth=2
	s_or_saveexec_b32 s29, s29
	v_mov_b32_e32 v40, 0x7f800001
	s_xor_b32 exec_lo, exec_lo, s29
	s_cbranch_execz .LBB4_227
.LBB4_1303:                             ;   in Loop: Header=BB4_130 Depth=2
	v_cmp_ne_u16_e32 vcc_lo, 0, v42
	v_mov_b32_e32 v40, 0
	s_andn2_b32 s13, s13, exec_lo
	s_and_b32 s40, vcc_lo, exec_lo
	s_or_b32 s13, s13, s40
	s_or_b32 exec_lo, exec_lo, s29
	s_and_saveexec_b32 s29, s13
	s_cbranch_execnz .LBB4_228
	s_branch .LBB4_229
.LBB4_1304:                             ;   in Loop: Header=BB4_130 Depth=2
	s_or_saveexec_b32 s29, s29
	v_mov_b32_e32 v41, 0x7f800001
	s_xor_b32 exec_lo, exec_lo, s29
	s_cbranch_execz .LBB4_243
.LBB4_1305:                             ;   in Loop: Header=BB4_130 Depth=2
	v_cmp_ne_u16_sdwa s40, v22, v52 src0_sel:BYTE_3 src1_sel:DWORD
	v_mov_b32_e32 v41, 0
	s_andn2_b32 s13, s13, exec_lo
	s_and_b32 s40, s40, exec_lo
	s_or_b32 s13, s13, s40
	s_or_b32 exec_lo, exec_lo, s29
	s_and_saveexec_b32 s29, s13
	s_cbranch_execnz .LBB4_244
	s_branch .LBB4_245
.LBB4_1306:                             ;   in Loop: Header=BB4_130 Depth=2
	s_or_saveexec_b32 s29, s29
	v_mov_b32_e32 v42, 0x7f800001
	s_xor_b32 exec_lo, exec_lo, s29
	s_cbranch_execz .LBB4_249
.LBB4_1307:                             ;   in Loop: Header=BB4_130 Depth=2
	v_cmp_ne_u16_sdwa s40, v18, v52 src0_sel:BYTE_3 src1_sel:DWORD
	v_mov_b32_e32 v42, 0
	s_andn2_b32 s13, s13, exec_lo
	s_and_b32 s40, s40, exec_lo
	s_or_b32 s13, s13, s40
	s_or_b32 exec_lo, exec_lo, s29
	s_and_saveexec_b32 s29, s13
	s_cbranch_execnz .LBB4_250
	s_branch .LBB4_251
.LBB4_1308:                             ;   in Loop: Header=BB4_130 Depth=2
	s_or_saveexec_b32 s29, s29
	v_mov_b32_e32 v41, 0x7f800001
	s_xor_b32 exec_lo, exec_lo, s29
	s_cbranch_execz .LBB4_257
.LBB4_1309:                             ;   in Loop: Header=BB4_130 Depth=2
	v_cmp_ne_u16_sdwa s40, v22, v52 src0_sel:BYTE_3 src1_sel:DWORD
	v_mov_b32_e32 v41, 0
	s_andn2_b32 s13, s13, exec_lo
	s_and_b32 s40, s40, exec_lo
	s_or_b32 s13, s13, s40
	s_or_b32 exec_lo, exec_lo, s29
	s_and_saveexec_b32 s29, s13
	s_cbranch_execnz .LBB4_258
	s_branch .LBB4_259
.LBB4_1310:                             ;   in Loop: Header=BB4_130 Depth=2
	s_or_saveexec_b32 s29, s29
	v_mov_b32_e32 v22, 0x7f800001
	s_xor_b32 exec_lo, exec_lo, s29
	s_cbranch_execz .LBB4_263
.LBB4_1311:                             ;   in Loop: Header=BB4_130 Depth=2
	v_cmp_ne_u16_sdwa s40, v18, v52 src0_sel:BYTE_3 src1_sel:DWORD
	v_mov_b32_e32 v22, 0
	s_andn2_b32 s13, s13, exec_lo
	s_and_b32 s40, s40, exec_lo
	s_or_b32 s13, s13, s40
	s_or_b32 exec_lo, exec_lo, s29
	s_and_saveexec_b32 s29, s13
	s_cbranch_execnz .LBB4_264
	s_branch .LBB4_265
.LBB4_1312:                             ;   in Loop: Header=BB4_130 Depth=2
	s_or_saveexec_b32 s29, s29
	v_mov_b32_e32 v22, 0x7f800001
	s_xor_b32 exec_lo, exec_lo, s29
	s_cbranch_execz .LBB4_279
.LBB4_1313:                             ;   in Loop: Header=BB4_130 Depth=2
	v_cmp_ne_u16_sdwa s40, v23, v52 src0_sel:BYTE_0 src1_sel:DWORD
	v_mov_b32_e32 v22, 0
	s_andn2_b32 s13, s13, exec_lo
	s_and_b32 s40, s40, exec_lo
	s_or_b32 s13, s13, s40
	s_or_b32 exec_lo, exec_lo, s29
	s_and_saveexec_b32 s29, s13
	s_cbranch_execnz .LBB4_280
	s_branch .LBB4_281
.LBB4_1314:                             ;   in Loop: Header=BB4_130 Depth=2
	s_or_saveexec_b32 s29, s29
	v_mov_b32_e32 v41, 0x7f800001
	s_xor_b32 exec_lo, exec_lo, s29
	s_cbranch_execz .LBB4_285
.LBB4_1315:                             ;   in Loop: Header=BB4_130 Depth=2
	v_cmp_ne_u16_sdwa s40, v19, v52 src0_sel:BYTE_0 src1_sel:DWORD
	v_mov_b32_e32 v41, 0
	s_andn2_b32 s13, s13, exec_lo
	s_and_b32 s40, s40, exec_lo
	s_or_b32 s13, s13, s40
	s_or_b32 exec_lo, exec_lo, s29
	s_and_saveexec_b32 s29, s13
	s_cbranch_execnz .LBB4_286
	s_branch .LBB4_287
.LBB4_1316:                             ;   in Loop: Header=BB4_130 Depth=2
	s_or_saveexec_b32 s29, s29
	v_mov_b32_e32 v22, 0x7f800001
	s_xor_b32 exec_lo, exec_lo, s29
	s_cbranch_execz .LBB4_293
.LBB4_1317:                             ;   in Loop: Header=BB4_130 Depth=2
	v_cmp_ne_u16_sdwa s40, v23, v52 src0_sel:BYTE_0 src1_sel:DWORD
	v_mov_b32_e32 v22, 0
	s_andn2_b32 s13, s13, exec_lo
	s_and_b32 s40, s40, exec_lo
	s_or_b32 s13, s13, s40
	s_or_b32 exec_lo, exec_lo, s29
	s_and_saveexec_b32 s29, s13
	s_cbranch_execnz .LBB4_294
	s_branch .LBB4_295
.LBB4_1318:                             ;   in Loop: Header=BB4_130 Depth=2
	s_or_saveexec_b32 s29, s29
	v_mov_b32_e32 v41, 0x7f800001
	s_xor_b32 exec_lo, exec_lo, s29
	s_cbranch_execz .LBB4_299
.LBB4_1319:                             ;   in Loop: Header=BB4_130 Depth=2
	v_cmp_ne_u16_sdwa s40, v19, v52 src0_sel:BYTE_0 src1_sel:DWORD
	v_mov_b32_e32 v41, 0
	s_andn2_b32 s13, s13, exec_lo
	s_and_b32 s40, s40, exec_lo
	s_or_b32 s13, s13, s40
	s_or_b32 exec_lo, exec_lo, s29
	s_and_saveexec_b32 s29, s13
	s_cbranch_execnz .LBB4_300
	s_branch .LBB4_301
.LBB4_1320:                             ;   in Loop: Header=BB4_130 Depth=2
	s_or_saveexec_b32 s29, s29
	v_mov_b32_e32 v41, 0x7f800001
	s_xor_b32 exec_lo, exec_lo, s29
	s_cbranch_execz .LBB4_315
.LBB4_1321:                             ;   in Loop: Header=BB4_130 Depth=2
	v_cmp_ne_u16_sdwa s40, v23, v52 src0_sel:BYTE_1 src1_sel:DWORD
	v_mov_b32_e32 v41, 0
	s_andn2_b32 s13, s13, exec_lo
	s_and_b32 s40, s40, exec_lo
	s_or_b32 s13, s13, s40
	s_or_b32 exec_lo, exec_lo, s29
	s_and_saveexec_b32 s29, s13
	s_cbranch_execnz .LBB4_316
	s_branch .LBB4_317
.LBB4_1322:                             ;   in Loop: Header=BB4_130 Depth=2
	s_or_saveexec_b32 s29, s29
	v_mov_b32_e32 v42, 0x7f800001
	s_xor_b32 exec_lo, exec_lo, s29
	s_cbranch_execz .LBB4_321
.LBB4_1323:                             ;   in Loop: Header=BB4_130 Depth=2
	v_cmp_ne_u16_sdwa s40, v19, v52 src0_sel:BYTE_1 src1_sel:DWORD
	v_mov_b32_e32 v42, 0
	s_andn2_b32 s13, s13, exec_lo
	s_and_b32 s40, s40, exec_lo
	s_or_b32 s13, s13, s40
	s_or_b32 exec_lo, exec_lo, s29
	s_and_saveexec_b32 s29, s13
	s_cbranch_execnz .LBB4_322
	s_branch .LBB4_323
.LBB4_1324:                             ;   in Loop: Header=BB4_130 Depth=2
	s_or_saveexec_b32 s29, s29
	v_mov_b32_e32 v41, 0x7f800001
	s_xor_b32 exec_lo, exec_lo, s29
	s_cbranch_execz .LBB4_329
.LBB4_1325:                             ;   in Loop: Header=BB4_130 Depth=2
	v_cmp_ne_u16_sdwa s40, v23, v52 src0_sel:BYTE_1 src1_sel:DWORD
	v_mov_b32_e32 v41, 0
	s_andn2_b32 s13, s13, exec_lo
	s_and_b32 s40, s40, exec_lo
	s_or_b32 s13, s13, s40
	s_or_b32 exec_lo, exec_lo, s29
	s_and_saveexec_b32 s29, s13
	s_cbranch_execnz .LBB4_330
	s_branch .LBB4_331
.LBB4_1326:                             ;   in Loop: Header=BB4_130 Depth=2
	s_or_saveexec_b32 s29, s29
	v_mov_b32_e32 v42, 0x7f800001
	s_xor_b32 exec_lo, exec_lo, s29
	s_cbranch_execz .LBB4_335
.LBB4_1327:                             ;   in Loop: Header=BB4_130 Depth=2
	v_cmp_ne_u16_sdwa s40, v19, v52 src0_sel:BYTE_1 src1_sel:DWORD
	v_mov_b32_e32 v42, 0
	s_andn2_b32 s13, s13, exec_lo
	s_and_b32 s40, s40, exec_lo
	s_or_b32 s13, s13, s40
	s_or_b32 exec_lo, exec_lo, s29
	s_and_saveexec_b32 s29, s13
	s_cbranch_execnz .LBB4_336
	s_branch .LBB4_337
.LBB4_1328:                             ;   in Loop: Header=BB4_130 Depth=2
	s_or_saveexec_b32 s13, s13
	v_mov_b32_e32 v43, 0x7f800001
	s_xor_b32 exec_lo, exec_lo, s13
	s_cbranch_execz .LBB4_351
.LBB4_1329:                             ;   in Loop: Header=BB4_130 Depth=2
	v_cmp_ne_u16_e32 vcc_lo, 0, v42
	v_mov_b32_e32 v43, 0
	s_andn2_b32 s29, s29, exec_lo
	s_and_b32 s40, vcc_lo, exec_lo
	s_or_b32 s29, s29, s40
	s_or_b32 exec_lo, exec_lo, s13
	s_and_saveexec_b32 s13, s29
	s_cbranch_execnz .LBB4_352
	s_branch .LBB4_353
.LBB4_1330:                             ;   in Loop: Header=BB4_130 Depth=2
	s_or_saveexec_b32 s29, s29
	v_mov_b32_e32 v44, 0x7f800001
	s_xor_b32 exec_lo, exec_lo, s29
	s_cbranch_execz .LBB4_357
.LBB4_1331:                             ;   in Loop: Header=BB4_130 Depth=2
	v_cmp_ne_u16_e32 vcc_lo, 0, v45
	v_mov_b32_e32 v44, 0
	s_andn2_b32 s13, s13, exec_lo
	s_and_b32 s40, vcc_lo, exec_lo
	s_or_b32 s13, s13, s40
	s_or_b32 exec_lo, exec_lo, s29
	s_and_saveexec_b32 s29, s13
	s_cbranch_execnz .LBB4_358
	s_branch .LBB4_359
.LBB4_1332:                             ;   in Loop: Header=BB4_130 Depth=2
	s_or_saveexec_b32 s29, s29
	v_mov_b32_e32 v43, 0x7f800001
	s_xor_b32 exec_lo, exec_lo, s29
	s_cbranch_execz .LBB4_365
.LBB4_1333:                             ;   in Loop: Header=BB4_130 Depth=2
	v_cmp_ne_u16_e32 vcc_lo, 0, v42
	v_mov_b32_e32 v43, 0
	s_andn2_b32 s13, s13, exec_lo
	s_and_b32 s40, vcc_lo, exec_lo
	s_or_b32 s13, s13, s40
	s_or_b32 exec_lo, exec_lo, s29
	s_and_saveexec_b32 s29, s13
	s_cbranch_execnz .LBB4_366
	s_branch .LBB4_367
.LBB4_1334:                             ;   in Loop: Header=BB4_130 Depth=2
	s_or_saveexec_b32 s29, s29
	v_mov_b32_e32 v42, 0x7f800001
	s_xor_b32 exec_lo, exec_lo, s29
	s_cbranch_execz .LBB4_371
.LBB4_1335:                             ;   in Loop: Header=BB4_130 Depth=2
	v_cmp_ne_u16_e32 vcc_lo, 0, v44
	v_mov_b32_e32 v42, 0
	s_andn2_b32 s13, s13, exec_lo
	s_and_b32 s40, vcc_lo, exec_lo
	s_or_b32 s13, s13, s40
	s_or_b32 exec_lo, exec_lo, s29
	s_and_saveexec_b32 s29, s13
	s_cbranch_execnz .LBB4_372
	s_branch .LBB4_373
.LBB4_1336:                             ;   in Loop: Header=BB4_130 Depth=2
	s_or_saveexec_b32 s29, s29
	v_mov_b32_e32 v43, 0x7f800001
	s_xor_b32 exec_lo, exec_lo, s29
	s_cbranch_execz .LBB4_387
.LBB4_1337:                             ;   in Loop: Header=BB4_130 Depth=2
	v_cmp_ne_u16_sdwa s40, v23, v52 src0_sel:BYTE_3 src1_sel:DWORD
	v_mov_b32_e32 v43, 0
	s_andn2_b32 s13, s13, exec_lo
	s_and_b32 s40, s40, exec_lo
	s_or_b32 s13, s13, s40
	s_or_b32 exec_lo, exec_lo, s29
	s_and_saveexec_b32 s29, s13
	s_cbranch_execnz .LBB4_388
	s_branch .LBB4_389
.LBB4_1338:                             ;   in Loop: Header=BB4_130 Depth=2
	s_or_saveexec_b32 s29, s29
	v_mov_b32_e32 v44, 0x7f800001
	s_xor_b32 exec_lo, exec_lo, s29
	s_cbranch_execz .LBB4_393
.LBB4_1339:                             ;   in Loop: Header=BB4_130 Depth=2
	v_cmp_ne_u16_sdwa s40, v19, v52 src0_sel:BYTE_3 src1_sel:DWORD
	v_mov_b32_e32 v44, 0
	s_andn2_b32 s13, s13, exec_lo
	s_and_b32 s40, s40, exec_lo
	s_or_b32 s13, s13, s40
	s_or_b32 exec_lo, exec_lo, s29
	s_and_saveexec_b32 s29, s13
	s_cbranch_execnz .LBB4_394
	s_branch .LBB4_395
.LBB4_1340:                             ;   in Loop: Header=BB4_130 Depth=2
	s_or_saveexec_b32 s29, s29
	v_mov_b32_e32 v43, 0x7f800001
	s_xor_b32 exec_lo, exec_lo, s29
	s_cbranch_execz .LBB4_401
.LBB4_1341:                             ;   in Loop: Header=BB4_130 Depth=2
	v_cmp_ne_u16_sdwa s40, v23, v52 src0_sel:BYTE_3 src1_sel:DWORD
	v_mov_b32_e32 v43, 0
	s_andn2_b32 s13, s13, exec_lo
	s_and_b32 s40, s40, exec_lo
	s_or_b32 s13, s13, s40
	s_or_b32 exec_lo, exec_lo, s29
	s_and_saveexec_b32 s29, s13
	s_cbranch_execnz .LBB4_402
	s_branch .LBB4_403
.LBB4_1342:                             ;   in Loop: Header=BB4_130 Depth=2
	s_or_saveexec_b32 s29, s29
	v_mov_b32_e32 v23, 0x7f800001
	s_xor_b32 exec_lo, exec_lo, s29
	s_cbranch_execz .LBB4_407
.LBB4_1343:                             ;   in Loop: Header=BB4_130 Depth=2
	v_cmp_ne_u16_sdwa s40, v19, v52 src0_sel:BYTE_3 src1_sel:DWORD
	v_mov_b32_e32 v23, 0
	s_andn2_b32 s13, s13, exec_lo
	s_and_b32 s40, s40, exec_lo
	s_or_b32 s13, s13, s40
	s_or_b32 exec_lo, exec_lo, s29
	s_and_saveexec_b32 s29, s13
	s_cbranch_execnz .LBB4_408
	s_branch .LBB4_409
.LBB4_1344:                             ;   in Loop: Header=BB4_130 Depth=2
	s_or_saveexec_b32 s29, s29
	v_mov_b32_e32 v23, 0x7f800001
	s_xor_b32 exec_lo, exec_lo, s29
	s_cbranch_execz .LBB4_423
.LBB4_1345:                             ;   in Loop: Header=BB4_130 Depth=2
	v_cmp_ne_u16_sdwa s40, v24, v52 src0_sel:BYTE_0 src1_sel:DWORD
	v_mov_b32_e32 v23, 0
	s_andn2_b32 s13, s13, exec_lo
	s_and_b32 s40, s40, exec_lo
	s_or_b32 s13, s13, s40
	s_or_b32 exec_lo, exec_lo, s29
	s_and_saveexec_b32 s29, s13
	s_cbranch_execnz .LBB4_424
	s_branch .LBB4_425
.LBB4_1346:                             ;   in Loop: Header=BB4_130 Depth=2
	s_or_saveexec_b32 s29, s29
	v_mov_b32_e32 v43, 0x7f800001
	s_xor_b32 exec_lo, exec_lo, s29
	s_cbranch_execz .LBB4_429
.LBB4_1347:                             ;   in Loop: Header=BB4_130 Depth=2
	v_cmp_ne_u16_sdwa s40, v20, v52 src0_sel:BYTE_0 src1_sel:DWORD
	v_mov_b32_e32 v43, 0
	s_andn2_b32 s13, s13, exec_lo
	s_and_b32 s40, s40, exec_lo
	s_or_b32 s13, s13, s40
	s_or_b32 exec_lo, exec_lo, s29
	s_and_saveexec_b32 s29, s13
	s_cbranch_execnz .LBB4_430
	s_branch .LBB4_431
.LBB4_1348:                             ;   in Loop: Header=BB4_130 Depth=2
	s_or_saveexec_b32 s29, s29
	v_mov_b32_e32 v23, 0x7f800001
	s_xor_b32 exec_lo, exec_lo, s29
	s_cbranch_execz .LBB4_437
.LBB4_1349:                             ;   in Loop: Header=BB4_130 Depth=2
	v_cmp_ne_u16_sdwa s40, v24, v52 src0_sel:BYTE_0 src1_sel:DWORD
	v_mov_b32_e32 v23, 0
	s_andn2_b32 s13, s13, exec_lo
	s_and_b32 s40, s40, exec_lo
	s_or_b32 s13, s13, s40
	s_or_b32 exec_lo, exec_lo, s29
	s_and_saveexec_b32 s29, s13
	s_cbranch_execnz .LBB4_438
	s_branch .LBB4_439
.LBB4_1350:                             ;   in Loop: Header=BB4_130 Depth=2
	s_or_saveexec_b32 s29, s29
	v_mov_b32_e32 v43, 0x7f800001
	s_xor_b32 exec_lo, exec_lo, s29
	s_cbranch_execz .LBB4_443
.LBB4_1351:                             ;   in Loop: Header=BB4_130 Depth=2
	v_cmp_ne_u16_sdwa s40, v20, v52 src0_sel:BYTE_0 src1_sel:DWORD
	v_mov_b32_e32 v43, 0
	s_andn2_b32 s13, s13, exec_lo
	s_and_b32 s40, s40, exec_lo
	s_or_b32 s13, s13, s40
	s_or_b32 exec_lo, exec_lo, s29
	s_and_saveexec_b32 s29, s13
	s_cbranch_execnz .LBB4_444
	s_branch .LBB4_445
.LBB4_1352:                             ;   in Loop: Header=BB4_130 Depth=2
	s_or_saveexec_b32 s29, s29
	v_mov_b32_e32 v43, 0x7f800001
	s_xor_b32 exec_lo, exec_lo, s29
	s_cbranch_execz .LBB4_459
.LBB4_1353:                             ;   in Loop: Header=BB4_130 Depth=2
	v_cmp_ne_u16_sdwa s40, v24, v52 src0_sel:BYTE_1 src1_sel:DWORD
	v_mov_b32_e32 v43, 0
	s_andn2_b32 s13, s13, exec_lo
	s_and_b32 s40, s40, exec_lo
	s_or_b32 s13, s13, s40
	s_or_b32 exec_lo, exec_lo, s29
	s_and_saveexec_b32 s29, s13
	s_cbranch_execnz .LBB4_460
	s_branch .LBB4_461
.LBB4_1354:                             ;   in Loop: Header=BB4_130 Depth=2
	s_or_saveexec_b32 s29, s29
	v_mov_b32_e32 v44, 0x7f800001
	s_xor_b32 exec_lo, exec_lo, s29
	s_cbranch_execz .LBB4_465
.LBB4_1355:                             ;   in Loop: Header=BB4_130 Depth=2
	v_cmp_ne_u16_sdwa s40, v20, v52 src0_sel:BYTE_1 src1_sel:DWORD
	v_mov_b32_e32 v44, 0
	s_andn2_b32 s13, s13, exec_lo
	s_and_b32 s40, s40, exec_lo
	s_or_b32 s13, s13, s40
	s_or_b32 exec_lo, exec_lo, s29
	s_and_saveexec_b32 s29, s13
	s_cbranch_execnz .LBB4_466
	s_branch .LBB4_467
.LBB4_1356:                             ;   in Loop: Header=BB4_130 Depth=2
	s_or_saveexec_b32 s29, s29
	v_mov_b32_e32 v43, 0x7f800001
	s_xor_b32 exec_lo, exec_lo, s29
	s_cbranch_execz .LBB4_473
.LBB4_1357:                             ;   in Loop: Header=BB4_130 Depth=2
	v_cmp_ne_u16_sdwa s40, v24, v52 src0_sel:BYTE_1 src1_sel:DWORD
	v_mov_b32_e32 v43, 0
	s_andn2_b32 s13, s13, exec_lo
	s_and_b32 s40, s40, exec_lo
	s_or_b32 s13, s13, s40
	s_or_b32 exec_lo, exec_lo, s29
	s_and_saveexec_b32 s29, s13
	s_cbranch_execnz .LBB4_474
	s_branch .LBB4_475
.LBB4_1358:                             ;   in Loop: Header=BB4_130 Depth=2
	s_or_saveexec_b32 s29, s29
	v_mov_b32_e32 v44, 0x7f800001
	s_xor_b32 exec_lo, exec_lo, s29
	s_cbranch_execz .LBB4_479
.LBB4_1359:                             ;   in Loop: Header=BB4_130 Depth=2
	v_cmp_ne_u16_sdwa s40, v20, v52 src0_sel:BYTE_1 src1_sel:DWORD
	v_mov_b32_e32 v44, 0
	s_andn2_b32 s13, s13, exec_lo
	s_and_b32 s40, s40, exec_lo
	s_or_b32 s13, s13, s40
	s_or_b32 exec_lo, exec_lo, s29
	s_and_saveexec_b32 s29, s13
	s_cbranch_execnz .LBB4_480
	s_branch .LBB4_481
.LBB4_1360:                             ;   in Loop: Header=BB4_130 Depth=2
	s_or_saveexec_b32 s13, s13
	v_mov_b32_e32 v45, 0x7f800001
	s_xor_b32 exec_lo, exec_lo, s13
	s_cbranch_execz .LBB4_495
.LBB4_1361:                             ;   in Loop: Header=BB4_130 Depth=2
	v_cmp_ne_u16_e32 vcc_lo, 0, v44
	v_mov_b32_e32 v45, 0
	s_andn2_b32 s29, s29, exec_lo
	s_and_b32 s40, vcc_lo, exec_lo
	s_or_b32 s29, s29, s40
	s_or_b32 exec_lo, exec_lo, s13
	s_and_saveexec_b32 s13, s29
	s_cbranch_execnz .LBB4_496
	s_branch .LBB4_497
.LBB4_1362:                             ;   in Loop: Header=BB4_130 Depth=2
	s_or_saveexec_b32 s29, s29
	v_mov_b32_e32 v46, 0x7f800001
	s_xor_b32 exec_lo, exec_lo, s29
	s_cbranch_execz .LBB4_501
.LBB4_1363:                             ;   in Loop: Header=BB4_130 Depth=2
	v_cmp_ne_u16_e32 vcc_lo, 0, v47
	v_mov_b32_e32 v46, 0
	s_andn2_b32 s13, s13, exec_lo
	s_and_b32 s40, vcc_lo, exec_lo
	s_or_b32 s13, s13, s40
	s_or_b32 exec_lo, exec_lo, s29
	s_and_saveexec_b32 s29, s13
	s_cbranch_execnz .LBB4_502
	s_branch .LBB4_503
.LBB4_1364:                             ;   in Loop: Header=BB4_130 Depth=2
	s_or_saveexec_b32 s29, s29
	v_mov_b32_e32 v45, 0x7f800001
	s_xor_b32 exec_lo, exec_lo, s29
	s_cbranch_execz .LBB4_509
.LBB4_1365:                             ;   in Loop: Header=BB4_130 Depth=2
	v_cmp_ne_u16_e32 vcc_lo, 0, v44
	v_mov_b32_e32 v45, 0
	s_andn2_b32 s13, s13, exec_lo
	s_and_b32 s40, vcc_lo, exec_lo
	s_or_b32 s13, s13, s40
	s_or_b32 exec_lo, exec_lo, s29
	s_and_saveexec_b32 s29, s13
	s_cbranch_execnz .LBB4_510
	s_branch .LBB4_511
.LBB4_1366:                             ;   in Loop: Header=BB4_130 Depth=2
	s_or_saveexec_b32 s29, s29
	v_mov_b32_e32 v44, 0x7f800001
	s_xor_b32 exec_lo, exec_lo, s29
	s_cbranch_execz .LBB4_515
.LBB4_1367:                             ;   in Loop: Header=BB4_130 Depth=2
	v_cmp_ne_u16_e32 vcc_lo, 0, v46
	v_mov_b32_e32 v44, 0
	s_andn2_b32 s13, s13, exec_lo
	s_and_b32 s40, vcc_lo, exec_lo
	s_or_b32 s13, s13, s40
	s_or_b32 exec_lo, exec_lo, s29
	s_and_saveexec_b32 s29, s13
	s_cbranch_execnz .LBB4_516
	s_branch .LBB4_517
.LBB4_1368:                             ;   in Loop: Header=BB4_130 Depth=2
	s_or_saveexec_b32 s29, s29
	v_mov_b32_e32 v45, 0x7f800001
	s_xor_b32 exec_lo, exec_lo, s29
	s_cbranch_execz .LBB4_531
.LBB4_1369:                             ;   in Loop: Header=BB4_130 Depth=2
	v_cmp_ne_u16_sdwa s40, v24, v52 src0_sel:BYTE_3 src1_sel:DWORD
	v_mov_b32_e32 v45, 0
	s_andn2_b32 s13, s13, exec_lo
	s_and_b32 s40, s40, exec_lo
	s_or_b32 s13, s13, s40
	s_or_b32 exec_lo, exec_lo, s29
	s_and_saveexec_b32 s29, s13
	s_cbranch_execnz .LBB4_532
	s_branch .LBB4_533
.LBB4_1370:                             ;   in Loop: Header=BB4_130 Depth=2
	s_or_saveexec_b32 s29, s29
	v_mov_b32_e32 v46, 0x7f800001
	s_xor_b32 exec_lo, exec_lo, s29
	s_cbranch_execz .LBB4_537
.LBB4_1371:                             ;   in Loop: Header=BB4_130 Depth=2
	v_cmp_ne_u16_sdwa s40, v20, v52 src0_sel:BYTE_3 src1_sel:DWORD
	v_mov_b32_e32 v46, 0
	s_andn2_b32 s13, s13, exec_lo
	s_and_b32 s40, s40, exec_lo
	s_or_b32 s13, s13, s40
	s_or_b32 exec_lo, exec_lo, s29
	s_and_saveexec_b32 s29, s13
	s_cbranch_execnz .LBB4_538
	s_branch .LBB4_539
.LBB4_1372:                             ;   in Loop: Header=BB4_130 Depth=2
	s_or_saveexec_b32 s29, s29
	v_mov_b32_e32 v45, 0x7f800001
	s_xor_b32 exec_lo, exec_lo, s29
	s_cbranch_execz .LBB4_545
.LBB4_1373:                             ;   in Loop: Header=BB4_130 Depth=2
	v_cmp_ne_u16_sdwa s40, v24, v52 src0_sel:BYTE_3 src1_sel:DWORD
	v_mov_b32_e32 v45, 0
	s_andn2_b32 s13, s13, exec_lo
	s_and_b32 s40, s40, exec_lo
	s_or_b32 s13, s13, s40
	s_or_b32 exec_lo, exec_lo, s29
	s_and_saveexec_b32 s29, s13
	s_cbranch_execnz .LBB4_546
	s_branch .LBB4_547
.LBB4_1374:                             ;   in Loop: Header=BB4_130 Depth=2
	s_or_saveexec_b32 s29, s29
	v_mov_b32_e32 v24, 0x7f800001
	s_xor_b32 exec_lo, exec_lo, s29
	s_cbranch_execz .LBB4_551
.LBB4_1375:                             ;   in Loop: Header=BB4_130 Depth=2
	v_cmp_ne_u16_sdwa s40, v20, v52 src0_sel:BYTE_3 src1_sel:DWORD
	v_mov_b32_e32 v24, 0
	s_andn2_b32 s13, s13, exec_lo
	s_and_b32 s40, s40, exec_lo
	s_or_b32 s13, s13, s40
	s_or_b32 exec_lo, exec_lo, s29
	s_and_saveexec_b32 s29, s13
	s_cbranch_execnz .LBB4_552
	s_branch .LBB4_553
.LBB4_1376:                             ;   in Loop: Header=BB4_130 Depth=2
	s_or_saveexec_b32 s29, s29
	v_mov_b32_e32 v24, 0x7f800001
	s_xor_b32 exec_lo, exec_lo, s29
	s_cbranch_execz .LBB4_567
.LBB4_1377:                             ;   in Loop: Header=BB4_130 Depth=2
	v_cmp_ne_u16_sdwa s40, v25, v52 src0_sel:BYTE_0 src1_sel:DWORD
	v_mov_b32_e32 v24, 0
	s_andn2_b32 s13, s13, exec_lo
	s_and_b32 s40, s40, exec_lo
	s_or_b32 s13, s13, s40
	s_or_b32 exec_lo, exec_lo, s29
	s_and_saveexec_b32 s29, s13
	s_cbranch_execnz .LBB4_568
	s_branch .LBB4_569
.LBB4_1378:                             ;   in Loop: Header=BB4_130 Depth=2
	s_or_saveexec_b32 s29, s29
	v_mov_b32_e32 v45, 0x7f800001
	s_xor_b32 exec_lo, exec_lo, s29
	s_cbranch_execz .LBB4_573
.LBB4_1379:                             ;   in Loop: Header=BB4_130 Depth=2
	v_cmp_ne_u16_sdwa s40, v21, v52 src0_sel:BYTE_0 src1_sel:DWORD
	v_mov_b32_e32 v45, 0
	s_andn2_b32 s13, s13, exec_lo
	s_and_b32 s40, s40, exec_lo
	s_or_b32 s13, s13, s40
	s_or_b32 exec_lo, exec_lo, s29
	s_and_saveexec_b32 s29, s13
	s_cbranch_execnz .LBB4_574
	s_branch .LBB4_575
.LBB4_1380:                             ;   in Loop: Header=BB4_130 Depth=2
	s_or_saveexec_b32 s29, s29
	v_mov_b32_e32 v24, 0x7f800001
	s_xor_b32 exec_lo, exec_lo, s29
	s_cbranch_execz .LBB4_581
.LBB4_1381:                             ;   in Loop: Header=BB4_130 Depth=2
	v_cmp_ne_u16_sdwa s40, v25, v52 src0_sel:BYTE_0 src1_sel:DWORD
	v_mov_b32_e32 v24, 0
	s_andn2_b32 s13, s13, exec_lo
	s_and_b32 s40, s40, exec_lo
	s_or_b32 s13, s13, s40
	s_or_b32 exec_lo, exec_lo, s29
	s_and_saveexec_b32 s29, s13
	s_cbranch_execnz .LBB4_582
	s_branch .LBB4_583
.LBB4_1382:                             ;   in Loop: Header=BB4_130 Depth=2
	s_or_saveexec_b32 s29, s29
	v_mov_b32_e32 v45, 0x7f800001
	s_xor_b32 exec_lo, exec_lo, s29
	s_cbranch_execz .LBB4_587
.LBB4_1383:                             ;   in Loop: Header=BB4_130 Depth=2
	v_cmp_ne_u16_sdwa s40, v21, v52 src0_sel:BYTE_0 src1_sel:DWORD
	v_mov_b32_e32 v45, 0
	s_andn2_b32 s13, s13, exec_lo
	s_and_b32 s40, s40, exec_lo
	s_or_b32 s13, s13, s40
	s_or_b32 exec_lo, exec_lo, s29
	s_and_saveexec_b32 s29, s13
	s_cbranch_execnz .LBB4_588
	s_branch .LBB4_589
.LBB4_1384:                             ;   in Loop: Header=BB4_130 Depth=2
	s_or_saveexec_b32 s29, s29
	v_mov_b32_e32 v45, 0x7f800001
	s_xor_b32 exec_lo, exec_lo, s29
	s_cbranch_execz .LBB4_603
.LBB4_1385:                             ;   in Loop: Header=BB4_130 Depth=2
	v_cmp_ne_u16_sdwa s40, v25, v52 src0_sel:BYTE_1 src1_sel:DWORD
	v_mov_b32_e32 v45, 0
	s_andn2_b32 s13, s13, exec_lo
	s_and_b32 s40, s40, exec_lo
	s_or_b32 s13, s13, s40
	s_or_b32 exec_lo, exec_lo, s29
	s_and_saveexec_b32 s29, s13
	s_cbranch_execnz .LBB4_604
	s_branch .LBB4_605
.LBB4_1386:                             ;   in Loop: Header=BB4_130 Depth=2
	s_or_saveexec_b32 s29, s29
	v_mov_b32_e32 v46, 0x7f800001
	s_xor_b32 exec_lo, exec_lo, s29
	s_cbranch_execz .LBB4_609
.LBB4_1387:                             ;   in Loop: Header=BB4_130 Depth=2
	v_cmp_ne_u16_sdwa s40, v21, v52 src0_sel:BYTE_1 src1_sel:DWORD
	v_mov_b32_e32 v46, 0
	s_andn2_b32 s13, s13, exec_lo
	s_and_b32 s40, s40, exec_lo
	s_or_b32 s13, s13, s40
	s_or_b32 exec_lo, exec_lo, s29
	s_and_saveexec_b32 s29, s13
	s_cbranch_execnz .LBB4_610
	s_branch .LBB4_611
.LBB4_1388:                             ;   in Loop: Header=BB4_130 Depth=2
	s_or_saveexec_b32 s29, s29
	v_mov_b32_e32 v45, 0x7f800001
	s_xor_b32 exec_lo, exec_lo, s29
	s_cbranch_execz .LBB4_617
.LBB4_1389:                             ;   in Loop: Header=BB4_130 Depth=2
	v_cmp_ne_u16_sdwa s40, v25, v52 src0_sel:BYTE_1 src1_sel:DWORD
	v_mov_b32_e32 v45, 0
	s_andn2_b32 s13, s13, exec_lo
	s_and_b32 s40, s40, exec_lo
	s_or_b32 s13, s13, s40
	s_or_b32 exec_lo, exec_lo, s29
	s_and_saveexec_b32 s29, s13
	s_cbranch_execnz .LBB4_618
	s_branch .LBB4_619
.LBB4_1390:                             ;   in Loop: Header=BB4_130 Depth=2
	s_or_saveexec_b32 s29, s29
	v_mov_b32_e32 v46, 0x7f800001
	s_xor_b32 exec_lo, exec_lo, s29
	s_cbranch_execz .LBB4_623
.LBB4_1391:                             ;   in Loop: Header=BB4_130 Depth=2
	v_cmp_ne_u16_sdwa s40, v21, v52 src0_sel:BYTE_1 src1_sel:DWORD
	v_mov_b32_e32 v46, 0
	s_andn2_b32 s13, s13, exec_lo
	s_and_b32 s40, s40, exec_lo
	s_or_b32 s13, s13, s40
	s_or_b32 exec_lo, exec_lo, s29
	s_and_saveexec_b32 s29, s13
	s_cbranch_execnz .LBB4_624
	s_branch .LBB4_625
.LBB4_1392:                             ;   in Loop: Header=BB4_130 Depth=2
	s_or_saveexec_b32 s13, s13
	v_mov_b32_e32 v47, 0x7f800001
	s_xor_b32 exec_lo, exec_lo, s13
	s_cbranch_execz .LBB4_639
.LBB4_1393:                             ;   in Loop: Header=BB4_130 Depth=2
	v_cmp_ne_u16_e32 vcc_lo, 0, v46
	v_mov_b32_e32 v47, 0
	s_andn2_b32 s29, s29, exec_lo
	s_and_b32 s40, vcc_lo, exec_lo
	s_or_b32 s29, s29, s40
	s_or_b32 exec_lo, exec_lo, s13
	s_and_saveexec_b32 s13, s29
	s_cbranch_execnz .LBB4_640
	s_branch .LBB4_641
.LBB4_1394:                             ;   in Loop: Header=BB4_130 Depth=2
	s_or_saveexec_b32 s29, s29
	v_mov_b32_e32 v56, 0x7f800001
	s_xor_b32 exec_lo, exec_lo, s29
	s_cbranch_execz .LBB4_645
.LBB4_1395:                             ;   in Loop: Header=BB4_130 Depth=2
	v_cmp_ne_u16_e32 vcc_lo, 0, v57
	v_mov_b32_e32 v56, 0
	s_andn2_b32 s13, s13, exec_lo
	s_and_b32 s40, vcc_lo, exec_lo
	s_or_b32 s13, s13, s40
	s_or_b32 exec_lo, exec_lo, s29
	s_and_saveexec_b32 s29, s13
	s_cbranch_execnz .LBB4_646
	s_branch .LBB4_647
.LBB4_1396:                             ;   in Loop: Header=BB4_130 Depth=2
	s_or_saveexec_b32 s29, s29
	v_mov_b32_e32 v47, 0x7f800001
	s_xor_b32 exec_lo, exec_lo, s29
	s_cbranch_execz .LBB4_653
.LBB4_1397:                             ;   in Loop: Header=BB4_130 Depth=2
	v_cmp_ne_u16_e32 vcc_lo, 0, v46
	v_mov_b32_e32 v47, 0
	s_andn2_b32 s13, s13, exec_lo
	s_and_b32 s40, vcc_lo, exec_lo
	s_or_b32 s13, s13, s40
	s_or_b32 exec_lo, exec_lo, s29
	s_and_saveexec_b32 s29, s13
	s_cbranch_execnz .LBB4_654
	s_branch .LBB4_655
.LBB4_1398:                             ;   in Loop: Header=BB4_130 Depth=2
	s_or_saveexec_b32 s29, s29
	v_mov_b32_e32 v46, 0x7f800001
	s_xor_b32 exec_lo, exec_lo, s29
	s_cbranch_execz .LBB4_659
.LBB4_1399:                             ;   in Loop: Header=BB4_130 Depth=2
	v_cmp_ne_u16_e32 vcc_lo, 0, v56
	v_mov_b32_e32 v46, 0
	s_andn2_b32 s13, s13, exec_lo
	s_and_b32 s40, vcc_lo, exec_lo
	s_or_b32 s13, s13, s40
	s_or_b32 exec_lo, exec_lo, s29
	s_and_saveexec_b32 s29, s13
	s_cbranch_execnz .LBB4_660
	s_branch .LBB4_661
.LBB4_1400:                             ;   in Loop: Header=BB4_130 Depth=2
	s_or_saveexec_b32 s29, s29
	v_mov_b32_e32 v47, 0x7f800001
	s_xor_b32 exec_lo, exec_lo, s29
	s_cbranch_execz .LBB4_675
.LBB4_1401:                             ;   in Loop: Header=BB4_130 Depth=2
	v_cmp_ne_u16_sdwa s40, v25, v52 src0_sel:BYTE_3 src1_sel:DWORD
	v_mov_b32_e32 v47, 0
	s_andn2_b32 s13, s13, exec_lo
	s_and_b32 s40, s40, exec_lo
	s_or_b32 s13, s13, s40
	s_or_b32 exec_lo, exec_lo, s29
	s_and_saveexec_b32 s29, s13
	s_cbranch_execnz .LBB4_676
	s_branch .LBB4_677
.LBB4_1402:                             ;   in Loop: Header=BB4_130 Depth=2
	s_or_saveexec_b32 s29, s29
	v_mov_b32_e32 v56, 0x7f800001
	s_xor_b32 exec_lo, exec_lo, s29
	s_cbranch_execz .LBB4_681
.LBB4_1403:                             ;   in Loop: Header=BB4_130 Depth=2
	v_cmp_ne_u16_sdwa s40, v21, v52 src0_sel:BYTE_3 src1_sel:DWORD
	v_mov_b32_e32 v56, 0
	s_andn2_b32 s13, s13, exec_lo
	s_and_b32 s40, s40, exec_lo
	s_or_b32 s13, s13, s40
	s_or_b32 exec_lo, exec_lo, s29
	s_and_saveexec_b32 s29, s13
	s_cbranch_execnz .LBB4_682
	s_branch .LBB4_683
.LBB4_1404:                             ;   in Loop: Header=BB4_130 Depth=2
	s_or_saveexec_b32 s29, s29
	v_mov_b32_e32 v47, 0x7f800001
	s_xor_b32 exec_lo, exec_lo, s29
	s_cbranch_execz .LBB4_689
.LBB4_1405:                             ;   in Loop: Header=BB4_130 Depth=2
	v_cmp_ne_u16_sdwa s40, v25, v52 src0_sel:BYTE_3 src1_sel:DWORD
	v_mov_b32_e32 v47, 0
	s_andn2_b32 s13, s13, exec_lo
	s_and_b32 s40, s40, exec_lo
	s_or_b32 s13, s13, s40
	s_or_b32 exec_lo, exec_lo, s29
	s_and_saveexec_b32 s29, s13
	s_cbranch_execnz .LBB4_690
	s_branch .LBB4_691
.LBB4_1406:                             ;   in Loop: Header=BB4_130 Depth=2
	s_or_saveexec_b32 s29, s29
	v_mov_b32_e32 v25, 0x7f800001
	s_xor_b32 exec_lo, exec_lo, s29
	s_cbranch_execz .LBB4_695
.LBB4_1407:                             ;   in Loop: Header=BB4_130 Depth=2
	v_cmp_ne_u16_sdwa s40, v21, v52 src0_sel:BYTE_3 src1_sel:DWORD
	v_mov_b32_e32 v25, 0
	s_andn2_b32 s13, s13, exec_lo
	s_and_b32 s40, s40, exec_lo
	s_or_b32 s13, s13, s40
	s_or_b32 exec_lo, exec_lo, s29
	s_and_saveexec_b32 s29, s13
	s_cbranch_execnz .LBB4_696
	s_branch .LBB4_697
.LBB4_1408:                             ;   in Loop: Header=BB4_130 Depth=2
	s_or_saveexec_b32 s29, s29
	v_mov_b32_e32 v25, 0x7f800001
	s_xor_b32 exec_lo, exec_lo, s29
	s_cbranch_execz .LBB4_711
.LBB4_1409:                             ;   in Loop: Header=BB4_130 Depth=2
	v_cmp_ne_u16_sdwa s40, v14, v52 src0_sel:BYTE_0 src1_sel:DWORD
	v_mov_b32_e32 v25, 0
	s_andn2_b32 s13, s13, exec_lo
	s_and_b32 s40, s40, exec_lo
	s_or_b32 s13, s13, s40
	s_or_b32 exec_lo, exec_lo, s29
	s_and_saveexec_b32 s29, s13
	s_cbranch_execnz .LBB4_712
	s_branch .LBB4_713
.LBB4_1410:                             ;   in Loop: Header=BB4_130 Depth=2
	s_or_saveexec_b32 s29, s29
	v_mov_b32_e32 v47, 0x7f800001
	s_xor_b32 exec_lo, exec_lo, s29
	s_cbranch_execz .LBB4_717
.LBB4_1411:                             ;   in Loop: Header=BB4_130 Depth=2
	v_cmp_ne_u16_sdwa s40, v10, v52 src0_sel:BYTE_0 src1_sel:DWORD
	v_mov_b32_e32 v47, 0
	s_andn2_b32 s13, s13, exec_lo
	s_and_b32 s40, s40, exec_lo
	s_or_b32 s13, s13, s40
	s_or_b32 exec_lo, exec_lo, s29
	s_and_saveexec_b32 s29, s13
	s_cbranch_execnz .LBB4_718
	s_branch .LBB4_719
.LBB4_1412:                             ;   in Loop: Header=BB4_130 Depth=2
	s_or_saveexec_b32 s29, s29
	v_mov_b32_e32 v25, 0x7f800001
	s_xor_b32 exec_lo, exec_lo, s29
	s_cbranch_execz .LBB4_725
.LBB4_1413:                             ;   in Loop: Header=BB4_130 Depth=2
	v_cmp_ne_u16_sdwa s40, v14, v52 src0_sel:BYTE_0 src1_sel:DWORD
	v_mov_b32_e32 v25, 0
	s_andn2_b32 s13, s13, exec_lo
	s_and_b32 s40, s40, exec_lo
	s_or_b32 s13, s13, s40
	s_or_b32 exec_lo, exec_lo, s29
	s_and_saveexec_b32 s29, s13
	s_cbranch_execnz .LBB4_726
	s_branch .LBB4_727
.LBB4_1414:                             ;   in Loop: Header=BB4_130 Depth=2
	s_or_saveexec_b32 s29, s29
	v_mov_b32_e32 v47, 0x7f800001
	s_xor_b32 exec_lo, exec_lo, s29
	s_cbranch_execz .LBB4_731
.LBB4_1415:                             ;   in Loop: Header=BB4_130 Depth=2
	v_cmp_ne_u16_sdwa s40, v10, v52 src0_sel:BYTE_0 src1_sel:DWORD
	v_mov_b32_e32 v47, 0
	s_andn2_b32 s13, s13, exec_lo
	s_and_b32 s40, s40, exec_lo
	s_or_b32 s13, s13, s40
	s_or_b32 exec_lo, exec_lo, s29
	s_and_saveexec_b32 s29, s13
	s_cbranch_execnz .LBB4_732
	s_branch .LBB4_733
.LBB4_1416:                             ;   in Loop: Header=BB4_130 Depth=2
	s_or_saveexec_b32 s29, s29
	v_mov_b32_e32 v47, 0x7f800001
	s_xor_b32 exec_lo, exec_lo, s29
	s_cbranch_execz .LBB4_747
.LBB4_1417:                             ;   in Loop: Header=BB4_130 Depth=2
	v_cmp_ne_u16_sdwa s40, v14, v52 src0_sel:BYTE_1 src1_sel:DWORD
	v_mov_b32_e32 v47, 0
	s_andn2_b32 s13, s13, exec_lo
	s_and_b32 s40, s40, exec_lo
	s_or_b32 s13, s13, s40
	s_or_b32 exec_lo, exec_lo, s29
	s_and_saveexec_b32 s29, s13
	s_cbranch_execnz .LBB4_748
	s_branch .LBB4_749
.LBB4_1418:                             ;   in Loop: Header=BB4_130 Depth=2
	s_or_saveexec_b32 s29, s29
	v_mov_b32_e32 v56, 0x7f800001
	s_xor_b32 exec_lo, exec_lo, s29
	s_cbranch_execz .LBB4_753
.LBB4_1419:                             ;   in Loop: Header=BB4_130 Depth=2
	v_cmp_ne_u16_sdwa s40, v10, v52 src0_sel:BYTE_1 src1_sel:DWORD
	v_mov_b32_e32 v56, 0
	s_andn2_b32 s13, s13, exec_lo
	s_and_b32 s40, s40, exec_lo
	s_or_b32 s13, s13, s40
	s_or_b32 exec_lo, exec_lo, s29
	s_and_saveexec_b32 s29, s13
	s_cbranch_execnz .LBB4_754
	s_branch .LBB4_755
.LBB4_1420:                             ;   in Loop: Header=BB4_130 Depth=2
	s_or_saveexec_b32 s29, s29
	v_mov_b32_e32 v47, 0x7f800001
	s_xor_b32 exec_lo, exec_lo, s29
	s_cbranch_execz .LBB4_761
.LBB4_1421:                             ;   in Loop: Header=BB4_130 Depth=2
	v_cmp_ne_u16_sdwa s40, v14, v52 src0_sel:BYTE_1 src1_sel:DWORD
	v_mov_b32_e32 v47, 0
	s_andn2_b32 s13, s13, exec_lo
	s_and_b32 s40, s40, exec_lo
	s_or_b32 s13, s13, s40
	s_or_b32 exec_lo, exec_lo, s29
	s_and_saveexec_b32 s29, s13
	s_cbranch_execnz .LBB4_762
	s_branch .LBB4_763
.LBB4_1422:                             ;   in Loop: Header=BB4_130 Depth=2
	s_or_saveexec_b32 s29, s29
	v_mov_b32_e32 v56, 0x7f800001
	s_xor_b32 exec_lo, exec_lo, s29
	s_cbranch_execz .LBB4_767
.LBB4_1423:                             ;   in Loop: Header=BB4_130 Depth=2
	v_cmp_ne_u16_sdwa s40, v10, v52 src0_sel:BYTE_1 src1_sel:DWORD
	v_mov_b32_e32 v56, 0
	s_andn2_b32 s13, s13, exec_lo
	s_and_b32 s40, s40, exec_lo
	s_or_b32 s13, s13, s40
	s_or_b32 exec_lo, exec_lo, s29
	s_and_saveexec_b32 s29, s13
	s_cbranch_execnz .LBB4_768
	s_branch .LBB4_769
.LBB4_1424:                             ;   in Loop: Header=BB4_130 Depth=2
	s_or_saveexec_b32 s13, s13
	v_mov_b32_e32 v57, 0x7f800001
	s_xor_b32 exec_lo, exec_lo, s13
	s_cbranch_execz .LBB4_783
.LBB4_1425:                             ;   in Loop: Header=BB4_130 Depth=2
	v_cmp_ne_u16_e32 vcc_lo, 0, v56
	v_mov_b32_e32 v57, 0
	s_andn2_b32 s29, s29, exec_lo
	s_and_b32 s40, vcc_lo, exec_lo
	s_or_b32 s29, s29, s40
	s_or_b32 exec_lo, exec_lo, s13
	s_and_saveexec_b32 s13, s29
	s_cbranch_execnz .LBB4_784
	s_branch .LBB4_785
.LBB4_1426:                             ;   in Loop: Header=BB4_130 Depth=2
	s_or_saveexec_b32 s29, s29
	v_mov_b32_e32 v58, 0x7f800001
	s_xor_b32 exec_lo, exec_lo, s29
	s_cbranch_execz .LBB4_789
.LBB4_1427:                             ;   in Loop: Header=BB4_130 Depth=2
	v_cmp_ne_u16_e32 vcc_lo, 0, v59
	v_mov_b32_e32 v58, 0
	s_andn2_b32 s13, s13, exec_lo
	s_and_b32 s40, vcc_lo, exec_lo
	s_or_b32 s13, s13, s40
	s_or_b32 exec_lo, exec_lo, s29
	s_and_saveexec_b32 s29, s13
	s_cbranch_execnz .LBB4_790
	s_branch .LBB4_791
.LBB4_1428:                             ;   in Loop: Header=BB4_130 Depth=2
	s_or_saveexec_b32 s29, s29
	v_mov_b32_e32 v57, 0x7f800001
	s_xor_b32 exec_lo, exec_lo, s29
	s_cbranch_execz .LBB4_797
.LBB4_1429:                             ;   in Loop: Header=BB4_130 Depth=2
	v_cmp_ne_u16_e32 vcc_lo, 0, v56
	v_mov_b32_e32 v57, 0
	s_andn2_b32 s13, s13, exec_lo
	s_and_b32 s40, vcc_lo, exec_lo
	s_or_b32 s13, s13, s40
	s_or_b32 exec_lo, exec_lo, s29
	s_and_saveexec_b32 s29, s13
	s_cbranch_execnz .LBB4_798
	s_branch .LBB4_799
.LBB4_1430:                             ;   in Loop: Header=BB4_130 Depth=2
	s_or_saveexec_b32 s29, s29
	v_mov_b32_e32 v56, 0x7f800001
	s_xor_b32 exec_lo, exec_lo, s29
	s_cbranch_execz .LBB4_803
.LBB4_1431:                             ;   in Loop: Header=BB4_130 Depth=2
	v_cmp_ne_u16_e32 vcc_lo, 0, v58
	v_mov_b32_e32 v56, 0
	s_andn2_b32 s13, s13, exec_lo
	s_and_b32 s40, vcc_lo, exec_lo
	s_or_b32 s13, s13, s40
	s_or_b32 exec_lo, exec_lo, s29
	s_and_saveexec_b32 s29, s13
	s_cbranch_execnz .LBB4_804
	s_branch .LBB4_805
.LBB4_1432:                             ;   in Loop: Header=BB4_130 Depth=2
	s_or_saveexec_b32 s29, s29
	v_mov_b32_e32 v57, 0x7f800001
	s_xor_b32 exec_lo, exec_lo, s29
	s_cbranch_execz .LBB4_819
.LBB4_1433:                             ;   in Loop: Header=BB4_130 Depth=2
	v_cmp_ne_u16_sdwa s40, v14, v52 src0_sel:BYTE_3 src1_sel:DWORD
	v_mov_b32_e32 v57, 0
	s_andn2_b32 s13, s13, exec_lo
	s_and_b32 s40, s40, exec_lo
	s_or_b32 s13, s13, s40
	s_or_b32 exec_lo, exec_lo, s29
	s_and_saveexec_b32 s29, s13
	s_cbranch_execnz .LBB4_820
	s_branch .LBB4_821
.LBB4_1434:                             ;   in Loop: Header=BB4_130 Depth=2
	s_or_saveexec_b32 s29, s29
	v_mov_b32_e32 v58, 0x7f800001
	s_xor_b32 exec_lo, exec_lo, s29
	s_cbranch_execz .LBB4_825
.LBB4_1435:                             ;   in Loop: Header=BB4_130 Depth=2
	v_cmp_ne_u16_sdwa s40, v10, v52 src0_sel:BYTE_3 src1_sel:DWORD
	v_mov_b32_e32 v58, 0
	s_andn2_b32 s13, s13, exec_lo
	s_and_b32 s40, s40, exec_lo
	s_or_b32 s13, s13, s40
	s_or_b32 exec_lo, exec_lo, s29
	s_and_saveexec_b32 s29, s13
	s_cbranch_execnz .LBB4_826
	s_branch .LBB4_827
.LBB4_1436:                             ;   in Loop: Header=BB4_130 Depth=2
	s_or_saveexec_b32 s29, s29
	v_mov_b32_e32 v57, 0x7f800001
	s_xor_b32 exec_lo, exec_lo, s29
	s_cbranch_execz .LBB4_833
.LBB4_1437:                             ;   in Loop: Header=BB4_130 Depth=2
	v_cmp_ne_u16_sdwa s40, v14, v52 src0_sel:BYTE_3 src1_sel:DWORD
	v_mov_b32_e32 v57, 0
	s_andn2_b32 s13, s13, exec_lo
	s_and_b32 s40, s40, exec_lo
	s_or_b32 s13, s13, s40
	s_or_b32 exec_lo, exec_lo, s29
	s_and_saveexec_b32 s29, s13
	s_cbranch_execnz .LBB4_834
	s_branch .LBB4_835
.LBB4_1438:                             ;   in Loop: Header=BB4_130 Depth=2
	s_or_saveexec_b32 s29, s29
	v_mov_b32_e32 v14, 0x7f800001
	s_xor_b32 exec_lo, exec_lo, s29
	s_cbranch_execz .LBB4_839
.LBB4_1439:                             ;   in Loop: Header=BB4_130 Depth=2
	v_cmp_ne_u16_sdwa s40, v10, v52 src0_sel:BYTE_3 src1_sel:DWORD
	v_mov_b32_e32 v14, 0
	s_andn2_b32 s13, s13, exec_lo
	s_and_b32 s40, s40, exec_lo
	s_or_b32 s13, s13, s40
	s_or_b32 exec_lo, exec_lo, s29
	s_and_saveexec_b32 s29, s13
	s_cbranch_execnz .LBB4_840
	s_branch .LBB4_841
.LBB4_1440:                             ;   in Loop: Header=BB4_130 Depth=2
	s_or_saveexec_b32 s29, s29
	v_mov_b32_e32 v14, 0x7f800001
	s_xor_b32 exec_lo, exec_lo, s29
	s_cbranch_execz .LBB4_855
.LBB4_1441:                             ;   in Loop: Header=BB4_130 Depth=2
	v_cmp_ne_u16_sdwa s40, v15, v52 src0_sel:BYTE_0 src1_sel:DWORD
	v_mov_b32_e32 v14, 0
	s_andn2_b32 s13, s13, exec_lo
	s_and_b32 s40, s40, exec_lo
	s_or_b32 s13, s13, s40
	s_or_b32 exec_lo, exec_lo, s29
	s_and_saveexec_b32 s29, s13
	s_cbranch_execnz .LBB4_856
	s_branch .LBB4_857
.LBB4_1442:                             ;   in Loop: Header=BB4_130 Depth=2
	s_or_saveexec_b32 s29, s29
	v_mov_b32_e32 v57, 0x7f800001
	s_xor_b32 exec_lo, exec_lo, s29
	s_cbranch_execz .LBB4_861
.LBB4_1443:                             ;   in Loop: Header=BB4_130 Depth=2
	v_cmp_ne_u16_sdwa s40, v11, v52 src0_sel:BYTE_0 src1_sel:DWORD
	v_mov_b32_e32 v57, 0
	s_andn2_b32 s13, s13, exec_lo
	s_and_b32 s40, s40, exec_lo
	s_or_b32 s13, s13, s40
	s_or_b32 exec_lo, exec_lo, s29
	s_and_saveexec_b32 s29, s13
	s_cbranch_execnz .LBB4_862
	s_branch .LBB4_863
.LBB4_1444:                             ;   in Loop: Header=BB4_130 Depth=2
	s_or_saveexec_b32 s29, s29
	v_mov_b32_e32 v14, 0x7f800001
	s_xor_b32 exec_lo, exec_lo, s29
	s_cbranch_execz .LBB4_869
.LBB4_1445:                             ;   in Loop: Header=BB4_130 Depth=2
	v_cmp_ne_u16_sdwa s40, v15, v52 src0_sel:BYTE_0 src1_sel:DWORD
	v_mov_b32_e32 v14, 0
	s_andn2_b32 s13, s13, exec_lo
	s_and_b32 s40, s40, exec_lo
	s_or_b32 s13, s13, s40
	s_or_b32 exec_lo, exec_lo, s29
	s_and_saveexec_b32 s29, s13
	s_cbranch_execnz .LBB4_870
	s_branch .LBB4_871
.LBB4_1446:                             ;   in Loop: Header=BB4_130 Depth=2
	s_or_saveexec_b32 s29, s29
	v_mov_b32_e32 v57, 0x7f800001
	s_xor_b32 exec_lo, exec_lo, s29
	s_cbranch_execz .LBB4_875
.LBB4_1447:                             ;   in Loop: Header=BB4_130 Depth=2
	v_cmp_ne_u16_sdwa s40, v11, v52 src0_sel:BYTE_0 src1_sel:DWORD
	v_mov_b32_e32 v57, 0
	s_andn2_b32 s13, s13, exec_lo
	s_and_b32 s40, s40, exec_lo
	s_or_b32 s13, s13, s40
	s_or_b32 exec_lo, exec_lo, s29
	s_and_saveexec_b32 s29, s13
	s_cbranch_execnz .LBB4_876
	s_branch .LBB4_877
.LBB4_1448:                             ;   in Loop: Header=BB4_130 Depth=2
	s_or_saveexec_b32 s29, s29
	v_mov_b32_e32 v57, 0x7f800001
	s_xor_b32 exec_lo, exec_lo, s29
	s_cbranch_execz .LBB4_891
.LBB4_1449:                             ;   in Loop: Header=BB4_130 Depth=2
	v_cmp_ne_u16_sdwa s40, v15, v52 src0_sel:BYTE_1 src1_sel:DWORD
	v_mov_b32_e32 v57, 0
	s_andn2_b32 s13, s13, exec_lo
	s_and_b32 s40, s40, exec_lo
	s_or_b32 s13, s13, s40
	s_or_b32 exec_lo, exec_lo, s29
	s_and_saveexec_b32 s29, s13
	s_cbranch_execnz .LBB4_892
	s_branch .LBB4_893
.LBB4_1450:                             ;   in Loop: Header=BB4_130 Depth=2
	s_or_saveexec_b32 s29, s29
	v_mov_b32_e32 v58, 0x7f800001
	s_xor_b32 exec_lo, exec_lo, s29
	s_cbranch_execz .LBB4_897
.LBB4_1451:                             ;   in Loop: Header=BB4_130 Depth=2
	v_cmp_ne_u16_sdwa s40, v11, v52 src0_sel:BYTE_1 src1_sel:DWORD
	v_mov_b32_e32 v58, 0
	s_andn2_b32 s13, s13, exec_lo
	s_and_b32 s40, s40, exec_lo
	s_or_b32 s13, s13, s40
	s_or_b32 exec_lo, exec_lo, s29
	s_and_saveexec_b32 s29, s13
	s_cbranch_execnz .LBB4_898
	s_branch .LBB4_899
.LBB4_1452:                             ;   in Loop: Header=BB4_130 Depth=2
	s_or_saveexec_b32 s29, s29
	v_mov_b32_e32 v57, 0x7f800001
	s_xor_b32 exec_lo, exec_lo, s29
	s_cbranch_execz .LBB4_905
.LBB4_1453:                             ;   in Loop: Header=BB4_130 Depth=2
	v_cmp_ne_u16_sdwa s40, v15, v52 src0_sel:BYTE_1 src1_sel:DWORD
	v_mov_b32_e32 v57, 0
	s_andn2_b32 s13, s13, exec_lo
	s_and_b32 s40, s40, exec_lo
	s_or_b32 s13, s13, s40
	s_or_b32 exec_lo, exec_lo, s29
	s_and_saveexec_b32 s29, s13
	s_cbranch_execnz .LBB4_906
	s_branch .LBB4_907
.LBB4_1454:                             ;   in Loop: Header=BB4_130 Depth=2
	s_or_saveexec_b32 s29, s29
	v_mov_b32_e32 v58, 0x7f800001
	s_xor_b32 exec_lo, exec_lo, s29
	s_cbranch_execz .LBB4_911
.LBB4_1455:                             ;   in Loop: Header=BB4_130 Depth=2
	v_cmp_ne_u16_sdwa s40, v11, v52 src0_sel:BYTE_1 src1_sel:DWORD
	v_mov_b32_e32 v58, 0
	s_andn2_b32 s13, s13, exec_lo
	s_and_b32 s40, s40, exec_lo
	s_or_b32 s13, s13, s40
	s_or_b32 exec_lo, exec_lo, s29
	s_and_saveexec_b32 s29, s13
	s_cbranch_execnz .LBB4_912
	s_branch .LBB4_913
.LBB4_1456:                             ;   in Loop: Header=BB4_130 Depth=2
	s_or_saveexec_b32 s13, s13
	v_mov_b32_e32 v59, 0x7f800001
	s_xor_b32 exec_lo, exec_lo, s13
	s_cbranch_execz .LBB4_927
.LBB4_1457:                             ;   in Loop: Header=BB4_130 Depth=2
	v_cmp_ne_u16_e32 vcc_lo, 0, v58
	v_mov_b32_e32 v59, 0
	s_andn2_b32 s29, s29, exec_lo
	s_and_b32 s40, vcc_lo, exec_lo
	s_or_b32 s29, s29, s40
	s_or_b32 exec_lo, exec_lo, s13
	s_and_saveexec_b32 s13, s29
	s_cbranch_execnz .LBB4_928
	s_branch .LBB4_929
.LBB4_1458:                             ;   in Loop: Header=BB4_130 Depth=2
	s_or_saveexec_b32 s29, s29
	v_mov_b32_e32 v60, 0x7f800001
	s_xor_b32 exec_lo, exec_lo, s29
	s_cbranch_execz .LBB4_933
.LBB4_1459:                             ;   in Loop: Header=BB4_130 Depth=2
	v_cmp_ne_u16_e32 vcc_lo, 0, v61
	v_mov_b32_e32 v60, 0
	s_andn2_b32 s13, s13, exec_lo
	s_and_b32 s40, vcc_lo, exec_lo
	s_or_b32 s13, s13, s40
	s_or_b32 exec_lo, exec_lo, s29
	s_and_saveexec_b32 s29, s13
	s_cbranch_execnz .LBB4_934
	s_branch .LBB4_935
.LBB4_1460:                             ;   in Loop: Header=BB4_130 Depth=2
	s_or_saveexec_b32 s29, s29
	v_mov_b32_e32 v59, 0x7f800001
	s_xor_b32 exec_lo, exec_lo, s29
	s_cbranch_execz .LBB4_941
.LBB4_1461:                             ;   in Loop: Header=BB4_130 Depth=2
	v_cmp_ne_u16_e32 vcc_lo, 0, v58
	v_mov_b32_e32 v59, 0
	s_andn2_b32 s13, s13, exec_lo
	s_and_b32 s40, vcc_lo, exec_lo
	s_or_b32 s13, s13, s40
	s_or_b32 exec_lo, exec_lo, s29
	s_and_saveexec_b32 s29, s13
	s_cbranch_execnz .LBB4_942
	s_branch .LBB4_943
.LBB4_1462:                             ;   in Loop: Header=BB4_130 Depth=2
	s_or_saveexec_b32 s29, s29
	v_mov_b32_e32 v58, 0x7f800001
	s_xor_b32 exec_lo, exec_lo, s29
	s_cbranch_execz .LBB4_947
.LBB4_1463:                             ;   in Loop: Header=BB4_130 Depth=2
	v_cmp_ne_u16_e32 vcc_lo, 0, v60
	v_mov_b32_e32 v58, 0
	s_andn2_b32 s13, s13, exec_lo
	s_and_b32 s40, vcc_lo, exec_lo
	s_or_b32 s13, s13, s40
	s_or_b32 exec_lo, exec_lo, s29
	s_and_saveexec_b32 s29, s13
	s_cbranch_execnz .LBB4_948
	s_branch .LBB4_949
.LBB4_1464:                             ;   in Loop: Header=BB4_130 Depth=2
	s_or_saveexec_b32 s29, s29
	v_mov_b32_e32 v59, 0x7f800001
	s_xor_b32 exec_lo, exec_lo, s29
	s_cbranch_execz .LBB4_963
.LBB4_1465:                             ;   in Loop: Header=BB4_130 Depth=2
	v_cmp_ne_u16_sdwa s40, v15, v52 src0_sel:BYTE_3 src1_sel:DWORD
	v_mov_b32_e32 v59, 0
	s_andn2_b32 s13, s13, exec_lo
	s_and_b32 s40, s40, exec_lo
	s_or_b32 s13, s13, s40
	s_or_b32 exec_lo, exec_lo, s29
	s_and_saveexec_b32 s29, s13
	s_cbranch_execnz .LBB4_964
	s_branch .LBB4_965
.LBB4_1466:                             ;   in Loop: Header=BB4_130 Depth=2
	s_or_saveexec_b32 s29, s29
	v_mov_b32_e32 v60, 0x7f800001
	s_xor_b32 exec_lo, exec_lo, s29
	s_cbranch_execz .LBB4_969
.LBB4_1467:                             ;   in Loop: Header=BB4_130 Depth=2
	v_cmp_ne_u16_sdwa s40, v11, v52 src0_sel:BYTE_3 src1_sel:DWORD
	v_mov_b32_e32 v60, 0
	s_andn2_b32 s13, s13, exec_lo
	s_and_b32 s40, s40, exec_lo
	s_or_b32 s13, s13, s40
	s_or_b32 exec_lo, exec_lo, s29
	s_and_saveexec_b32 s29, s13
	s_cbranch_execnz .LBB4_970
	s_branch .LBB4_971
.LBB4_1468:                             ;   in Loop: Header=BB4_130 Depth=2
	s_or_saveexec_b32 s29, s29
	v_mov_b32_e32 v59, 0x7f800001
	s_xor_b32 exec_lo, exec_lo, s29
	s_cbranch_execz .LBB4_977
.LBB4_1469:                             ;   in Loop: Header=BB4_130 Depth=2
	v_cmp_ne_u16_sdwa s40, v15, v52 src0_sel:BYTE_3 src1_sel:DWORD
	v_mov_b32_e32 v59, 0
	s_andn2_b32 s13, s13, exec_lo
	s_and_b32 s40, s40, exec_lo
	s_or_b32 s13, s13, s40
	s_or_b32 exec_lo, exec_lo, s29
	s_and_saveexec_b32 s29, s13
	s_cbranch_execnz .LBB4_978
	s_branch .LBB4_979
.LBB4_1470:                             ;   in Loop: Header=BB4_130 Depth=2
	s_or_saveexec_b32 s29, s29
	v_mov_b32_e32 v15, 0x7f800001
	s_xor_b32 exec_lo, exec_lo, s29
	s_cbranch_execz .LBB4_983
.LBB4_1471:                             ;   in Loop: Header=BB4_130 Depth=2
	v_cmp_ne_u16_sdwa s40, v11, v52 src0_sel:BYTE_3 src1_sel:DWORD
	v_mov_b32_e32 v15, 0
	s_andn2_b32 s13, s13, exec_lo
	s_and_b32 s40, s40, exec_lo
	s_or_b32 s13, s13, s40
	s_or_b32 exec_lo, exec_lo, s29
	s_and_saveexec_b32 s29, s13
	s_cbranch_execnz .LBB4_984
	s_branch .LBB4_985
.LBB4_1472:                             ;   in Loop: Header=BB4_130 Depth=2
	s_or_saveexec_b32 s29, s29
	v_mov_b32_e32 v15, 0x7f800001
	s_xor_b32 exec_lo, exec_lo, s29
	s_cbranch_execz .LBB4_999
.LBB4_1473:                             ;   in Loop: Header=BB4_130 Depth=2
	v_cmp_ne_u16_sdwa s40, v16, v52 src0_sel:BYTE_0 src1_sel:DWORD
	v_mov_b32_e32 v15, 0
	s_andn2_b32 s13, s13, exec_lo
	s_and_b32 s40, s40, exec_lo
	s_or_b32 s13, s13, s40
	s_or_b32 exec_lo, exec_lo, s29
	s_and_saveexec_b32 s29, s13
	s_cbranch_execnz .LBB4_1000
	s_branch .LBB4_1001
.LBB4_1474:                             ;   in Loop: Header=BB4_130 Depth=2
	s_or_saveexec_b32 s29, s29
	v_mov_b32_e32 v59, 0x7f800001
	s_xor_b32 exec_lo, exec_lo, s29
	s_cbranch_execz .LBB4_1005
.LBB4_1475:                             ;   in Loop: Header=BB4_130 Depth=2
	v_cmp_ne_u16_sdwa s40, v12, v52 src0_sel:BYTE_0 src1_sel:DWORD
	v_mov_b32_e32 v59, 0
	s_andn2_b32 s13, s13, exec_lo
	s_and_b32 s40, s40, exec_lo
	s_or_b32 s13, s13, s40
	s_or_b32 exec_lo, exec_lo, s29
	s_and_saveexec_b32 s29, s13
	s_cbranch_execnz .LBB4_1006
	s_branch .LBB4_1007
.LBB4_1476:                             ;   in Loop: Header=BB4_130 Depth=2
	s_or_saveexec_b32 s29, s29
	v_mov_b32_e32 v15, 0x7f800001
	s_xor_b32 exec_lo, exec_lo, s29
	s_cbranch_execz .LBB4_1013
.LBB4_1477:                             ;   in Loop: Header=BB4_130 Depth=2
	v_cmp_ne_u16_sdwa s40, v16, v52 src0_sel:BYTE_0 src1_sel:DWORD
	v_mov_b32_e32 v15, 0
	s_andn2_b32 s13, s13, exec_lo
	s_and_b32 s40, s40, exec_lo
	s_or_b32 s13, s13, s40
	s_or_b32 exec_lo, exec_lo, s29
	s_and_saveexec_b32 s29, s13
	s_cbranch_execnz .LBB4_1014
	s_branch .LBB4_1015
.LBB4_1478:                             ;   in Loop: Header=BB4_130 Depth=2
	s_or_saveexec_b32 s29, s29
	v_mov_b32_e32 v59, 0x7f800001
	s_xor_b32 exec_lo, exec_lo, s29
	s_cbranch_execz .LBB4_1019
.LBB4_1479:                             ;   in Loop: Header=BB4_130 Depth=2
	v_cmp_ne_u16_sdwa s40, v12, v52 src0_sel:BYTE_0 src1_sel:DWORD
	v_mov_b32_e32 v59, 0
	s_andn2_b32 s13, s13, exec_lo
	s_and_b32 s40, s40, exec_lo
	s_or_b32 s13, s13, s40
	s_or_b32 exec_lo, exec_lo, s29
	s_and_saveexec_b32 s29, s13
	s_cbranch_execnz .LBB4_1020
	s_branch .LBB4_1021
.LBB4_1480:                             ;   in Loop: Header=BB4_130 Depth=2
	s_or_saveexec_b32 s29, s29
	v_mov_b32_e32 v59, 0x7f800001
	s_xor_b32 exec_lo, exec_lo, s29
	s_cbranch_execz .LBB4_1035
.LBB4_1481:                             ;   in Loop: Header=BB4_130 Depth=2
	v_cmp_ne_u16_sdwa s40, v16, v52 src0_sel:BYTE_1 src1_sel:DWORD
	v_mov_b32_e32 v59, 0
	s_andn2_b32 s13, s13, exec_lo
	s_and_b32 s40, s40, exec_lo
	s_or_b32 s13, s13, s40
	s_or_b32 exec_lo, exec_lo, s29
	s_and_saveexec_b32 s29, s13
	s_cbranch_execnz .LBB4_1036
	s_branch .LBB4_1037
.LBB4_1482:                             ;   in Loop: Header=BB4_130 Depth=2
	s_or_saveexec_b32 s29, s29
	v_mov_b32_e32 v60, 0x7f800001
	s_xor_b32 exec_lo, exec_lo, s29
	s_cbranch_execz .LBB4_1041
.LBB4_1483:                             ;   in Loop: Header=BB4_130 Depth=2
	v_cmp_ne_u16_sdwa s40, v12, v52 src0_sel:BYTE_1 src1_sel:DWORD
	v_mov_b32_e32 v60, 0
	s_andn2_b32 s13, s13, exec_lo
	s_and_b32 s40, s40, exec_lo
	s_or_b32 s13, s13, s40
	s_or_b32 exec_lo, exec_lo, s29
	s_and_saveexec_b32 s29, s13
	s_cbranch_execnz .LBB4_1042
	s_branch .LBB4_1043
.LBB4_1484:                             ;   in Loop: Header=BB4_130 Depth=2
	s_or_saveexec_b32 s29, s29
	v_mov_b32_e32 v59, 0x7f800001
	s_xor_b32 exec_lo, exec_lo, s29
	s_cbranch_execz .LBB4_1049
.LBB4_1485:                             ;   in Loop: Header=BB4_130 Depth=2
	v_cmp_ne_u16_sdwa s40, v16, v52 src0_sel:BYTE_1 src1_sel:DWORD
	v_mov_b32_e32 v59, 0
	s_andn2_b32 s13, s13, exec_lo
	s_and_b32 s40, s40, exec_lo
	s_or_b32 s13, s13, s40
	s_or_b32 exec_lo, exec_lo, s29
	s_and_saveexec_b32 s29, s13
	s_cbranch_execnz .LBB4_1050
	s_branch .LBB4_1051
.LBB4_1486:                             ;   in Loop: Header=BB4_130 Depth=2
	s_or_saveexec_b32 s29, s29
	v_mov_b32_e32 v60, 0x7f800001
	s_xor_b32 exec_lo, exec_lo, s29
	s_cbranch_execz .LBB4_1055
.LBB4_1487:                             ;   in Loop: Header=BB4_130 Depth=2
	v_cmp_ne_u16_sdwa s40, v12, v52 src0_sel:BYTE_1 src1_sel:DWORD
	v_mov_b32_e32 v60, 0
	s_andn2_b32 s13, s13, exec_lo
	s_and_b32 s40, s40, exec_lo
	s_or_b32 s13, s13, s40
	s_or_b32 exec_lo, exec_lo, s29
	s_and_saveexec_b32 s29, s13
	s_cbranch_execnz .LBB4_1056
	s_branch .LBB4_1057
.LBB4_1488:                             ;   in Loop: Header=BB4_130 Depth=2
	s_or_saveexec_b32 s13, s13
	v_mov_b32_e32 v61, 0x7f800001
	s_xor_b32 exec_lo, exec_lo, s13
	s_cbranch_execz .LBB4_1071
.LBB4_1489:                             ;   in Loop: Header=BB4_130 Depth=2
	v_cmp_ne_u16_e32 vcc_lo, 0, v60
	v_mov_b32_e32 v61, 0
	s_andn2_b32 s29, s29, exec_lo
	s_and_b32 s40, vcc_lo, exec_lo
	s_or_b32 s29, s29, s40
	s_or_b32 exec_lo, exec_lo, s13
	s_and_saveexec_b32 s13, s29
	s_cbranch_execnz .LBB4_1072
	s_branch .LBB4_1073
.LBB4_1490:                             ;   in Loop: Header=BB4_130 Depth=2
	s_or_saveexec_b32 s29, s29
	v_mov_b32_e32 v62, 0x7f800001
	s_xor_b32 exec_lo, exec_lo, s29
	s_cbranch_execz .LBB4_1077
.LBB4_1491:                             ;   in Loop: Header=BB4_130 Depth=2
	v_cmp_ne_u16_e32 vcc_lo, 0, v63
	v_mov_b32_e32 v62, 0
	s_andn2_b32 s13, s13, exec_lo
	s_and_b32 s40, vcc_lo, exec_lo
	s_or_b32 s13, s13, s40
	s_or_b32 exec_lo, exec_lo, s29
	s_and_saveexec_b32 s29, s13
	s_cbranch_execnz .LBB4_1078
	s_branch .LBB4_1079
.LBB4_1492:                             ;   in Loop: Header=BB4_130 Depth=2
	s_or_saveexec_b32 s29, s29
	v_mov_b32_e32 v61, 0x7f800001
	s_xor_b32 exec_lo, exec_lo, s29
	s_cbranch_execz .LBB4_1085
.LBB4_1493:                             ;   in Loop: Header=BB4_130 Depth=2
	v_cmp_ne_u16_e32 vcc_lo, 0, v60
	v_mov_b32_e32 v61, 0
	s_andn2_b32 s13, s13, exec_lo
	s_and_b32 s40, vcc_lo, exec_lo
	s_or_b32 s13, s13, s40
	s_or_b32 exec_lo, exec_lo, s29
	s_and_saveexec_b32 s29, s13
	s_cbranch_execnz .LBB4_1086
	s_branch .LBB4_1087
.LBB4_1494:                             ;   in Loop: Header=BB4_130 Depth=2
	s_or_saveexec_b32 s29, s29
	v_mov_b32_e32 v60, 0x7f800001
	s_xor_b32 exec_lo, exec_lo, s29
	s_cbranch_execz .LBB4_1091
.LBB4_1495:                             ;   in Loop: Header=BB4_130 Depth=2
	v_cmp_ne_u16_e32 vcc_lo, 0, v62
	v_mov_b32_e32 v60, 0
	s_andn2_b32 s13, s13, exec_lo
	s_and_b32 s40, vcc_lo, exec_lo
	s_or_b32 s13, s13, s40
	s_or_b32 exec_lo, exec_lo, s29
	s_and_saveexec_b32 s29, s13
	s_cbranch_execnz .LBB4_1092
	s_branch .LBB4_1093
.LBB4_1496:                             ;   in Loop: Header=BB4_130 Depth=2
	s_or_saveexec_b32 s29, s29
	v_mov_b32_e32 v61, 0x7f800001
	s_xor_b32 exec_lo, exec_lo, s29
	s_cbranch_execz .LBB4_1107
.LBB4_1497:                             ;   in Loop: Header=BB4_130 Depth=2
	v_cmp_ne_u16_sdwa s40, v16, v52 src0_sel:BYTE_3 src1_sel:DWORD
	v_mov_b32_e32 v61, 0
	s_andn2_b32 s13, s13, exec_lo
	s_and_b32 s40, s40, exec_lo
	s_or_b32 s13, s13, s40
	s_or_b32 exec_lo, exec_lo, s29
	s_and_saveexec_b32 s29, s13
	s_cbranch_execnz .LBB4_1108
	s_branch .LBB4_1109
.LBB4_1498:                             ;   in Loop: Header=BB4_130 Depth=2
	s_or_saveexec_b32 s29, s29
	v_mov_b32_e32 v62, 0x7f800001
	s_xor_b32 exec_lo, exec_lo, s29
	s_cbranch_execz .LBB4_1113
.LBB4_1499:                             ;   in Loop: Header=BB4_130 Depth=2
	v_cmp_ne_u16_sdwa s40, v12, v52 src0_sel:BYTE_3 src1_sel:DWORD
	v_mov_b32_e32 v62, 0
	s_andn2_b32 s13, s13, exec_lo
	s_and_b32 s40, s40, exec_lo
	s_or_b32 s13, s13, s40
	s_or_b32 exec_lo, exec_lo, s29
	s_and_saveexec_b32 s29, s13
	s_cbranch_execnz .LBB4_1114
	s_branch .LBB4_1115
.LBB4_1500:                             ;   in Loop: Header=BB4_130 Depth=2
	s_or_saveexec_b32 s29, s29
	v_mov_b32_e32 v61, 0x7f800001
	s_xor_b32 exec_lo, exec_lo, s29
	s_cbranch_execz .LBB4_1121
.LBB4_1501:                             ;   in Loop: Header=BB4_130 Depth=2
	v_cmp_ne_u16_sdwa s40, v16, v52 src0_sel:BYTE_3 src1_sel:DWORD
	v_mov_b32_e32 v61, 0
	s_andn2_b32 s13, s13, exec_lo
	s_and_b32 s40, s40, exec_lo
	s_or_b32 s13, s13, s40
	s_or_b32 exec_lo, exec_lo, s29
	s_and_saveexec_b32 s29, s13
	s_cbranch_execnz .LBB4_1122
	s_branch .LBB4_1123
.LBB4_1502:                             ;   in Loop: Header=BB4_130 Depth=2
	s_or_saveexec_b32 s29, s29
	v_mov_b32_e32 v16, 0x7f800001
	s_xor_b32 exec_lo, exec_lo, s29
	s_cbranch_execz .LBB4_1127
.LBB4_1503:                             ;   in Loop: Header=BB4_130 Depth=2
	v_cmp_ne_u16_sdwa s40, v12, v52 src0_sel:BYTE_3 src1_sel:DWORD
	v_mov_b32_e32 v16, 0
	s_andn2_b32 s13, s13, exec_lo
	s_and_b32 s40, s40, exec_lo
	s_or_b32 s13, s13, s40
	s_or_b32 exec_lo, exec_lo, s29
	s_and_saveexec_b32 s29, s13
	s_cbranch_execnz .LBB4_1128
	s_branch .LBB4_1129
.LBB4_1504:                             ;   in Loop: Header=BB4_130 Depth=2
	s_or_saveexec_b32 s29, s29
	v_mov_b32_e32 v16, 0x7f800001
	s_xor_b32 exec_lo, exec_lo, s29
	s_cbranch_execz .LBB4_1143
.LBB4_1505:                             ;   in Loop: Header=BB4_130 Depth=2
	v_cmp_ne_u16_sdwa s40, v17, v52 src0_sel:BYTE_0 src1_sel:DWORD
	v_mov_b32_e32 v16, 0
	s_andn2_b32 s13, s13, exec_lo
	s_and_b32 s40, s40, exec_lo
	s_or_b32 s13, s13, s40
	s_or_b32 exec_lo, exec_lo, s29
	s_and_saveexec_b32 s29, s13
	s_cbranch_execnz .LBB4_1144
	s_branch .LBB4_1145
.LBB4_1506:                             ;   in Loop: Header=BB4_130 Depth=2
	s_or_saveexec_b32 s29, s29
	v_mov_b32_e32 v61, 0x7f800001
	s_xor_b32 exec_lo, exec_lo, s29
	s_cbranch_execz .LBB4_1149
.LBB4_1507:                             ;   in Loop: Header=BB4_130 Depth=2
	v_cmp_ne_u16_sdwa s40, v13, v52 src0_sel:BYTE_0 src1_sel:DWORD
	v_mov_b32_e32 v61, 0
	s_andn2_b32 s13, s13, exec_lo
	s_and_b32 s40, s40, exec_lo
	s_or_b32 s13, s13, s40
	s_or_b32 exec_lo, exec_lo, s29
	s_and_saveexec_b32 s29, s13
	s_cbranch_execnz .LBB4_1150
	s_branch .LBB4_1151
.LBB4_1508:                             ;   in Loop: Header=BB4_130 Depth=2
	s_or_saveexec_b32 s29, s29
	v_mov_b32_e32 v16, 0x7f800001
	s_xor_b32 exec_lo, exec_lo, s29
	s_cbranch_execz .LBB4_1157
.LBB4_1509:                             ;   in Loop: Header=BB4_130 Depth=2
	v_cmp_ne_u16_sdwa s40, v17, v52 src0_sel:BYTE_0 src1_sel:DWORD
	v_mov_b32_e32 v16, 0
	s_andn2_b32 s13, s13, exec_lo
	s_and_b32 s40, s40, exec_lo
	s_or_b32 s13, s13, s40
	s_or_b32 exec_lo, exec_lo, s29
	s_and_saveexec_b32 s29, s13
	s_cbranch_execnz .LBB4_1158
	s_branch .LBB4_1159
.LBB4_1510:                             ;   in Loop: Header=BB4_130 Depth=2
	s_or_saveexec_b32 s29, s29
	v_mov_b32_e32 v61, 0x7f800001
	s_xor_b32 exec_lo, exec_lo, s29
	s_cbranch_execz .LBB4_1163
.LBB4_1511:                             ;   in Loop: Header=BB4_130 Depth=2
	v_cmp_ne_u16_sdwa s40, v13, v52 src0_sel:BYTE_0 src1_sel:DWORD
	v_mov_b32_e32 v61, 0
	s_andn2_b32 s13, s13, exec_lo
	s_and_b32 s40, s40, exec_lo
	s_or_b32 s13, s13, s40
	s_or_b32 exec_lo, exec_lo, s29
	s_and_saveexec_b32 s29, s13
	s_cbranch_execnz .LBB4_1164
	s_branch .LBB4_1165
.LBB4_1512:                             ;   in Loop: Header=BB4_130 Depth=2
	s_or_saveexec_b32 s29, s29
	v_mov_b32_e32 v61, 0x7f800001
	s_xor_b32 exec_lo, exec_lo, s29
	s_cbranch_execz .LBB4_1179
.LBB4_1513:                             ;   in Loop: Header=BB4_130 Depth=2
	v_cmp_ne_u16_sdwa s40, v17, v52 src0_sel:BYTE_1 src1_sel:DWORD
	v_mov_b32_e32 v61, 0
	s_andn2_b32 s13, s13, exec_lo
	s_and_b32 s40, s40, exec_lo
	s_or_b32 s13, s13, s40
	s_or_b32 exec_lo, exec_lo, s29
	s_and_saveexec_b32 s29, s13
	s_cbranch_execnz .LBB4_1180
	s_branch .LBB4_1181
.LBB4_1514:                             ;   in Loop: Header=BB4_130 Depth=2
	s_or_saveexec_b32 s29, s29
	v_mov_b32_e32 v62, 0x7f800001
	s_xor_b32 exec_lo, exec_lo, s29
	s_cbranch_execz .LBB4_1185
.LBB4_1515:                             ;   in Loop: Header=BB4_130 Depth=2
	v_cmp_ne_u16_sdwa s40, v13, v52 src0_sel:BYTE_1 src1_sel:DWORD
	v_mov_b32_e32 v62, 0
	s_andn2_b32 s13, s13, exec_lo
	s_and_b32 s40, s40, exec_lo
	s_or_b32 s13, s13, s40
	s_or_b32 exec_lo, exec_lo, s29
	s_and_saveexec_b32 s29, s13
	s_cbranch_execnz .LBB4_1186
	s_branch .LBB4_1187
.LBB4_1516:                             ;   in Loop: Header=BB4_130 Depth=2
	s_or_saveexec_b32 s29, s29
	v_mov_b32_e32 v61, 0x7f800001
	s_xor_b32 exec_lo, exec_lo, s29
	s_cbranch_execz .LBB4_1193
.LBB4_1517:                             ;   in Loop: Header=BB4_130 Depth=2
	v_cmp_ne_u16_sdwa s40, v17, v52 src0_sel:BYTE_1 src1_sel:DWORD
	v_mov_b32_e32 v61, 0
	s_andn2_b32 s13, s13, exec_lo
	s_and_b32 s40, s40, exec_lo
	s_or_b32 s13, s13, s40
	s_or_b32 exec_lo, exec_lo, s29
	s_and_saveexec_b32 s29, s13
	s_cbranch_execnz .LBB4_1194
	s_branch .LBB4_1195
.LBB4_1518:                             ;   in Loop: Header=BB4_130 Depth=2
	s_or_saveexec_b32 s29, s29
	v_mov_b32_e32 v62, 0x7f800001
	s_xor_b32 exec_lo, exec_lo, s29
	s_cbranch_execz .LBB4_1199
.LBB4_1519:                             ;   in Loop: Header=BB4_130 Depth=2
	v_cmp_ne_u16_sdwa s40, v13, v52 src0_sel:BYTE_1 src1_sel:DWORD
	v_mov_b32_e32 v62, 0
	s_andn2_b32 s13, s13, exec_lo
	s_and_b32 s40, s40, exec_lo
	s_or_b32 s13, s13, s40
	s_or_b32 exec_lo, exec_lo, s29
	s_and_saveexec_b32 s29, s13
	s_cbranch_execnz .LBB4_1200
	s_branch .LBB4_1201
.LBB4_1520:                             ;   in Loop: Header=BB4_130 Depth=2
	s_or_saveexec_b32 s13, s13
	v_mov_b32_e32 v63, 0x7f800001
	s_xor_b32 exec_lo, exec_lo, s13
	s_cbranch_execz .LBB4_1215
.LBB4_1521:                             ;   in Loop: Header=BB4_130 Depth=2
	v_cmp_ne_u16_e32 vcc_lo, 0, v62
	v_mov_b32_e32 v63, 0
	s_andn2_b32 s29, s29, exec_lo
	s_and_b32 s40, vcc_lo, exec_lo
	s_or_b32 s29, s29, s40
	s_or_b32 exec_lo, exec_lo, s13
	s_and_saveexec_b32 s13, s29
	s_cbranch_execnz .LBB4_1216
	s_branch .LBB4_1217
.LBB4_1522:                             ;   in Loop: Header=BB4_130 Depth=2
	s_or_saveexec_b32 s29, s29
	v_mov_b32_e32 v72, 0x7f800001
	s_xor_b32 exec_lo, exec_lo, s29
	s_cbranch_execz .LBB4_1221
.LBB4_1523:                             ;   in Loop: Header=BB4_130 Depth=2
	v_cmp_ne_u16_e32 vcc_lo, 0, v73
	v_mov_b32_e32 v72, 0
	s_andn2_b32 s13, s13, exec_lo
	s_and_b32 s40, vcc_lo, exec_lo
	s_or_b32 s13, s13, s40
	s_or_b32 exec_lo, exec_lo, s29
	s_and_saveexec_b32 s29, s13
	s_cbranch_execnz .LBB4_1222
	s_branch .LBB4_1223
.LBB4_1524:                             ;   in Loop: Header=BB4_130 Depth=2
	s_or_saveexec_b32 s29, s29
	v_mov_b32_e32 v63, 0x7f800001
	s_xor_b32 exec_lo, exec_lo, s29
	s_cbranch_execz .LBB4_1229
.LBB4_1525:                             ;   in Loop: Header=BB4_130 Depth=2
	v_cmp_ne_u16_e32 vcc_lo, 0, v62
	v_mov_b32_e32 v63, 0
	s_andn2_b32 s13, s13, exec_lo
	s_and_b32 s40, vcc_lo, exec_lo
	s_or_b32 s13, s13, s40
	s_or_b32 exec_lo, exec_lo, s29
	s_and_saveexec_b32 s29, s13
	s_cbranch_execnz .LBB4_1230
	s_branch .LBB4_1231
.LBB4_1526:                             ;   in Loop: Header=BB4_130 Depth=2
	s_or_saveexec_b32 s29, s29
	v_mov_b32_e32 v62, 0x7f800001
	s_xor_b32 exec_lo, exec_lo, s29
	s_cbranch_execz .LBB4_1235
.LBB4_1527:                             ;   in Loop: Header=BB4_130 Depth=2
	v_cmp_ne_u16_e32 vcc_lo, 0, v72
	v_mov_b32_e32 v62, 0
	s_andn2_b32 s13, s13, exec_lo
	s_and_b32 s40, vcc_lo, exec_lo
	s_or_b32 s13, s13, s40
	s_or_b32 exec_lo, exec_lo, s29
	s_and_saveexec_b32 s29, s13
	s_cbranch_execnz .LBB4_1236
	s_branch .LBB4_1237
.LBB4_1528:                             ;   in Loop: Header=BB4_130 Depth=2
	s_or_saveexec_b32 s29, s29
	v_mov_b32_e32 v63, 0x7f800001
	s_xor_b32 exec_lo, exec_lo, s29
	s_cbranch_execz .LBB4_1251
.LBB4_1529:                             ;   in Loop: Header=BB4_130 Depth=2
	v_cmp_ne_u16_sdwa s40, v17, v52 src0_sel:BYTE_3 src1_sel:DWORD
	v_mov_b32_e32 v63, 0
	s_andn2_b32 s13, s13, exec_lo
	s_and_b32 s40, s40, exec_lo
	s_or_b32 s13, s13, s40
	s_or_b32 exec_lo, exec_lo, s29
	s_and_saveexec_b32 s29, s13
	s_cbranch_execnz .LBB4_1252
	s_branch .LBB4_1253
.LBB4_1530:                             ;   in Loop: Header=BB4_130 Depth=2
	s_or_saveexec_b32 s29, s29
	v_mov_b32_e32 v72, 0x7f800001
	s_xor_b32 exec_lo, exec_lo, s29
	s_cbranch_execz .LBB4_1257
.LBB4_1531:                             ;   in Loop: Header=BB4_130 Depth=2
	v_cmp_ne_u16_sdwa s40, v13, v52 src0_sel:BYTE_3 src1_sel:DWORD
	v_mov_b32_e32 v72, 0
	s_andn2_b32 s13, s13, exec_lo
	s_and_b32 s40, s40, exec_lo
	s_or_b32 s13, s13, s40
	s_or_b32 exec_lo, exec_lo, s29
	s_and_saveexec_b32 s29, s13
	s_cbranch_execnz .LBB4_1258
	s_branch .LBB4_1259
.LBB4_1532:                             ;   in Loop: Header=BB4_130 Depth=2
	s_or_saveexec_b32 s29, s29
	v_mov_b32_e32 v63, 0x7f800001
	s_xor_b32 exec_lo, exec_lo, s29
	s_cbranch_execz .LBB4_1265
.LBB4_1533:                             ;   in Loop: Header=BB4_130 Depth=2
	v_cmp_ne_u16_sdwa s40, v17, v52 src0_sel:BYTE_3 src1_sel:DWORD
	v_mov_b32_e32 v63, 0
	s_andn2_b32 s13, s13, exec_lo
	s_and_b32 s40, s40, exec_lo
	s_or_b32 s13, s13, s40
	s_or_b32 exec_lo, exec_lo, s29
	s_and_saveexec_b32 s29, s13
	s_cbranch_execnz .LBB4_1266
	s_branch .LBB4_1267
.LBB4_1534:                             ;   in Loop: Header=BB4_130 Depth=2
	s_or_saveexec_b32 s29, s29
	v_mov_b32_e32 v17, 0x7f800001
	s_xor_b32 exec_lo, exec_lo, s29
	s_cbranch_execz .LBB4_1271
.LBB4_1535:                             ;   in Loop: Header=BB4_130 Depth=2
	v_cmp_ne_u16_sdwa s40, v13, v52 src0_sel:BYTE_3 src1_sel:DWORD
	v_mov_b32_e32 v17, 0
	s_andn2_b32 s13, s13, exec_lo
	s_and_b32 s40, s40, exec_lo
	s_or_b32 s13, s13, s40
	s_or_b32 exec_lo, exec_lo, s29
	s_and_saveexec_b32 s29, s13
	s_cbranch_execnz .LBB4_1272
	s_branch .LBB4_1273
.LBB4_1536:                             ;   in Loop: Header=BB4_49 Depth=1
	s_or_b32 exec_lo, exec_lo, s27
.LBB4_1537:                             ;   in Loop: Header=BB4_49 Depth=1
	s_or_b32 exec_lo, exec_lo, s14
	v_and_b32_e32 v10, 0x3ffffc00, v53
	v_mov_b32_e32 v16, 0
	s_mov_b32 s13, 0
	s_mov_b32 s27, exec_lo
                                        ; implicit-def: $vgpr17
                                        ; implicit-def: $vgpr18
	v_cmpx_ne_u32_e64 v53, v10
	s_cbranch_execz .LBB4_2247
; %bb.1538:                             ;   in Loop: Header=BB4_49 Depth=1
	v_lshlrev_b32_e32 v11, 5, v117
	v_and_b32_e32 v25, 0x1ff, v53
	v_bfe_u32 v14, v53, 9, 1
	s_mov_b32 s28, exec_lo
	v_sub_nc_u32_e32 v11, v96, v11
	v_cmp_lt_u32_e64 s13, 15, v25
	v_ashrrev_i32_e32 v12, 31, v11
	v_add_co_ci_u32_e64 v14, null, 0, v14, s13
	v_lshrrev_b32_e32 v12, 27, v12
	v_add_nc_u32_e32 v12, v11, v12
	v_and_b32_e32 v13, 0xffffffe0, v12
	v_ashrrev_i32_e32 v12, 5, v12
	v_sub_nc_u32_e32 v24, v11, v13
	v_and_b32_e32 v13, 0x3ff, v53
	v_sub_nc_u32_e32 v70, v14, v12
	v_lshlrev_b32_e32 v11, 4, v24
	v_lshl_add_u32 v11, v12, 9, v11
	v_sub_nc_u32_e32 v71, v13, v11
	v_cmpx_lt_i32_e32 15, v71
	s_cbranch_execz .LBB4_2246
; %bb.1539:                             ;   in Loop: Header=BB4_49 Depth=1
	s_trap 2
	ds_read_b64 v[12:13], v0
	v_add_nc_u32_e32 v10, v11, v10
	s_bitcmp1_b32 s26, 0
	s_mov_b32 s29, 0
	s_cselect_b32 s40, -1, 0
	v_ashrrev_i32_e32 v11, 31, v10
	v_add_co_u32 v18, vcc_lo, v10, v66
	v_add_co_ci_u32_e64 v19, null, v11, v67, vcc_lo
	s_waitcnt lgkmcnt(0)
	v_add_co_u32 v20, vcc_lo, v12, v10
	v_add_co_ci_u32_e64 v21, null, v13, v11, vcc_lo
	v_add_co_u32 v22, vcc_lo, v10, v68
	v_add_co_ci_u32_e64 v23, null, v11, v69, vcc_lo
	s_branch .LBB4_1543
.LBB4_1540:                             ;   in Loop: Header=BB4_1543 Depth=2
	s_or_b32 exec_lo, exec_lo, s14
	v_lshrrev_b32_e32 v12, 21, v12
	v_min_i32_e32 v13, 31, v11
	v_cmp_gt_i32_e32 vcc_lo, 32, v11
	v_and_b32_sdwa v10, v10, v113 dst_sel:DWORD dst_unused:UNUSED_PAD src0_sel:BYTE_3 src1_sel:DWORD
	v_lshlrev_b32_e32 v13, 2, v13
	v_cndmask_b32_e32 v12, 3, v12, vcc_lo
	v_and_b32_e32 v13, 0xfc, v13
	v_and_b32_e32 v17, 3, v12
	v_or_b32_e32 v11, v11, v12
	v_or3_b32 v10, v10, v13, v17
	v_cmp_ne_u32_e32 vcc_lo, 0, v11
	v_lshlrev_b32_e32 v10, 8, v10
	v_cndmask_b32_e32 v11, 0, v10, vcc_lo
.LBB4_1541:                             ;   in Loop: Header=BB4_1543 Depth=2
	s_or_b32 exec_lo, exec_lo, s42
.LBB4_1542:                             ;   in Loop: Header=BB4_1543 Depth=2
	s_or_b32 exec_lo, exec_lo, s41
	v_or_b32_sdwa v10, v15, v118 dst_sel:WORD_1 dst_unused:UNUSED_PAD src0_sel:DWORD src1_sel:DWORD
	v_or_b32_sdwa v12, v14, v82 dst_sel:WORD_1 dst_unused:UNUSED_PAD src0_sel:DWORD src1_sel:DWORD
	;; [unrolled: 1-line block ×4, first 2 shown]
	v_sub_nc_u32_e32 v71, v71, v100
	v_or3_b32 v11, v117, v83, v10
	v_or3_b32 v10, v81, v80, v12
	;; [unrolled: 1-line block ×4, first 2 shown]
	v_add_co_u32 v18, vcc_lo, v18, v100
	v_add_co_ci_u32_e64 v19, null, 0, v19, vcc_lo
	v_add_co_u32 v20, vcc_lo, v20, v100
	global_store_dwordx4 v[22:23], v[10:13], off glc slc
	v_add_co_ci_u32_e64 v21, null, 0, v21, vcc_lo
	v_cmp_gt_i32_e32 vcc_lo, 16, v71
	v_add_co_u32 v22, s14, v22, v100
	v_add_co_ci_u32_e64 v23, null, 0, v23, s14
	v_sub_nc_u32_e32 v70, v70, v97
	s_or_b32 s29, vcc_lo, s29
	s_andn2_b32 exec_lo, exec_lo, s29
	s_cbranch_execz .LBB4_2245
.LBB4_1543:                             ;   Parent Loop BB4_49 Depth=1
                                        ; =>  This Inner Loop Header: Depth=2
	global_load_dwordx4 v[10:13], v[20:21], off slc
	global_load_dwordx4 v[14:17], v[18:19], off slc
	s_mov_b32 s14, -1
	s_waitcnt vmcnt(1)
	v_and_b32_e32 v80, 3, v10
	v_bfe_u32 v83, v10, 2, 5
	v_lshlrev_b32_e32 v117, 24, v10
	s_waitcnt vmcnt(0)
	v_cmp_gt_i16_sdwa s41, v14, v112 src0_sel:BYTE_0 src1_sel:DWORD
	v_ffbh_u32_e32 v81, v80
	v_cmp_eq_u32_e32 vcc_lo, 0, v83
	v_min_u32_e32 v81, 32, v81
	v_subrev_nc_u32_e32 v82, 29, v81
	v_sub_nc_u32_e32 v81, 30, v81
	v_lshlrev_b32_e32 v82, v82, v10
	v_cndmask_b32_e32 v81, v83, v81, vcc_lo
	v_and_b32_e32 v82, 3, v82
	v_lshl_add_u32 v81, v81, 23, 0x37800000
	v_cndmask_b32_e32 v80, v80, v82, vcc_lo
	v_and_b32_e32 v82, 0x80000000, v117
	s_and_b32 vcc_lo, exec_lo, s40
	v_lshlrev_b32_e32 v80, 21, v80
	v_or3_b32 v80, v82, v81, v80
                                        ; implicit-def: $vgpr81
	s_cbranch_vccz .LBB4_1557
; %bb.1544:                             ;   in Loop: Header=BB4_1543 Depth=2
	s_mov_b32 s14, 0
	s_and_saveexec_b32 s42, s41
	s_xor_b32 s41, exec_lo, s42
	s_cbranch_execz .LBB4_2117
; %bb.1545:                             ;   in Loop: Header=BB4_1543 Depth=2
	v_cmp_eq_u16_sdwa s43, v14, v113 src0_sel:BYTE_0 src1_sel:DWORD
	s_mov_b32 s14, -1
	s_and_saveexec_b32 s42, s43
; %bb.1546:                             ;   in Loop: Header=BB4_1543 Depth=2
	s_xor_b32 s14, exec_lo, -1
; %bb.1547:                             ;   in Loop: Header=BB4_1543 Depth=2
	s_or_b32 exec_lo, exec_lo, s42
	s_and_b32 s14, s14, exec_lo
	s_or_saveexec_b32 s41, s41
	v_mov_b32_e32 v81, 0x7f800001
	s_xor_b32 exec_lo, exec_lo, s41
	s_cbranch_execnz .LBB4_2118
.LBB4_1548:                             ;   in Loop: Header=BB4_1543 Depth=2
	s_or_b32 exec_lo, exec_lo, s41
	s_and_saveexec_b32 s41, s14
	s_cbranch_execz .LBB4_1550
.LBB4_1549:                             ;   in Loop: Header=BB4_1543 Depth=2
	v_and_b32_e32 v81, 3, v14
	v_bfe_u32 v117, v14, 2, 5
	v_lshlrev_b32_e32 v118, 24, v14
	v_ffbh_u32_e32 v82, v81
	v_cmp_eq_u32_e32 vcc_lo, 0, v117
	v_min_u32_e32 v82, 32, v82
	v_subrev_nc_u32_e32 v83, 29, v82
	v_sub_nc_u32_e32 v82, 30, v82
	v_lshlrev_b32_e32 v83, v83, v14
	v_cndmask_b32_e32 v82, v117, v82, vcc_lo
	v_and_b32_e32 v83, 3, v83
	v_lshl_add_u32 v82, v82, 23, 0x37800000
	v_cndmask_b32_e32 v81, v81, v83, vcc_lo
	v_and_b32_e32 v83, 0x80000000, v118
	v_lshlrev_b32_e32 v81, 21, v81
	v_or3_b32 v81, v83, v82, v81
.LBB4_1550:                             ;   in Loop: Header=BB4_1543 Depth=2
	s_or_b32 exec_lo, exec_lo, s41
	v_cmp_gt_i16_sdwa s41, v10, v112 src0_sel:BYTE_0 src1_sel:DWORD
	s_mov_b32 s14, 0
	s_and_saveexec_b32 s42, s41
	s_xor_b32 s41, exec_lo, s42
	s_cbranch_execz .LBB4_2119
; %bb.1551:                             ;   in Loop: Header=BB4_1543 Depth=2
	v_cmp_eq_u16_sdwa s43, v10, v113 src0_sel:BYTE_0 src1_sel:DWORD
	s_mov_b32 s14, -1
	s_and_saveexec_b32 s42, s43
; %bb.1552:                             ;   in Loop: Header=BB4_1543 Depth=2
	s_xor_b32 s14, exec_lo, -1
; %bb.1553:                             ;   in Loop: Header=BB4_1543 Depth=2
	s_or_b32 exec_lo, exec_lo, s42
	s_and_b32 s14, s14, exec_lo
	s_or_saveexec_b32 s41, s41
	v_mov_b32_e32 v82, 0x7f800001
	s_xor_b32 exec_lo, exec_lo, s41
	s_cbranch_execnz .LBB4_2120
.LBB4_1554:                             ;   in Loop: Header=BB4_1543 Depth=2
	s_or_b32 exec_lo, exec_lo, s41
	s_and_saveexec_b32 s41, s14
.LBB4_1555:                             ;   in Loop: Header=BB4_1543 Depth=2
	v_mov_b32_e32 v82, v80
.LBB4_1556:                             ;   in Loop: Header=BB4_1543 Depth=2
	s_or_b32 exec_lo, exec_lo, s41
	v_max_f32_e32 v82, v82, v82
	v_max_f32_e32 v81, v81, v81
	s_mov_b32 s14, 0
	v_max_f32_e32 v81, v81, v82
.LBB4_1557:                             ;   in Loop: Header=BB4_1543 Depth=2
	s_and_b32 vcc_lo, exec_lo, s14
	s_cbranch_vccz .LBB4_1571
; %bb.1558:                             ;   in Loop: Header=BB4_1543 Depth=2
	v_cmp_gt_i16_sdwa s41, v14, v112 src0_sel:BYTE_0 src1_sel:DWORD
	s_mov_b32 s14, 0
	s_and_saveexec_b32 s42, s41
	s_xor_b32 s41, exec_lo, s42
	s_cbranch_execz .LBB4_2121
; %bb.1559:                             ;   in Loop: Header=BB4_1543 Depth=2
	v_cmp_eq_u16_sdwa s43, v14, v113 src0_sel:BYTE_0 src1_sel:DWORD
	s_mov_b32 s14, -1
	s_and_saveexec_b32 s42, s43
; %bb.1560:                             ;   in Loop: Header=BB4_1543 Depth=2
	s_xor_b32 s14, exec_lo, -1
; %bb.1561:                             ;   in Loop: Header=BB4_1543 Depth=2
	s_or_b32 exec_lo, exec_lo, s42
	s_and_b32 s14, s14, exec_lo
	s_or_saveexec_b32 s41, s41
	v_mov_b32_e32 v81, 0x7f800001
	s_xor_b32 exec_lo, exec_lo, s41
	s_cbranch_execnz .LBB4_2122
.LBB4_1562:                             ;   in Loop: Header=BB4_1543 Depth=2
	s_or_b32 exec_lo, exec_lo, s41
	s_and_saveexec_b32 s41, s14
	s_cbranch_execz .LBB4_1564
.LBB4_1563:                             ;   in Loop: Header=BB4_1543 Depth=2
	v_and_b32_e32 v81, 3, v14
	v_bfe_u32 v117, v14, 2, 5
	v_lshlrev_b32_e32 v118, 24, v14
	v_ffbh_u32_e32 v82, v81
	v_cmp_eq_u32_e32 vcc_lo, 0, v117
	v_min_u32_e32 v82, 32, v82
	v_subrev_nc_u32_e32 v83, 29, v82
	v_sub_nc_u32_e32 v82, 30, v82
	v_lshlrev_b32_e32 v83, v83, v14
	v_cndmask_b32_e32 v82, v117, v82, vcc_lo
	v_and_b32_e32 v83, 3, v83
	v_lshl_add_u32 v82, v82, 23, 0x37800000
	v_cndmask_b32_e32 v81, v81, v83, vcc_lo
	v_and_b32_e32 v83, 0x80000000, v118
	v_lshlrev_b32_e32 v81, 21, v81
	v_or3_b32 v81, v83, v82, v81
.LBB4_1564:                             ;   in Loop: Header=BB4_1543 Depth=2
	s_or_b32 exec_lo, exec_lo, s41
	v_cmp_gt_i16_sdwa s41, v10, v112 src0_sel:BYTE_0 src1_sel:DWORD
	s_mov_b32 s14, 0
	s_and_saveexec_b32 s42, s41
	s_xor_b32 s41, exec_lo, s42
	s_cbranch_execz .LBB4_2123
; %bb.1565:                             ;   in Loop: Header=BB4_1543 Depth=2
	v_cmp_eq_u16_sdwa s43, v10, v113 src0_sel:BYTE_0 src1_sel:DWORD
	s_mov_b32 s14, -1
	s_and_saveexec_b32 s42, s43
; %bb.1566:                             ;   in Loop: Header=BB4_1543 Depth=2
	s_xor_b32 s14, exec_lo, -1
; %bb.1567:                             ;   in Loop: Header=BB4_1543 Depth=2
	s_or_b32 exec_lo, exec_lo, s42
	s_and_b32 s14, s14, exec_lo
	s_or_saveexec_b32 s41, s41
	v_mov_b32_e32 v82, 0x7f800001
	s_xor_b32 exec_lo, exec_lo, s41
	s_cbranch_execnz .LBB4_2124
.LBB4_1568:                             ;   in Loop: Header=BB4_1543 Depth=2
	s_or_b32 exec_lo, exec_lo, s41
	s_and_saveexec_b32 s41, s14
.LBB4_1569:                             ;   in Loop: Header=BB4_1543 Depth=2
	v_mov_b32_e32 v82, v80
.LBB4_1570:                             ;   in Loop: Header=BB4_1543 Depth=2
	s_or_b32 exec_lo, exec_lo, s41
	v_max_f32_e32 v80, v82, v82
	v_max_f32_e32 v81, v81, v81
	v_min_f32_e32 v81, v81, v80
.LBB4_1571:                             ;   in Loop: Header=BB4_1543 Depth=2
	v_and_b32_e32 v80, 0x7f800000, v81
	v_cmp_ne_u32_e32 vcc_lo, 0x7f800000, v80
	v_mov_b32_e32 v80, 0x80
	s_and_saveexec_b32 s41, vcc_lo
	s_cbranch_execz .LBB4_1579
; %bb.1572:                             ;   in Loop: Header=BB4_1543 Depth=2
	v_mov_b32_e32 v80, 0
	s_mov_b32 s42, exec_lo
	v_cmpx_ne_u32_e32 0, v81
	s_cbranch_execz .LBB4_1578
; %bb.1573:                             ;   in Loop: Header=BB4_1543 Depth=2
	v_bfe_u32 v80, v81, 23, 8
	v_and_b32_e32 v82, 0x7fffff, v81
	v_sub_nc_u32_e32 v83, 0x70, v80
	v_cmp_gt_u32_e32 vcc_lo, 0x71, v80
	v_or_b32_e32 v117, 0x800000, v82
	v_cndmask_b32_e32 v83, 0, v83, vcc_lo
	v_cmp_eq_u32_e32 vcc_lo, 0, v80
	v_add_nc_u32_e32 v80, 0xffffff91, v80
	v_cndmask_b32_e64 v83, v83, 0x6f, vcc_lo
	v_cndmask_b32_e32 v82, v117, v82, vcc_lo
	v_cndmask_b32_e64 v80, v80, 0xffffff92, vcc_lo
	v_lshl_add_u32 v117, 0x200000, v83, -1
	v_lshrrev_b32_e32 v118, v83, v82
	v_lshlrev_b32_e64 v40, v83, 0x100000
	v_add_nc_u32_e32 v83, v83, v80
	v_and_b32_e32 v82, v117, v82
	v_bfe_u32 v119, v118, 21, 1
	v_cmp_eq_u32_e64 s14, v82, v40
	v_add_nc_u32_e32 v117, -1, v119
	v_cndmask_b32_e64 v82, 0, v117, s14
	v_lshrrev_b32_e32 v117, 23, v118
	s_mov_b32 s14, exec_lo
	v_add_nc_u32_e32 v82, v82, v118
	v_xor_b32_e32 v117, 1, v117
	v_and_b32_e32 v80, 0x1fffff, v82
	v_add_nc_u32_e32 v82, v80, v118
                                        ; implicit-def: $vgpr80
	v_cmpx_ne_u32_e64 v83, v117
	s_xor_b32 s14, exec_lo, s14
; %bb.1574:                             ;   in Loop: Header=BB4_1543 Depth=2
	v_cmp_lt_u32_e32 vcc_lo, 0xffffff, v82
	v_sub_nc_u32_e32 v80, v83, v117
	v_cndmask_b32_e64 v83, 0, 1, vcc_lo
	v_add_co_ci_u32_e64 v80, null, 0, v80, vcc_lo
	v_lshrrev_b32_e32 v82, v83, v82
; %bb.1575:                             ;   in Loop: Header=BB4_1543 Depth=2
	s_andn2_saveexec_b32 s14, s14
; %bb.1576:                             ;   in Loop: Header=BB4_1543 Depth=2
	v_bfe_u32 v80, v82, 23, 1
; %bb.1577:                             ;   in Loop: Header=BB4_1543 Depth=2
	s_or_b32 exec_lo, exec_lo, s14
	v_lshrrev_b32_e32 v82, 21, v82
	v_min_i32_e32 v83, 31, v80
	v_cmp_gt_i32_e32 vcc_lo, 32, v80
	v_and_b32_sdwa v81, v81, v113 dst_sel:DWORD dst_unused:UNUSED_PAD src0_sel:BYTE_3 src1_sel:DWORD
	v_lshlrev_b32_e32 v83, 2, v83
	v_cndmask_b32_e32 v82, 3, v82, vcc_lo
	v_and_b32_e32 v83, 0xfc, v83
	v_and_b32_e32 v117, 3, v82
	v_or_b32_e32 v80, v80, v82
	v_or3_b32 v81, v83, v81, v117
	v_cmp_ne_u32_e32 vcc_lo, 0, v80
	v_cndmask_b32_e32 v80, 0, v81, vcc_lo
.LBB4_1578:                             ;   in Loop: Header=BB4_1543 Depth=2
	s_or_b32 exec_lo, exec_lo, s42
.LBB4_1579:                             ;   in Loop: Header=BB4_1543 Depth=2
	s_or_b32 exec_lo, exec_lo, s41
	v_and_b32_sdwa v81, v114, v10 dst_sel:DWORD dst_unused:UNUSED_PAD src0_sel:DWORD src1_sel:BYTE_1
	v_cmp_gt_i16_sdwa s41, v14, v112 src0_sel:BYTE_1 src1_sel:DWORD
	s_mov_b32 s14, -1
	v_and_b32_e32 v82, 3, v81
	v_bfe_u32 v118, v81, 2, 5
	v_ffbh_u32_e32 v83, v82
	v_cmp_eq_u32_e32 vcc_lo, 0, v118
	v_min_u32_e32 v83, 32, v83
	v_subrev_nc_u32_e32 v117, 29, v83
	v_sub_nc_u32_e32 v83, 30, v83
	v_lshlrev_b32_e32 v81, v117, v81
	v_lshlrev_b32_sdwa v117, v116, v10 dst_sel:DWORD dst_unused:UNUSED_PAD src0_sel:DWORD src1_sel:BYTE_1
	v_cndmask_b32_e32 v83, v118, v83, vcc_lo
	v_and_b32_e32 v81, 3, v81
	v_lshl_add_u32 v83, v83, 23, 0x37800000
	v_cndmask_b32_e32 v81, v82, v81, vcc_lo
	v_and_b32_e32 v82, 0x80000000, v117
	s_and_b32 vcc_lo, exec_lo, s40
	v_lshlrev_b32_e32 v81, 21, v81
	v_or3_b32 v81, v82, v83, v81
                                        ; implicit-def: $vgpr82
	s_cbranch_vccz .LBB4_1593
; %bb.1580:                             ;   in Loop: Header=BB4_1543 Depth=2
	s_mov_b32 s14, 0
	s_and_saveexec_b32 s42, s41
	s_xor_b32 s41, exec_lo, s42
	s_cbranch_execz .LBB4_2125
; %bb.1581:                             ;   in Loop: Header=BB4_1543 Depth=2
	v_cmp_eq_u16_sdwa s43, v14, v113 src0_sel:BYTE_1 src1_sel:DWORD
	s_mov_b32 s14, -1
	s_and_saveexec_b32 s42, s43
; %bb.1582:                             ;   in Loop: Header=BB4_1543 Depth=2
	s_xor_b32 s14, exec_lo, -1
; %bb.1583:                             ;   in Loop: Header=BB4_1543 Depth=2
	s_or_b32 exec_lo, exec_lo, s42
	s_and_b32 s14, s14, exec_lo
	s_or_saveexec_b32 s41, s41
	v_mov_b32_e32 v82, 0x7f800001
	s_xor_b32 exec_lo, exec_lo, s41
	s_cbranch_execnz .LBB4_2126
.LBB4_1584:                             ;   in Loop: Header=BB4_1543 Depth=2
	s_or_b32 exec_lo, exec_lo, s41
	s_and_saveexec_b32 s41, s14
	s_cbranch_execz .LBB4_1586
.LBB4_1585:                             ;   in Loop: Header=BB4_1543 Depth=2
	v_and_b32_sdwa v82, v114, v14 dst_sel:DWORD dst_unused:UNUSED_PAD src0_sel:DWORD src1_sel:BYTE_1
	v_and_b32_e32 v83, 3, v82
	v_bfe_u32 v119, v82, 2, 5
	v_ffbh_u32_e32 v117, v83
	v_cmp_eq_u32_e32 vcc_lo, 0, v119
	v_min_u32_e32 v117, 32, v117
	v_subrev_nc_u32_e32 v118, 29, v117
	v_sub_nc_u32_e32 v117, 30, v117
	v_lshlrev_b32_e32 v82, v118, v82
	v_lshlrev_b32_e32 v118, 16, v14
	v_cndmask_b32_e32 v117, v119, v117, vcc_lo
	v_and_b32_e32 v82, 3, v82
	v_lshl_add_u32 v117, v117, 23, 0x37800000
	v_cndmask_b32_e32 v82, v83, v82, vcc_lo
	v_and_b32_e32 v83, 0x80000000, v118
	v_lshlrev_b32_e32 v82, 21, v82
	v_or3_b32 v82, v83, v117, v82
.LBB4_1586:                             ;   in Loop: Header=BB4_1543 Depth=2
	s_or_b32 exec_lo, exec_lo, s41
	v_cmp_gt_i16_sdwa s41, v10, v112 src0_sel:BYTE_1 src1_sel:DWORD
	s_mov_b32 s14, 0
	s_and_saveexec_b32 s42, s41
	s_xor_b32 s41, exec_lo, s42
	s_cbranch_execz .LBB4_2127
; %bb.1587:                             ;   in Loop: Header=BB4_1543 Depth=2
	v_cmp_eq_u16_sdwa s43, v10, v113 src0_sel:BYTE_1 src1_sel:DWORD
	s_mov_b32 s14, -1
	s_and_saveexec_b32 s42, s43
; %bb.1588:                             ;   in Loop: Header=BB4_1543 Depth=2
	s_xor_b32 s14, exec_lo, -1
; %bb.1589:                             ;   in Loop: Header=BB4_1543 Depth=2
	s_or_b32 exec_lo, exec_lo, s42
	s_and_b32 s14, s14, exec_lo
	s_or_saveexec_b32 s41, s41
	v_mov_b32_e32 v83, 0x7f800001
	s_xor_b32 exec_lo, exec_lo, s41
	s_cbranch_execnz .LBB4_2128
.LBB4_1590:                             ;   in Loop: Header=BB4_1543 Depth=2
	s_or_b32 exec_lo, exec_lo, s41
	s_and_saveexec_b32 s41, s14
.LBB4_1591:                             ;   in Loop: Header=BB4_1543 Depth=2
	v_mov_b32_e32 v83, v81
.LBB4_1592:                             ;   in Loop: Header=BB4_1543 Depth=2
	s_or_b32 exec_lo, exec_lo, s41
	v_max_f32_e32 v83, v83, v83
	v_max_f32_e32 v82, v82, v82
	s_mov_b32 s14, 0
	v_max_f32_e32 v82, v82, v83
.LBB4_1593:                             ;   in Loop: Header=BB4_1543 Depth=2
	s_and_b32 vcc_lo, exec_lo, s14
	s_cbranch_vccz .LBB4_1607
; %bb.1594:                             ;   in Loop: Header=BB4_1543 Depth=2
	v_cmp_gt_i16_sdwa s41, v14, v112 src0_sel:BYTE_1 src1_sel:DWORD
	s_mov_b32 s14, 0
	s_and_saveexec_b32 s42, s41
	s_xor_b32 s41, exec_lo, s42
	s_cbranch_execz .LBB4_2129
; %bb.1595:                             ;   in Loop: Header=BB4_1543 Depth=2
	v_cmp_eq_u16_sdwa s43, v14, v113 src0_sel:BYTE_1 src1_sel:DWORD
	s_mov_b32 s14, -1
	s_and_saveexec_b32 s42, s43
; %bb.1596:                             ;   in Loop: Header=BB4_1543 Depth=2
	s_xor_b32 s14, exec_lo, -1
; %bb.1597:                             ;   in Loop: Header=BB4_1543 Depth=2
	s_or_b32 exec_lo, exec_lo, s42
	s_and_b32 s14, s14, exec_lo
	s_or_saveexec_b32 s41, s41
	v_mov_b32_e32 v82, 0x7f800001
	s_xor_b32 exec_lo, exec_lo, s41
	s_cbranch_execnz .LBB4_2130
.LBB4_1598:                             ;   in Loop: Header=BB4_1543 Depth=2
	s_or_b32 exec_lo, exec_lo, s41
	s_and_saveexec_b32 s41, s14
	s_cbranch_execz .LBB4_1600
.LBB4_1599:                             ;   in Loop: Header=BB4_1543 Depth=2
	v_and_b32_sdwa v82, v114, v14 dst_sel:DWORD dst_unused:UNUSED_PAD src0_sel:DWORD src1_sel:BYTE_1
	v_and_b32_e32 v83, 3, v82
	v_bfe_u32 v119, v82, 2, 5
	v_ffbh_u32_e32 v117, v83
	v_cmp_eq_u32_e32 vcc_lo, 0, v119
	v_min_u32_e32 v117, 32, v117
	v_subrev_nc_u32_e32 v118, 29, v117
	v_sub_nc_u32_e32 v117, 30, v117
	v_lshlrev_b32_e32 v82, v118, v82
	v_lshlrev_b32_e32 v118, 16, v14
	v_cndmask_b32_e32 v117, v119, v117, vcc_lo
	v_and_b32_e32 v82, 3, v82
	v_lshl_add_u32 v117, v117, 23, 0x37800000
	v_cndmask_b32_e32 v82, v83, v82, vcc_lo
	v_and_b32_e32 v83, 0x80000000, v118
	v_lshlrev_b32_e32 v82, 21, v82
	v_or3_b32 v82, v83, v117, v82
.LBB4_1600:                             ;   in Loop: Header=BB4_1543 Depth=2
	s_or_b32 exec_lo, exec_lo, s41
	v_cmp_gt_i16_sdwa s41, v10, v112 src0_sel:BYTE_1 src1_sel:DWORD
	s_mov_b32 s14, 0
	s_and_saveexec_b32 s42, s41
	s_xor_b32 s41, exec_lo, s42
	s_cbranch_execz .LBB4_2131
; %bb.1601:                             ;   in Loop: Header=BB4_1543 Depth=2
	v_cmp_eq_u16_sdwa s43, v10, v113 src0_sel:BYTE_1 src1_sel:DWORD
	s_mov_b32 s14, -1
	s_and_saveexec_b32 s42, s43
; %bb.1602:                             ;   in Loop: Header=BB4_1543 Depth=2
	s_xor_b32 s14, exec_lo, -1
; %bb.1603:                             ;   in Loop: Header=BB4_1543 Depth=2
	s_or_b32 exec_lo, exec_lo, s42
	s_and_b32 s14, s14, exec_lo
	s_or_saveexec_b32 s41, s41
	v_mov_b32_e32 v83, 0x7f800001
	s_xor_b32 exec_lo, exec_lo, s41
	s_cbranch_execnz .LBB4_2132
.LBB4_1604:                             ;   in Loop: Header=BB4_1543 Depth=2
	s_or_b32 exec_lo, exec_lo, s41
	s_and_saveexec_b32 s41, s14
.LBB4_1605:                             ;   in Loop: Header=BB4_1543 Depth=2
	v_mov_b32_e32 v83, v81
.LBB4_1606:                             ;   in Loop: Header=BB4_1543 Depth=2
	s_or_b32 exec_lo, exec_lo, s41
	v_max_f32_e32 v81, v83, v83
	v_max_f32_e32 v82, v82, v82
	v_min_f32_e32 v82, v82, v81
.LBB4_1607:                             ;   in Loop: Header=BB4_1543 Depth=2
	v_and_b32_e32 v81, 0x7f800000, v82
	v_cmp_ne_u32_e32 vcc_lo, 0x7f800000, v81
	v_mov_b32_e32 v81, 0x8000
	s_and_saveexec_b32 s41, vcc_lo
	s_cbranch_execz .LBB4_1615
; %bb.1608:                             ;   in Loop: Header=BB4_1543 Depth=2
	v_mov_b32_e32 v81, 0
	s_mov_b32 s42, exec_lo
	v_cmpx_ne_u32_e32 0, v82
	s_cbranch_execz .LBB4_1614
; %bb.1609:                             ;   in Loop: Header=BB4_1543 Depth=2
	v_bfe_u32 v81, v82, 23, 8
	v_and_b32_e32 v83, 0x7fffff, v82
	v_sub_nc_u32_e32 v117, 0x70, v81
	v_cmp_gt_u32_e32 vcc_lo, 0x71, v81
	v_or_b32_e32 v118, 0x800000, v83
	v_cndmask_b32_e32 v117, 0, v117, vcc_lo
	v_cmp_eq_u32_e32 vcc_lo, 0, v81
	v_add_nc_u32_e32 v81, 0xffffff91, v81
	v_cndmask_b32_e64 v117, v117, 0x6f, vcc_lo
	v_cndmask_b32_e32 v83, v118, v83, vcc_lo
	v_cndmask_b32_e64 v81, v81, 0xffffff92, vcc_lo
	v_lshl_add_u32 v118, 0x200000, v117, -1
	v_lshrrev_b32_e32 v119, v117, v83
	v_lshlrev_b32_e64 v41, v117, 0x100000
	v_add_nc_u32_e32 v117, v117, v81
	v_and_b32_e32 v83, v118, v83
	v_bfe_u32 v40, v119, 21, 1
	v_cmp_eq_u32_e64 s14, v83, v41
	v_add_nc_u32_e32 v118, -1, v40
	v_cndmask_b32_e64 v83, 0, v118, s14
	v_lshrrev_b32_e32 v118, 23, v119
	s_mov_b32 s14, exec_lo
	v_add_nc_u32_e32 v83, v83, v119
	v_xor_b32_e32 v118, 1, v118
	v_and_b32_e32 v81, 0x1fffff, v83
	v_add_nc_u32_e32 v83, v81, v119
                                        ; implicit-def: $vgpr81
	v_cmpx_ne_u32_e64 v117, v118
	s_xor_b32 s14, exec_lo, s14
; %bb.1610:                             ;   in Loop: Header=BB4_1543 Depth=2
	v_cmp_lt_u32_e32 vcc_lo, 0xffffff, v83
	v_sub_nc_u32_e32 v81, v117, v118
	v_cndmask_b32_e64 v117, 0, 1, vcc_lo
	v_add_co_ci_u32_e64 v81, null, 0, v81, vcc_lo
	v_lshrrev_b32_e32 v83, v117, v83
; %bb.1611:                             ;   in Loop: Header=BB4_1543 Depth=2
	s_andn2_saveexec_b32 s14, s14
; %bb.1612:                             ;   in Loop: Header=BB4_1543 Depth=2
	v_bfe_u32 v81, v83, 23, 1
; %bb.1613:                             ;   in Loop: Header=BB4_1543 Depth=2
	s_or_b32 exec_lo, exec_lo, s14
	v_lshrrev_b32_e32 v83, 21, v83
	v_min_i32_e32 v117, 31, v81
	v_cmp_gt_i32_e32 vcc_lo, 32, v81
	v_and_b32_sdwa v82, v82, v113 dst_sel:DWORD dst_unused:UNUSED_PAD src0_sel:BYTE_3 src1_sel:DWORD
	v_lshlrev_b32_e32 v117, 2, v117
	v_cndmask_b32_e32 v83, 3, v83, vcc_lo
	v_and_b32_e32 v117, 0xfc, v117
	v_and_b32_e32 v118, 3, v83
	v_or_b32_e32 v81, v81, v83
	v_or3_b32 v82, v82, v117, v118
	v_cmp_ne_u32_e32 vcc_lo, 0, v81
	v_lshlrev_b32_e32 v82, 8, v82
	v_cndmask_b32_e32 v81, 0, v82, vcc_lo
.LBB4_1614:                             ;   in Loop: Header=BB4_1543 Depth=2
	s_or_b32 exec_lo, exec_lo, s42
.LBB4_1615:                             ;   in Loop: Header=BB4_1543 Depth=2
	s_or_b32 exec_lo, exec_lo, s41
	v_bfe_u32 v82, v10, 16, 2
	v_bfe_u32 v118, v10, 18, 5
	v_lshlrev_b32_e32 v119, 8, v10
	s_mov_b32 s41, -1
	v_ffbh_u32_e32 v83, v82
	v_cmp_eq_u32_e32 vcc_lo, 0, v118
	v_min_u32_e32 v83, 32, v83
	v_subrev_nc_u32_e32 v117, 29, v83
	v_sub_nc_u32_e32 v83, 30, v83
	v_lshlrev_b32_sdwa v117, v117, v10 dst_sel:DWORD dst_unused:UNUSED_PAD src0_sel:DWORD src1_sel:WORD_1
	v_cndmask_b32_e32 v83, v118, v83, vcc_lo
	v_and_b32_e32 v117, 3, v117
	v_lshl_add_u32 v118, v83, 23, 0x37800000
	v_and_b32_sdwa v83, v14, v115 dst_sel:DWORD dst_unused:UNUSED_PAD src0_sel:WORD_1 src1_sel:DWORD
	v_cndmask_b32_e32 v82, v82, v117, vcc_lo
	v_and_b32_e32 v117, 0x80000000, v119
	v_cmp_lt_i16_e64 s14, 0x7f, v83
	s_and_b32 vcc_lo, exec_lo, s40
	v_lshlrev_b32_e32 v82, 21, v82
	v_or3_b32 v82, v117, v118, v82
                                        ; implicit-def: $vgpr117
	s_cbranch_vccz .LBB4_1629
; %bb.1616:                             ;   in Loop: Header=BB4_1543 Depth=2
	s_mov_b32 s41, 0
	s_and_saveexec_b32 s42, s14
	s_xor_b32 s14, exec_lo, s42
	s_cbranch_execz .LBB4_2133
; %bb.1617:                             ;   in Loop: Header=BB4_1543 Depth=2
	s_mov_b32 s41, -1
	s_mov_b32 s42, exec_lo
	v_cmpx_eq_u16_e32 0x80, v83
; %bb.1618:                             ;   in Loop: Header=BB4_1543 Depth=2
	s_xor_b32 s41, exec_lo, -1
; %bb.1619:                             ;   in Loop: Header=BB4_1543 Depth=2
	s_or_b32 exec_lo, exec_lo, s42
	s_and_b32 s41, s41, exec_lo
	s_or_saveexec_b32 s14, s14
	v_mov_b32_e32 v117, 0x7f800001
	s_xor_b32 exec_lo, exec_lo, s14
	s_cbranch_execnz .LBB4_2134
.LBB4_1620:                             ;   in Loop: Header=BB4_1543 Depth=2
	s_or_b32 exec_lo, exec_lo, s14
	s_and_saveexec_b32 s14, s41
	s_cbranch_execz .LBB4_1622
.LBB4_1621:                             ;   in Loop: Header=BB4_1543 Depth=2
	v_bfe_u32 v117, v14, 16, 2
	v_bfe_u32 v40, v14, 18, 5
	v_lshlrev_b32_sdwa v41, v116, v14 dst_sel:DWORD dst_unused:UNUSED_PAD src0_sel:DWORD src1_sel:WORD_1
	v_ffbh_u32_e32 v118, v117
	v_cmp_eq_u32_e32 vcc_lo, 0, v40
	v_min_u32_e32 v118, 32, v118
	v_subrev_nc_u32_e32 v119, 29, v118
	v_sub_nc_u32_e32 v118, 30, v118
	v_lshlrev_b32_sdwa v119, v119, v14 dst_sel:DWORD dst_unused:UNUSED_PAD src0_sel:DWORD src1_sel:WORD_1
	v_cndmask_b32_e32 v118, v40, v118, vcc_lo
	v_and_b32_e32 v119, 3, v119
	v_lshl_add_u32 v118, v118, 23, 0x37800000
	v_cndmask_b32_e32 v117, v117, v119, vcc_lo
	v_and_b32_e32 v119, 0x80000000, v41
	v_lshlrev_b32_e32 v117, 21, v117
	v_or3_b32 v117, v119, v118, v117
.LBB4_1622:                             ;   in Loop: Header=BB4_1543 Depth=2
	s_or_b32 exec_lo, exec_lo, s14
	v_and_b32_sdwa v119, v10, v115 dst_sel:DWORD dst_unused:UNUSED_PAD src0_sel:WORD_1 src1_sel:DWORD
	s_mov_b32 s14, 0
	s_mov_b32 s41, exec_lo
	v_cmpx_lt_i16_e32 0x7f, v119
	s_xor_b32 s41, exec_lo, s41
	s_cbranch_execz .LBB4_2135
; %bb.1623:                             ;   in Loop: Header=BB4_1543 Depth=2
	s_mov_b32 s14, -1
	s_mov_b32 s42, exec_lo
	v_cmpx_eq_u16_e32 0x80, v119
; %bb.1624:                             ;   in Loop: Header=BB4_1543 Depth=2
	s_xor_b32 s14, exec_lo, -1
; %bb.1625:                             ;   in Loop: Header=BB4_1543 Depth=2
	s_or_b32 exec_lo, exec_lo, s42
	s_and_b32 s14, s14, exec_lo
                                        ; implicit-def: $vgpr119
	s_or_saveexec_b32 s41, s41
	v_mov_b32_e32 v118, 0x7f800001
	s_xor_b32 exec_lo, exec_lo, s41
	s_cbranch_execnz .LBB4_2136
.LBB4_1626:                             ;   in Loop: Header=BB4_1543 Depth=2
	s_or_b32 exec_lo, exec_lo, s41
	s_and_saveexec_b32 s41, s14
.LBB4_1627:                             ;   in Loop: Header=BB4_1543 Depth=2
	v_mov_b32_e32 v118, v82
.LBB4_1628:                             ;   in Loop: Header=BB4_1543 Depth=2
	s_or_b32 exec_lo, exec_lo, s41
	v_max_f32_e32 v118, v118, v118
	v_max_f32_e32 v117, v117, v117
	s_mov_b32 s41, 0
	v_max_f32_e32 v117, v117, v118
.LBB4_1629:                             ;   in Loop: Header=BB4_1543 Depth=2
	s_and_b32 vcc_lo, exec_lo, s41
	s_cbranch_vccz .LBB4_1643
; %bb.1630:                             ;   in Loop: Header=BB4_1543 Depth=2
	s_mov_b32 s14, 0
	s_mov_b32 s41, exec_lo
	v_cmpx_lt_i16_e32 0x7f, v83
	s_xor_b32 s41, exec_lo, s41
	s_cbranch_execz .LBB4_2137
; %bb.1631:                             ;   in Loop: Header=BB4_1543 Depth=2
	s_mov_b32 s14, -1
	s_mov_b32 s42, exec_lo
	v_cmpx_eq_u16_e32 0x80, v83
; %bb.1632:                             ;   in Loop: Header=BB4_1543 Depth=2
	s_xor_b32 s14, exec_lo, -1
; %bb.1633:                             ;   in Loop: Header=BB4_1543 Depth=2
	s_or_b32 exec_lo, exec_lo, s42
	s_and_b32 s14, s14, exec_lo
                                        ; implicit-def: $vgpr83
	s_or_saveexec_b32 s41, s41
	v_mov_b32_e32 v117, 0x7f800001
	s_xor_b32 exec_lo, exec_lo, s41
	s_cbranch_execnz .LBB4_2138
.LBB4_1634:                             ;   in Loop: Header=BB4_1543 Depth=2
	s_or_b32 exec_lo, exec_lo, s41
	s_and_saveexec_b32 s41, s14
	s_cbranch_execz .LBB4_1636
.LBB4_1635:                             ;   in Loop: Header=BB4_1543 Depth=2
	v_bfe_u32 v83, v14, 16, 2
	v_bfe_u32 v119, v14, 18, 5
	v_lshlrev_b32_sdwa v40, v116, v14 dst_sel:DWORD dst_unused:UNUSED_PAD src0_sel:DWORD src1_sel:WORD_1
	v_ffbh_u32_e32 v117, v83
	v_cmp_eq_u32_e32 vcc_lo, 0, v119
	v_min_u32_e32 v117, 32, v117
	v_subrev_nc_u32_e32 v118, 29, v117
	v_sub_nc_u32_e32 v117, 30, v117
	v_lshlrev_b32_sdwa v118, v118, v14 dst_sel:DWORD dst_unused:UNUSED_PAD src0_sel:DWORD src1_sel:WORD_1
	v_cndmask_b32_e32 v117, v119, v117, vcc_lo
	v_and_b32_e32 v118, 3, v118
	v_lshl_add_u32 v117, v117, 23, 0x37800000
	v_cndmask_b32_e32 v83, v83, v118, vcc_lo
	v_and_b32_e32 v118, 0x80000000, v40
	v_lshlrev_b32_e32 v83, 21, v83
	v_or3_b32 v117, v118, v117, v83
.LBB4_1636:                             ;   in Loop: Header=BB4_1543 Depth=2
	s_or_b32 exec_lo, exec_lo, s41
	v_and_b32_sdwa v118, v10, v115 dst_sel:DWORD dst_unused:UNUSED_PAD src0_sel:WORD_1 src1_sel:DWORD
	s_mov_b32 s14, 0
	s_mov_b32 s41, exec_lo
	v_cmpx_lt_i16_e32 0x7f, v118
	s_xor_b32 s41, exec_lo, s41
	s_cbranch_execz .LBB4_2139
; %bb.1637:                             ;   in Loop: Header=BB4_1543 Depth=2
	s_mov_b32 s14, -1
	s_mov_b32 s42, exec_lo
	v_cmpx_eq_u16_e32 0x80, v118
; %bb.1638:                             ;   in Loop: Header=BB4_1543 Depth=2
	s_xor_b32 s14, exec_lo, -1
; %bb.1639:                             ;   in Loop: Header=BB4_1543 Depth=2
	s_or_b32 exec_lo, exec_lo, s42
	s_and_b32 s14, s14, exec_lo
                                        ; implicit-def: $vgpr118
	s_or_saveexec_b32 s41, s41
	v_mov_b32_e32 v83, 0x7f800001
	s_xor_b32 exec_lo, exec_lo, s41
	s_cbranch_execnz .LBB4_2140
.LBB4_1640:                             ;   in Loop: Header=BB4_1543 Depth=2
	s_or_b32 exec_lo, exec_lo, s41
	s_and_saveexec_b32 s41, s14
.LBB4_1641:                             ;   in Loop: Header=BB4_1543 Depth=2
	v_mov_b32_e32 v83, v82
.LBB4_1642:                             ;   in Loop: Header=BB4_1543 Depth=2
	s_or_b32 exec_lo, exec_lo, s41
	v_max_f32_e32 v82, v83, v83
	v_max_f32_e32 v83, v117, v117
	v_min_f32_e32 v117, v83, v82
.LBB4_1643:                             ;   in Loop: Header=BB4_1543 Depth=2
	v_and_b32_e32 v82, 0x7f800000, v117
	v_cmp_ne_u32_e32 vcc_lo, 0x7f800000, v82
	v_mov_b32_e32 v82, 0x80
	s_and_saveexec_b32 s41, vcc_lo
	s_cbranch_execz .LBB4_1651
; %bb.1644:                             ;   in Loop: Header=BB4_1543 Depth=2
	v_mov_b32_e32 v82, 0
	s_mov_b32 s42, exec_lo
	v_cmpx_ne_u32_e32 0, v117
	s_cbranch_execz .LBB4_1650
; %bb.1645:                             ;   in Loop: Header=BB4_1543 Depth=2
	v_bfe_u32 v82, v117, 23, 8
	v_and_b32_e32 v83, 0x7fffff, v117
	v_sub_nc_u32_e32 v118, 0x70, v82
	v_cmp_gt_u32_e32 vcc_lo, 0x71, v82
	v_or_b32_e32 v119, 0x800000, v83
	v_cndmask_b32_e32 v118, 0, v118, vcc_lo
	v_cmp_eq_u32_e32 vcc_lo, 0, v82
	v_add_nc_u32_e32 v82, 0xffffff91, v82
	v_cndmask_b32_e64 v118, v118, 0x6f, vcc_lo
	v_cndmask_b32_e32 v83, v119, v83, vcc_lo
	v_cndmask_b32_e64 v82, v82, 0xffffff92, vcc_lo
	v_lshl_add_u32 v119, 0x200000, v118, -1
	v_lshrrev_b32_e32 v40, v118, v83
	v_lshlrev_b32_e64 v42, v118, 0x100000
	v_add_nc_u32_e32 v118, v118, v82
	v_and_b32_e32 v83, v119, v83
	v_bfe_u32 v41, v40, 21, 1
	v_cmp_eq_u32_e64 s14, v83, v42
	v_add_nc_u32_e32 v119, -1, v41
	v_cndmask_b32_e64 v83, 0, v119, s14
	v_lshrrev_b32_e32 v119, 23, v40
	s_mov_b32 s14, exec_lo
	v_add_nc_u32_e32 v83, v83, v40
	v_xor_b32_e32 v119, 1, v119
	v_and_b32_e32 v82, 0x1fffff, v83
	v_add_nc_u32_e32 v83, v82, v40
                                        ; implicit-def: $vgpr82
	v_cmpx_ne_u32_e64 v118, v119
	s_xor_b32 s14, exec_lo, s14
; %bb.1646:                             ;   in Loop: Header=BB4_1543 Depth=2
	v_cmp_lt_u32_e32 vcc_lo, 0xffffff, v83
	v_sub_nc_u32_e32 v82, v118, v119
	v_cndmask_b32_e64 v118, 0, 1, vcc_lo
	v_add_co_ci_u32_e64 v82, null, 0, v82, vcc_lo
	v_lshrrev_b32_e32 v83, v118, v83
; %bb.1647:                             ;   in Loop: Header=BB4_1543 Depth=2
	s_andn2_saveexec_b32 s14, s14
; %bb.1648:                             ;   in Loop: Header=BB4_1543 Depth=2
	v_bfe_u32 v82, v83, 23, 1
; %bb.1649:                             ;   in Loop: Header=BB4_1543 Depth=2
	s_or_b32 exec_lo, exec_lo, s14
	v_lshrrev_b32_e32 v83, 21, v83
	v_min_i32_e32 v118, 31, v82
	v_cmp_gt_i32_e32 vcc_lo, 32, v82
	v_and_b32_sdwa v117, v117, v113 dst_sel:DWORD dst_unused:UNUSED_PAD src0_sel:BYTE_3 src1_sel:DWORD
	v_lshlrev_b32_e32 v118, 2, v118
	v_cndmask_b32_e32 v83, 3, v83, vcc_lo
	v_and_b32_e32 v118, 0xfc, v118
	v_and_b32_e32 v119, 3, v83
	v_or_b32_e32 v82, v82, v83
	v_or3_b32 v83, v118, v117, v119
	v_cmp_ne_u32_e32 vcc_lo, 0, v82
	v_cndmask_b32_e32 v82, 0, v83, vcc_lo
.LBB4_1650:                             ;   in Loop: Header=BB4_1543 Depth=2
	s_or_b32 exec_lo, exec_lo, s42
.LBB4_1651:                             ;   in Loop: Header=BB4_1543 Depth=2
	s_or_b32 exec_lo, exec_lo, s41
	v_bfe_u32 v83, v10, 24, 2
	v_bfe_u32 v119, v10, 26, 5
	v_cmp_gt_i16_sdwa s41, v14, v112 src0_sel:BYTE_3 src1_sel:DWORD
	s_mov_b32 s14, -1
	v_ffbh_u32_e32 v117, v83
	v_cmp_eq_u32_e32 vcc_lo, 0, v119
	v_min_u32_e32 v117, 32, v117
	v_subrev_nc_u32_e32 v118, 29, v117
	v_sub_nc_u32_e32 v117, 30, v117
	v_lshlrev_b32_sdwa v118, v118, v10 dst_sel:DWORD dst_unused:UNUSED_PAD src0_sel:DWORD src1_sel:BYTE_3
	v_cndmask_b32_e32 v117, v119, v117, vcc_lo
	v_and_b32_e32 v118, 3, v118
	v_lshl_add_u32 v117, v117, 23, 0x37800000
	v_cndmask_b32_e32 v83, v83, v118, vcc_lo
	v_and_b32_e32 v118, 0x80000000, v10
	s_and_b32 vcc_lo, exec_lo, s40
	v_lshlrev_b32_e32 v83, 21, v83
	v_or3_b32 v83, v118, v117, v83
                                        ; implicit-def: $vgpr117
	s_cbranch_vccz .LBB4_1665
; %bb.1652:                             ;   in Loop: Header=BB4_1543 Depth=2
	s_mov_b32 s14, 0
	s_and_saveexec_b32 s42, s41
	s_xor_b32 s41, exec_lo, s42
	s_cbranch_execz .LBB4_2141
; %bb.1653:                             ;   in Loop: Header=BB4_1543 Depth=2
	v_cmp_eq_u16_sdwa s43, v14, v113 src0_sel:BYTE_3 src1_sel:DWORD
	s_mov_b32 s14, -1
	s_and_saveexec_b32 s42, s43
; %bb.1654:                             ;   in Loop: Header=BB4_1543 Depth=2
	s_xor_b32 s14, exec_lo, -1
; %bb.1655:                             ;   in Loop: Header=BB4_1543 Depth=2
	s_or_b32 exec_lo, exec_lo, s42
	s_and_b32 s14, s14, exec_lo
	s_or_saveexec_b32 s41, s41
	v_mov_b32_e32 v117, 0x7f800001
	s_xor_b32 exec_lo, exec_lo, s41
	s_cbranch_execnz .LBB4_2142
.LBB4_1656:                             ;   in Loop: Header=BB4_1543 Depth=2
	s_or_b32 exec_lo, exec_lo, s41
	s_and_saveexec_b32 s41, s14
	s_cbranch_execz .LBB4_1658
.LBB4_1657:                             ;   in Loop: Header=BB4_1543 Depth=2
	v_bfe_u32 v117, v14, 24, 2
	v_bfe_u32 v40, v14, 26, 5
	v_ffbh_u32_e32 v118, v117
	v_cmp_eq_u32_e32 vcc_lo, 0, v40
	v_min_u32_e32 v118, 32, v118
	v_subrev_nc_u32_e32 v119, 29, v118
	v_sub_nc_u32_e32 v118, 30, v118
	v_lshlrev_b32_sdwa v119, v119, v14 dst_sel:DWORD dst_unused:UNUSED_PAD src0_sel:DWORD src1_sel:BYTE_3
	v_cndmask_b32_e32 v118, v40, v118, vcc_lo
	v_and_b32_e32 v119, 3, v119
	v_lshl_add_u32 v118, v118, 23, 0x37800000
	v_cndmask_b32_e32 v117, v117, v119, vcc_lo
	v_and_b32_e32 v119, 0x80000000, v14
	v_lshlrev_b32_e32 v117, 21, v117
	v_or3_b32 v117, v119, v118, v117
.LBB4_1658:                             ;   in Loop: Header=BB4_1543 Depth=2
	s_or_b32 exec_lo, exec_lo, s41
	v_cmp_gt_i16_sdwa s41, v10, v112 src0_sel:BYTE_3 src1_sel:DWORD
	s_mov_b32 s14, 0
	s_and_saveexec_b32 s42, s41
	s_xor_b32 s41, exec_lo, s42
	s_cbranch_execz .LBB4_2143
; %bb.1659:                             ;   in Loop: Header=BB4_1543 Depth=2
	v_cmp_eq_u16_sdwa s43, v10, v113 src0_sel:BYTE_3 src1_sel:DWORD
	s_mov_b32 s14, -1
	s_and_saveexec_b32 s42, s43
; %bb.1660:                             ;   in Loop: Header=BB4_1543 Depth=2
	s_xor_b32 s14, exec_lo, -1
; %bb.1661:                             ;   in Loop: Header=BB4_1543 Depth=2
	s_or_b32 exec_lo, exec_lo, s42
	s_and_b32 s14, s14, exec_lo
	s_or_saveexec_b32 s41, s41
	v_mov_b32_e32 v118, 0x7f800001
	s_xor_b32 exec_lo, exec_lo, s41
	s_cbranch_execnz .LBB4_2144
.LBB4_1662:                             ;   in Loop: Header=BB4_1543 Depth=2
	s_or_b32 exec_lo, exec_lo, s41
	s_and_saveexec_b32 s41, s14
.LBB4_1663:                             ;   in Loop: Header=BB4_1543 Depth=2
	v_mov_b32_e32 v118, v83
.LBB4_1664:                             ;   in Loop: Header=BB4_1543 Depth=2
	s_or_b32 exec_lo, exec_lo, s41
	v_max_f32_e32 v118, v118, v118
	v_max_f32_e32 v117, v117, v117
	s_mov_b32 s14, 0
	v_max_f32_e32 v117, v117, v118
.LBB4_1665:                             ;   in Loop: Header=BB4_1543 Depth=2
	s_and_b32 vcc_lo, exec_lo, s14
	s_cbranch_vccz .LBB4_1679
; %bb.1666:                             ;   in Loop: Header=BB4_1543 Depth=2
	v_cmp_gt_i16_sdwa s41, v14, v112 src0_sel:BYTE_3 src1_sel:DWORD
	s_mov_b32 s14, 0
	s_and_saveexec_b32 s42, s41
	s_xor_b32 s41, exec_lo, s42
	s_cbranch_execz .LBB4_2145
; %bb.1667:                             ;   in Loop: Header=BB4_1543 Depth=2
	v_cmp_eq_u16_sdwa s43, v14, v113 src0_sel:BYTE_3 src1_sel:DWORD
	s_mov_b32 s14, -1
	s_and_saveexec_b32 s42, s43
; %bb.1668:                             ;   in Loop: Header=BB4_1543 Depth=2
	s_xor_b32 s14, exec_lo, -1
; %bb.1669:                             ;   in Loop: Header=BB4_1543 Depth=2
	s_or_b32 exec_lo, exec_lo, s42
	s_and_b32 s14, s14, exec_lo
	s_or_saveexec_b32 s41, s41
	v_mov_b32_e32 v117, 0x7f800001
	s_xor_b32 exec_lo, exec_lo, s41
	s_cbranch_execnz .LBB4_2146
.LBB4_1670:                             ;   in Loop: Header=BB4_1543 Depth=2
	s_or_b32 exec_lo, exec_lo, s41
	s_and_saveexec_b32 s41, s14
	s_cbranch_execz .LBB4_1672
.LBB4_1671:                             ;   in Loop: Header=BB4_1543 Depth=2
	v_bfe_u32 v117, v14, 24, 2
	v_bfe_u32 v40, v14, 26, 5
	v_ffbh_u32_e32 v118, v117
	v_cmp_eq_u32_e32 vcc_lo, 0, v40
	v_min_u32_e32 v118, 32, v118
	v_subrev_nc_u32_e32 v119, 29, v118
	v_sub_nc_u32_e32 v118, 30, v118
	v_lshlrev_b32_sdwa v119, v119, v14 dst_sel:DWORD dst_unused:UNUSED_PAD src0_sel:DWORD src1_sel:BYTE_3
	v_cndmask_b32_e32 v118, v40, v118, vcc_lo
	v_and_b32_e32 v14, 0x80000000, v14
	v_and_b32_e32 v119, 3, v119
	v_lshl_add_u32 v118, v118, 23, 0x37800000
	v_cndmask_b32_e32 v117, v117, v119, vcc_lo
	v_lshlrev_b32_e32 v117, 21, v117
	v_or3_b32 v117, v14, v118, v117
.LBB4_1672:                             ;   in Loop: Header=BB4_1543 Depth=2
	s_or_b32 exec_lo, exec_lo, s41
	v_cmp_gt_i16_sdwa s41, v10, v112 src0_sel:BYTE_3 src1_sel:DWORD
	s_mov_b32 s14, 0
	s_and_saveexec_b32 s42, s41
	s_xor_b32 s41, exec_lo, s42
	s_cbranch_execz .LBB4_2147
; %bb.1673:                             ;   in Loop: Header=BB4_1543 Depth=2
	v_cmp_eq_u16_sdwa s43, v10, v113 src0_sel:BYTE_3 src1_sel:DWORD
	s_mov_b32 s14, -1
	s_and_saveexec_b32 s42, s43
; %bb.1674:                             ;   in Loop: Header=BB4_1543 Depth=2
	s_xor_b32 s14, exec_lo, -1
; %bb.1675:                             ;   in Loop: Header=BB4_1543 Depth=2
	s_or_b32 exec_lo, exec_lo, s42
	s_and_b32 s14, s14, exec_lo
	s_or_saveexec_b32 s41, s41
	v_mov_b32_e32 v14, 0x7f800001
	s_xor_b32 exec_lo, exec_lo, s41
	s_cbranch_execnz .LBB4_2148
.LBB4_1676:                             ;   in Loop: Header=BB4_1543 Depth=2
	s_or_b32 exec_lo, exec_lo, s41
	s_and_saveexec_b32 s41, s14
.LBB4_1677:                             ;   in Loop: Header=BB4_1543 Depth=2
	v_mov_b32_e32 v14, v83
.LBB4_1678:                             ;   in Loop: Header=BB4_1543 Depth=2
	s_or_b32 exec_lo, exec_lo, s41
	v_max_f32_e32 v10, v14, v14
	v_max_f32_e32 v14, v117, v117
	v_min_f32_e32 v117, v14, v10
.LBB4_1679:                             ;   in Loop: Header=BB4_1543 Depth=2
	v_and_b32_e32 v10, 0x7f800000, v117
	v_mov_b32_e32 v14, 0x8000
	s_mov_b32 s41, exec_lo
	v_cmpx_ne_u32_e32 0x7f800000, v10
	s_cbranch_execz .LBB4_1687
; %bb.1680:                             ;   in Loop: Header=BB4_1543 Depth=2
	v_mov_b32_e32 v14, 0
	s_mov_b32 s42, exec_lo
	v_cmpx_ne_u32_e32 0, v117
	s_cbranch_execz .LBB4_1686
; %bb.1681:                             ;   in Loop: Header=BB4_1543 Depth=2
	v_bfe_u32 v10, v117, 23, 8
	v_and_b32_e32 v14, 0x7fffff, v117
	v_sub_nc_u32_e32 v83, 0x70, v10
	v_cmp_gt_u32_e32 vcc_lo, 0x71, v10
	v_or_b32_e32 v118, 0x800000, v14
	v_cndmask_b32_e32 v83, 0, v83, vcc_lo
	v_cmp_eq_u32_e32 vcc_lo, 0, v10
	v_add_nc_u32_e32 v10, 0xffffff91, v10
	v_cndmask_b32_e64 v83, v83, 0x6f, vcc_lo
	v_cndmask_b32_e32 v14, v118, v14, vcc_lo
	v_cndmask_b32_e64 v10, v10, 0xffffff92, vcc_lo
	v_lshl_add_u32 v118, 0x200000, v83, -1
	v_lshrrev_b32_e32 v119, v83, v14
	v_lshlrev_b32_e64 v41, v83, 0x100000
	v_add_nc_u32_e32 v83, v83, v10
	v_and_b32_e32 v14, v118, v14
	v_bfe_u32 v40, v119, 21, 1
	v_cmp_eq_u32_e64 s14, v14, v41
	v_add_nc_u32_e32 v118, -1, v40
	v_cndmask_b32_e64 v14, 0, v118, s14
	v_lshrrev_b32_e32 v118, 23, v119
	s_mov_b32 s14, exec_lo
	v_add_nc_u32_e32 v14, v14, v119
	v_xor_b32_e32 v118, 1, v118
	v_and_b32_e32 v10, 0x1fffff, v14
	v_add_nc_u32_e32 v14, v10, v119
                                        ; implicit-def: $vgpr10
	v_cmpx_ne_u32_e64 v83, v118
	s_xor_b32 s14, exec_lo, s14
; %bb.1682:                             ;   in Loop: Header=BB4_1543 Depth=2
	v_cmp_lt_u32_e32 vcc_lo, 0xffffff, v14
	v_sub_nc_u32_e32 v10, v83, v118
	v_cndmask_b32_e64 v83, 0, 1, vcc_lo
	v_add_co_ci_u32_e64 v10, null, 0, v10, vcc_lo
	v_lshrrev_b32_e32 v14, v83, v14
; %bb.1683:                             ;   in Loop: Header=BB4_1543 Depth=2
	s_andn2_saveexec_b32 s14, s14
; %bb.1684:                             ;   in Loop: Header=BB4_1543 Depth=2
	v_bfe_u32 v10, v14, 23, 1
; %bb.1685:                             ;   in Loop: Header=BB4_1543 Depth=2
	s_or_b32 exec_lo, exec_lo, s14
	v_lshrrev_b32_e32 v14, 21, v14
	v_min_i32_e32 v83, 31, v10
	v_cmp_gt_i32_e32 vcc_lo, 32, v10
	v_and_b32_sdwa v117, v117, v113 dst_sel:DWORD dst_unused:UNUSED_PAD src0_sel:BYTE_3 src1_sel:DWORD
	v_lshlrev_b32_e32 v83, 2, v83
	v_cndmask_b32_e32 v14, 3, v14, vcc_lo
	v_and_b32_e32 v83, 0xfc, v83
	v_and_b32_e32 v118, 3, v14
	v_or_b32_e32 v10, v10, v14
	v_or3_b32 v83, v117, v83, v118
	v_cmp_ne_u32_e32 vcc_lo, 0, v10
	v_lshlrev_b32_e32 v14, 8, v83
	v_cndmask_b32_e32 v14, 0, v14, vcc_lo
.LBB4_1686:                             ;   in Loop: Header=BB4_1543 Depth=2
	s_or_b32 exec_lo, exec_lo, s42
.LBB4_1687:                             ;   in Loop: Header=BB4_1543 Depth=2
	s_or_b32 exec_lo, exec_lo, s41
	v_and_b32_e32 v10, 3, v11
	v_bfe_u32 v118, v11, 2, 5
	v_lshlrev_b32_e32 v119, 24, v11
	v_cmp_gt_i16_sdwa s41, v15, v112 src0_sel:BYTE_0 src1_sel:DWORD
	s_mov_b32 s14, -1
	v_ffbh_u32_e32 v83, v10
	v_cmp_eq_u32_e32 vcc_lo, 0, v118
	v_min_u32_e32 v83, 32, v83
	v_subrev_nc_u32_e32 v117, 29, v83
	v_sub_nc_u32_e32 v83, 30, v83
	v_lshlrev_b32_e32 v117, v117, v11
	v_cndmask_b32_e32 v83, v118, v83, vcc_lo
	v_and_b32_e32 v117, 3, v117
	v_lshl_add_u32 v83, v83, 23, 0x37800000
	v_cndmask_b32_e32 v10, v10, v117, vcc_lo
	v_and_b32_e32 v117, 0x80000000, v119
	s_and_b32 vcc_lo, exec_lo, s40
	v_lshlrev_b32_e32 v10, 21, v10
	v_or3_b32 v10, v117, v83, v10
                                        ; implicit-def: $vgpr117
	s_cbranch_vccz .LBB4_1701
; %bb.1688:                             ;   in Loop: Header=BB4_1543 Depth=2
	s_mov_b32 s14, 0
	s_and_saveexec_b32 s42, s41
	s_xor_b32 s41, exec_lo, s42
	s_cbranch_execz .LBB4_2149
; %bb.1689:                             ;   in Loop: Header=BB4_1543 Depth=2
	v_cmp_eq_u16_sdwa s43, v15, v113 src0_sel:BYTE_0 src1_sel:DWORD
	s_mov_b32 s14, -1
	s_and_saveexec_b32 s42, s43
; %bb.1690:                             ;   in Loop: Header=BB4_1543 Depth=2
	s_xor_b32 s14, exec_lo, -1
; %bb.1691:                             ;   in Loop: Header=BB4_1543 Depth=2
	s_or_b32 exec_lo, exec_lo, s42
	s_and_b32 s14, s14, exec_lo
	s_or_saveexec_b32 s41, s41
	v_mov_b32_e32 v83, 0x7f800001
	s_xor_b32 exec_lo, exec_lo, s41
	s_cbranch_execnz .LBB4_2150
.LBB4_1692:                             ;   in Loop: Header=BB4_1543 Depth=2
	s_or_b32 exec_lo, exec_lo, s41
	s_and_saveexec_b32 s41, s14
	s_cbranch_execz .LBB4_1694
.LBB4_1693:                             ;   in Loop: Header=BB4_1543 Depth=2
	v_and_b32_e32 v83, 3, v15
	v_bfe_u32 v119, v15, 2, 5
	v_lshlrev_b32_e32 v40, 24, v15
	v_ffbh_u32_e32 v117, v83
	v_cmp_eq_u32_e32 vcc_lo, 0, v119
	v_min_u32_e32 v117, 32, v117
	v_subrev_nc_u32_e32 v118, 29, v117
	v_sub_nc_u32_e32 v117, 30, v117
	v_lshlrev_b32_e32 v118, v118, v15
	v_cndmask_b32_e32 v117, v119, v117, vcc_lo
	v_and_b32_e32 v118, 3, v118
	v_lshl_add_u32 v117, v117, 23, 0x37800000
	v_cndmask_b32_e32 v83, v83, v118, vcc_lo
	v_and_b32_e32 v118, 0x80000000, v40
	v_lshlrev_b32_e32 v83, 21, v83
	v_or3_b32 v83, v118, v117, v83
.LBB4_1694:                             ;   in Loop: Header=BB4_1543 Depth=2
	s_or_b32 exec_lo, exec_lo, s41
	v_cmp_gt_i16_sdwa s41, v11, v112 src0_sel:BYTE_0 src1_sel:DWORD
	s_mov_b32 s14, 0
	s_and_saveexec_b32 s42, s41
	s_xor_b32 s41, exec_lo, s42
	s_cbranch_execz .LBB4_2151
; %bb.1695:                             ;   in Loop: Header=BB4_1543 Depth=2
	v_cmp_eq_u16_sdwa s43, v11, v113 src0_sel:BYTE_0 src1_sel:DWORD
	s_mov_b32 s14, -1
	s_and_saveexec_b32 s42, s43
; %bb.1696:                             ;   in Loop: Header=BB4_1543 Depth=2
	s_xor_b32 s14, exec_lo, -1
; %bb.1697:                             ;   in Loop: Header=BB4_1543 Depth=2
	s_or_b32 exec_lo, exec_lo, s42
	s_and_b32 s14, s14, exec_lo
	s_or_saveexec_b32 s41, s41
	v_mov_b32_e32 v117, 0x7f800001
	s_xor_b32 exec_lo, exec_lo, s41
	s_cbranch_execnz .LBB4_2152
.LBB4_1698:                             ;   in Loop: Header=BB4_1543 Depth=2
	s_or_b32 exec_lo, exec_lo, s41
	s_and_saveexec_b32 s41, s14
.LBB4_1699:                             ;   in Loop: Header=BB4_1543 Depth=2
	v_mov_b32_e32 v117, v10
.LBB4_1700:                             ;   in Loop: Header=BB4_1543 Depth=2
	s_or_b32 exec_lo, exec_lo, s41
	v_max_f32_e32 v117, v117, v117
	v_max_f32_e32 v83, v83, v83
	s_mov_b32 s14, 0
	v_max_f32_e32 v117, v83, v117
.LBB4_1701:                             ;   in Loop: Header=BB4_1543 Depth=2
	s_and_b32 vcc_lo, exec_lo, s14
	s_cbranch_vccz .LBB4_1715
; %bb.1702:                             ;   in Loop: Header=BB4_1543 Depth=2
	v_cmp_gt_i16_sdwa s41, v15, v112 src0_sel:BYTE_0 src1_sel:DWORD
	s_mov_b32 s14, 0
	s_and_saveexec_b32 s42, s41
	s_xor_b32 s41, exec_lo, s42
	s_cbranch_execz .LBB4_2153
; %bb.1703:                             ;   in Loop: Header=BB4_1543 Depth=2
	v_cmp_eq_u16_sdwa s43, v15, v113 src0_sel:BYTE_0 src1_sel:DWORD
	s_mov_b32 s14, -1
	s_and_saveexec_b32 s42, s43
; %bb.1704:                             ;   in Loop: Header=BB4_1543 Depth=2
	s_xor_b32 s14, exec_lo, -1
; %bb.1705:                             ;   in Loop: Header=BB4_1543 Depth=2
	s_or_b32 exec_lo, exec_lo, s42
	s_and_b32 s14, s14, exec_lo
	s_or_saveexec_b32 s41, s41
	v_mov_b32_e32 v83, 0x7f800001
	s_xor_b32 exec_lo, exec_lo, s41
	s_cbranch_execnz .LBB4_2154
.LBB4_1706:                             ;   in Loop: Header=BB4_1543 Depth=2
	s_or_b32 exec_lo, exec_lo, s41
	s_and_saveexec_b32 s41, s14
	s_cbranch_execz .LBB4_1708
.LBB4_1707:                             ;   in Loop: Header=BB4_1543 Depth=2
	v_and_b32_e32 v83, 3, v15
	v_bfe_u32 v119, v15, 2, 5
	v_lshlrev_b32_e32 v40, 24, v15
	v_ffbh_u32_e32 v117, v83
	v_cmp_eq_u32_e32 vcc_lo, 0, v119
	v_min_u32_e32 v117, 32, v117
	v_subrev_nc_u32_e32 v118, 29, v117
	v_sub_nc_u32_e32 v117, 30, v117
	v_lshlrev_b32_e32 v118, v118, v15
	v_cndmask_b32_e32 v117, v119, v117, vcc_lo
	v_and_b32_e32 v118, 3, v118
	v_lshl_add_u32 v117, v117, 23, 0x37800000
	v_cndmask_b32_e32 v83, v83, v118, vcc_lo
	v_and_b32_e32 v118, 0x80000000, v40
	v_lshlrev_b32_e32 v83, 21, v83
	v_or3_b32 v83, v118, v117, v83
.LBB4_1708:                             ;   in Loop: Header=BB4_1543 Depth=2
	s_or_b32 exec_lo, exec_lo, s41
	v_cmp_gt_i16_sdwa s41, v11, v112 src0_sel:BYTE_0 src1_sel:DWORD
	s_mov_b32 s14, 0
	s_and_saveexec_b32 s42, s41
	s_xor_b32 s41, exec_lo, s42
	s_cbranch_execz .LBB4_2155
; %bb.1709:                             ;   in Loop: Header=BB4_1543 Depth=2
	v_cmp_eq_u16_sdwa s43, v11, v113 src0_sel:BYTE_0 src1_sel:DWORD
	s_mov_b32 s14, -1
	s_and_saveexec_b32 s42, s43
; %bb.1710:                             ;   in Loop: Header=BB4_1543 Depth=2
	s_xor_b32 s14, exec_lo, -1
; %bb.1711:                             ;   in Loop: Header=BB4_1543 Depth=2
	s_or_b32 exec_lo, exec_lo, s42
	s_and_b32 s14, s14, exec_lo
	s_or_saveexec_b32 s41, s41
	v_mov_b32_e32 v117, 0x7f800001
	s_xor_b32 exec_lo, exec_lo, s41
	s_cbranch_execnz .LBB4_2156
.LBB4_1712:                             ;   in Loop: Header=BB4_1543 Depth=2
	s_or_b32 exec_lo, exec_lo, s41
	s_and_saveexec_b32 s41, s14
.LBB4_1713:                             ;   in Loop: Header=BB4_1543 Depth=2
	v_mov_b32_e32 v117, v10
.LBB4_1714:                             ;   in Loop: Header=BB4_1543 Depth=2
	s_or_b32 exec_lo, exec_lo, s41
	v_max_f32_e32 v10, v117, v117
	v_max_f32_e32 v83, v83, v83
	v_min_f32_e32 v117, v83, v10
.LBB4_1715:                             ;   in Loop: Header=BB4_1543 Depth=2
	v_and_b32_e32 v10, 0x7f800000, v117
	v_mov_b32_e32 v83, 0x80
	s_mov_b32 s41, exec_lo
	v_cmpx_ne_u32_e32 0x7f800000, v10
	s_cbranch_execz .LBB4_1723
; %bb.1716:                             ;   in Loop: Header=BB4_1543 Depth=2
	v_mov_b32_e32 v83, 0
	s_mov_b32 s42, exec_lo
	v_cmpx_ne_u32_e32 0, v117
	s_cbranch_execz .LBB4_1722
; %bb.1717:                             ;   in Loop: Header=BB4_1543 Depth=2
	v_bfe_u32 v10, v117, 23, 8
	v_and_b32_e32 v83, 0x7fffff, v117
	v_sub_nc_u32_e32 v118, 0x70, v10
	v_cmp_gt_u32_e32 vcc_lo, 0x71, v10
	v_or_b32_e32 v119, 0x800000, v83
	v_cndmask_b32_e32 v118, 0, v118, vcc_lo
	v_cmp_eq_u32_e32 vcc_lo, 0, v10
	v_add_nc_u32_e32 v10, 0xffffff91, v10
	v_cndmask_b32_e64 v118, v118, 0x6f, vcc_lo
	v_cndmask_b32_e32 v83, v119, v83, vcc_lo
	v_cndmask_b32_e64 v10, v10, 0xffffff92, vcc_lo
	v_lshl_add_u32 v119, 0x200000, v118, -1
	v_lshrrev_b32_e32 v40, v118, v83
	v_lshlrev_b32_e64 v42, v118, 0x100000
	v_add_nc_u32_e32 v118, v118, v10
	v_and_b32_e32 v83, v119, v83
	v_bfe_u32 v41, v40, 21, 1
	v_cmp_eq_u32_e64 s14, v83, v42
	v_add_nc_u32_e32 v119, -1, v41
	v_cndmask_b32_e64 v83, 0, v119, s14
	v_lshrrev_b32_e32 v119, 23, v40
	s_mov_b32 s14, exec_lo
	v_add_nc_u32_e32 v83, v83, v40
	v_xor_b32_e32 v119, 1, v119
	v_and_b32_e32 v10, 0x1fffff, v83
	v_add_nc_u32_e32 v83, v10, v40
                                        ; implicit-def: $vgpr10
	v_cmpx_ne_u32_e64 v118, v119
	s_xor_b32 s14, exec_lo, s14
; %bb.1718:                             ;   in Loop: Header=BB4_1543 Depth=2
	v_cmp_lt_u32_e32 vcc_lo, 0xffffff, v83
	v_sub_nc_u32_e32 v10, v118, v119
	v_cndmask_b32_e64 v118, 0, 1, vcc_lo
	v_add_co_ci_u32_e64 v10, null, 0, v10, vcc_lo
	v_lshrrev_b32_e32 v83, v118, v83
; %bb.1719:                             ;   in Loop: Header=BB4_1543 Depth=2
	s_andn2_saveexec_b32 s14, s14
; %bb.1720:                             ;   in Loop: Header=BB4_1543 Depth=2
	v_bfe_u32 v10, v83, 23, 1
; %bb.1721:                             ;   in Loop: Header=BB4_1543 Depth=2
	s_or_b32 exec_lo, exec_lo, s14
	v_lshrrev_b32_e32 v83, 21, v83
	v_min_i32_e32 v118, 31, v10
	v_cmp_gt_i32_e32 vcc_lo, 32, v10
	v_and_b32_sdwa v117, v117, v113 dst_sel:DWORD dst_unused:UNUSED_PAD src0_sel:BYTE_3 src1_sel:DWORD
	v_lshlrev_b32_e32 v118, 2, v118
	v_cndmask_b32_e32 v83, 3, v83, vcc_lo
	v_and_b32_e32 v118, 0xfc, v118
	v_and_b32_e32 v119, 3, v83
	v_or_b32_e32 v10, v10, v83
	v_or3_b32 v83, v118, v117, v119
	v_cmp_ne_u32_e32 vcc_lo, 0, v10
	v_cndmask_b32_e32 v83, 0, v83, vcc_lo
.LBB4_1722:                             ;   in Loop: Header=BB4_1543 Depth=2
	s_or_b32 exec_lo, exec_lo, s42
.LBB4_1723:                             ;   in Loop: Header=BB4_1543 Depth=2
	s_or_b32 exec_lo, exec_lo, s41
	v_and_b32_sdwa v10, v114, v11 dst_sel:DWORD dst_unused:UNUSED_PAD src0_sel:DWORD src1_sel:BYTE_1
	v_cmp_gt_i16_sdwa s41, v15, v112 src0_sel:BYTE_1 src1_sel:DWORD
	s_mov_b32 s14, -1
	v_and_b32_e32 v117, 3, v10
	v_bfe_u32 v40, v10, 2, 5
	v_ffbh_u32_e32 v118, v117
	v_cmp_eq_u32_e32 vcc_lo, 0, v40
	v_min_u32_e32 v118, 32, v118
	v_subrev_nc_u32_e32 v119, 29, v118
	v_sub_nc_u32_e32 v118, 30, v118
	v_lshlrev_b32_e32 v10, v119, v10
	v_lshlrev_b32_sdwa v119, v116, v11 dst_sel:DWORD dst_unused:UNUSED_PAD src0_sel:DWORD src1_sel:BYTE_1
	v_cndmask_b32_e32 v118, v40, v118, vcc_lo
	v_and_b32_e32 v10, 3, v10
	v_lshl_add_u32 v118, v118, 23, 0x37800000
	v_cndmask_b32_e32 v10, v117, v10, vcc_lo
	v_and_b32_e32 v117, 0x80000000, v119
	s_and_b32 vcc_lo, exec_lo, s40
	v_lshlrev_b32_e32 v10, 21, v10
	v_or3_b32 v10, v117, v118, v10
                                        ; implicit-def: $vgpr118
	s_cbranch_vccz .LBB4_1737
; %bb.1724:                             ;   in Loop: Header=BB4_1543 Depth=2
	s_mov_b32 s14, 0
	s_and_saveexec_b32 s42, s41
	s_xor_b32 s41, exec_lo, s42
	s_cbranch_execz .LBB4_2157
; %bb.1725:                             ;   in Loop: Header=BB4_1543 Depth=2
	v_cmp_eq_u16_sdwa s43, v15, v113 src0_sel:BYTE_1 src1_sel:DWORD
	s_mov_b32 s14, -1
	s_and_saveexec_b32 s42, s43
; %bb.1726:                             ;   in Loop: Header=BB4_1543 Depth=2
	s_xor_b32 s14, exec_lo, -1
; %bb.1727:                             ;   in Loop: Header=BB4_1543 Depth=2
	s_or_b32 exec_lo, exec_lo, s42
	s_and_b32 s14, s14, exec_lo
	s_or_saveexec_b32 s41, s41
	v_mov_b32_e32 v117, 0x7f800001
	s_xor_b32 exec_lo, exec_lo, s41
	s_cbranch_execnz .LBB4_2158
.LBB4_1728:                             ;   in Loop: Header=BB4_1543 Depth=2
	s_or_b32 exec_lo, exec_lo, s41
	s_and_saveexec_b32 s41, s14
	s_cbranch_execz .LBB4_1730
.LBB4_1729:                             ;   in Loop: Header=BB4_1543 Depth=2
	v_and_b32_sdwa v117, v114, v15 dst_sel:DWORD dst_unused:UNUSED_PAD src0_sel:DWORD src1_sel:BYTE_1
	v_and_b32_e32 v118, 3, v117
	v_bfe_u32 v41, v117, 2, 5
	v_ffbh_u32_e32 v119, v118
	v_cmp_eq_u32_e32 vcc_lo, 0, v41
	v_min_u32_e32 v119, 32, v119
	v_subrev_nc_u32_e32 v40, 29, v119
	v_sub_nc_u32_e32 v119, 30, v119
	v_lshlrev_b32_e32 v117, v40, v117
	v_lshlrev_b32_e32 v40, 16, v15
	v_cndmask_b32_e32 v119, v41, v119, vcc_lo
	v_and_b32_e32 v117, 3, v117
	v_lshl_add_u32 v119, v119, 23, 0x37800000
	v_cndmask_b32_e32 v117, v118, v117, vcc_lo
	v_and_b32_e32 v118, 0x80000000, v40
	v_lshlrev_b32_e32 v117, 21, v117
	v_or3_b32 v117, v118, v119, v117
.LBB4_1730:                             ;   in Loop: Header=BB4_1543 Depth=2
	s_or_b32 exec_lo, exec_lo, s41
	v_cmp_gt_i16_sdwa s41, v11, v112 src0_sel:BYTE_1 src1_sel:DWORD
	s_mov_b32 s14, 0
	s_and_saveexec_b32 s42, s41
	s_xor_b32 s41, exec_lo, s42
	s_cbranch_execz .LBB4_2159
; %bb.1731:                             ;   in Loop: Header=BB4_1543 Depth=2
	v_cmp_eq_u16_sdwa s43, v11, v113 src0_sel:BYTE_1 src1_sel:DWORD
	s_mov_b32 s14, -1
	s_and_saveexec_b32 s42, s43
; %bb.1732:                             ;   in Loop: Header=BB4_1543 Depth=2
	s_xor_b32 s14, exec_lo, -1
; %bb.1733:                             ;   in Loop: Header=BB4_1543 Depth=2
	s_or_b32 exec_lo, exec_lo, s42
	s_and_b32 s14, s14, exec_lo
	s_or_saveexec_b32 s41, s41
	v_mov_b32_e32 v118, 0x7f800001
	s_xor_b32 exec_lo, exec_lo, s41
	s_cbranch_execnz .LBB4_2160
.LBB4_1734:                             ;   in Loop: Header=BB4_1543 Depth=2
	s_or_b32 exec_lo, exec_lo, s41
	s_and_saveexec_b32 s41, s14
.LBB4_1735:                             ;   in Loop: Header=BB4_1543 Depth=2
	v_mov_b32_e32 v118, v10
.LBB4_1736:                             ;   in Loop: Header=BB4_1543 Depth=2
	s_or_b32 exec_lo, exec_lo, s41
	v_max_f32_e32 v118, v118, v118
	v_max_f32_e32 v117, v117, v117
	s_mov_b32 s14, 0
	v_max_f32_e32 v118, v117, v118
.LBB4_1737:                             ;   in Loop: Header=BB4_1543 Depth=2
	s_and_b32 vcc_lo, exec_lo, s14
	s_cbranch_vccz .LBB4_1751
; %bb.1738:                             ;   in Loop: Header=BB4_1543 Depth=2
	v_cmp_gt_i16_sdwa s41, v15, v112 src0_sel:BYTE_1 src1_sel:DWORD
	s_mov_b32 s14, 0
	s_and_saveexec_b32 s42, s41
	s_xor_b32 s41, exec_lo, s42
	s_cbranch_execz .LBB4_2161
; %bb.1739:                             ;   in Loop: Header=BB4_1543 Depth=2
	v_cmp_eq_u16_sdwa s43, v15, v113 src0_sel:BYTE_1 src1_sel:DWORD
	s_mov_b32 s14, -1
	s_and_saveexec_b32 s42, s43
; %bb.1740:                             ;   in Loop: Header=BB4_1543 Depth=2
	s_xor_b32 s14, exec_lo, -1
; %bb.1741:                             ;   in Loop: Header=BB4_1543 Depth=2
	s_or_b32 exec_lo, exec_lo, s42
	s_and_b32 s14, s14, exec_lo
	s_or_saveexec_b32 s41, s41
	v_mov_b32_e32 v117, 0x7f800001
	s_xor_b32 exec_lo, exec_lo, s41
	s_cbranch_execnz .LBB4_2162
.LBB4_1742:                             ;   in Loop: Header=BB4_1543 Depth=2
	s_or_b32 exec_lo, exec_lo, s41
	s_and_saveexec_b32 s41, s14
	s_cbranch_execz .LBB4_1744
.LBB4_1743:                             ;   in Loop: Header=BB4_1543 Depth=2
	v_and_b32_sdwa v117, v114, v15 dst_sel:DWORD dst_unused:UNUSED_PAD src0_sel:DWORD src1_sel:BYTE_1
	v_and_b32_e32 v118, 3, v117
	v_bfe_u32 v41, v117, 2, 5
	v_ffbh_u32_e32 v119, v118
	v_cmp_eq_u32_e32 vcc_lo, 0, v41
	v_min_u32_e32 v119, 32, v119
	v_subrev_nc_u32_e32 v40, 29, v119
	v_sub_nc_u32_e32 v119, 30, v119
	v_lshlrev_b32_e32 v117, v40, v117
	v_lshlrev_b32_e32 v40, 16, v15
	v_cndmask_b32_e32 v119, v41, v119, vcc_lo
	v_and_b32_e32 v117, 3, v117
	v_lshl_add_u32 v119, v119, 23, 0x37800000
	v_cndmask_b32_e32 v117, v118, v117, vcc_lo
	v_and_b32_e32 v118, 0x80000000, v40
	v_lshlrev_b32_e32 v117, 21, v117
	v_or3_b32 v117, v118, v119, v117
.LBB4_1744:                             ;   in Loop: Header=BB4_1543 Depth=2
	s_or_b32 exec_lo, exec_lo, s41
	v_cmp_gt_i16_sdwa s41, v11, v112 src0_sel:BYTE_1 src1_sel:DWORD
	s_mov_b32 s14, 0
	s_and_saveexec_b32 s42, s41
	s_xor_b32 s41, exec_lo, s42
	s_cbranch_execz .LBB4_2163
; %bb.1745:                             ;   in Loop: Header=BB4_1543 Depth=2
	v_cmp_eq_u16_sdwa s43, v11, v113 src0_sel:BYTE_1 src1_sel:DWORD
	s_mov_b32 s14, -1
	s_and_saveexec_b32 s42, s43
; %bb.1746:                             ;   in Loop: Header=BB4_1543 Depth=2
	s_xor_b32 s14, exec_lo, -1
; %bb.1747:                             ;   in Loop: Header=BB4_1543 Depth=2
	s_or_b32 exec_lo, exec_lo, s42
	s_and_b32 s14, s14, exec_lo
	s_or_saveexec_b32 s41, s41
	v_mov_b32_e32 v118, 0x7f800001
	s_xor_b32 exec_lo, exec_lo, s41
	s_cbranch_execnz .LBB4_2164
.LBB4_1748:                             ;   in Loop: Header=BB4_1543 Depth=2
	s_or_b32 exec_lo, exec_lo, s41
	s_and_saveexec_b32 s41, s14
.LBB4_1749:                             ;   in Loop: Header=BB4_1543 Depth=2
	v_mov_b32_e32 v118, v10
.LBB4_1750:                             ;   in Loop: Header=BB4_1543 Depth=2
	s_or_b32 exec_lo, exec_lo, s41
	v_max_f32_e32 v10, v118, v118
	v_max_f32_e32 v117, v117, v117
	v_min_f32_e32 v118, v117, v10
.LBB4_1751:                             ;   in Loop: Header=BB4_1543 Depth=2
	v_and_b32_e32 v10, 0x7f800000, v118
	v_mov_b32_e32 v117, 0x8000
	s_mov_b32 s41, exec_lo
	v_cmpx_ne_u32_e32 0x7f800000, v10
	s_cbranch_execz .LBB4_1759
; %bb.1752:                             ;   in Loop: Header=BB4_1543 Depth=2
	v_mov_b32_e32 v117, 0
	s_mov_b32 s42, exec_lo
	v_cmpx_ne_u32_e32 0, v118
	s_cbranch_execz .LBB4_1758
; %bb.1753:                             ;   in Loop: Header=BB4_1543 Depth=2
	v_bfe_u32 v10, v118, 23, 8
	v_and_b32_e32 v117, 0x7fffff, v118
	v_sub_nc_u32_e32 v119, 0x70, v10
	v_cmp_gt_u32_e32 vcc_lo, 0x71, v10
	v_or_b32_e32 v40, 0x800000, v117
	v_cndmask_b32_e32 v119, 0, v119, vcc_lo
	v_cmp_eq_u32_e32 vcc_lo, 0, v10
	v_add_nc_u32_e32 v10, 0xffffff91, v10
	v_cndmask_b32_e64 v119, v119, 0x6f, vcc_lo
	v_cndmask_b32_e32 v117, v40, v117, vcc_lo
	v_cndmask_b32_e64 v10, v10, 0xffffff92, vcc_lo
	v_lshl_add_u32 v40, 0x200000, v119, -1
	v_lshrrev_b32_e32 v41, v119, v117
	v_lshlrev_b32_e64 v43, v119, 0x100000
	v_add_nc_u32_e32 v119, v119, v10
	v_and_b32_e32 v117, v40, v117
	v_bfe_u32 v42, v41, 21, 1
	v_cmp_eq_u32_e64 s14, v117, v43
	v_add_nc_u32_e32 v40, -1, v42
	v_cndmask_b32_e64 v117, 0, v40, s14
	v_lshrrev_b32_e32 v40, 23, v41
	s_mov_b32 s14, exec_lo
	v_add_nc_u32_e32 v117, v117, v41
	v_xor_b32_e32 v40, 1, v40
	v_and_b32_e32 v10, 0x1fffff, v117
	v_add_nc_u32_e32 v117, v10, v41
                                        ; implicit-def: $vgpr10
	v_cmpx_ne_u32_e64 v119, v40
	s_xor_b32 s14, exec_lo, s14
; %bb.1754:                             ;   in Loop: Header=BB4_1543 Depth=2
	v_cmp_lt_u32_e32 vcc_lo, 0xffffff, v117
	v_sub_nc_u32_e32 v10, v119, v40
	v_cndmask_b32_e64 v119, 0, 1, vcc_lo
	v_add_co_ci_u32_e64 v10, null, 0, v10, vcc_lo
	v_lshrrev_b32_e32 v117, v119, v117
; %bb.1755:                             ;   in Loop: Header=BB4_1543 Depth=2
	s_andn2_saveexec_b32 s14, s14
; %bb.1756:                             ;   in Loop: Header=BB4_1543 Depth=2
	v_bfe_u32 v10, v117, 23, 1
; %bb.1757:                             ;   in Loop: Header=BB4_1543 Depth=2
	s_or_b32 exec_lo, exec_lo, s14
	v_lshrrev_b32_e32 v117, 21, v117
	v_min_i32_e32 v119, 31, v10
	v_cmp_gt_i32_e32 vcc_lo, 32, v10
	v_and_b32_sdwa v118, v118, v113 dst_sel:DWORD dst_unused:UNUSED_PAD src0_sel:BYTE_3 src1_sel:DWORD
	v_lshlrev_b32_e32 v119, 2, v119
	v_cndmask_b32_e32 v117, 3, v117, vcc_lo
	v_and_b32_e32 v119, 0xfc, v119
	v_and_b32_e32 v40, 3, v117
	v_or_b32_e32 v10, v10, v117
	v_or3_b32 v118, v118, v119, v40
	v_cmp_ne_u32_e32 vcc_lo, 0, v10
	v_lshlrev_b32_e32 v117, 8, v118
	v_cndmask_b32_e32 v117, 0, v117, vcc_lo
.LBB4_1758:                             ;   in Loop: Header=BB4_1543 Depth=2
	s_or_b32 exec_lo, exec_lo, s42
.LBB4_1759:                             ;   in Loop: Header=BB4_1543 Depth=2
	s_or_b32 exec_lo, exec_lo, s41
	v_bfe_u32 v10, v11, 16, 2
	v_bfe_u32 v40, v11, 18, 5
	v_lshlrev_b32_e32 v41, 8, v11
	s_mov_b32 s41, -1
	v_ffbh_u32_e32 v118, v10
	v_cmp_eq_u32_e32 vcc_lo, 0, v40
	v_min_u32_e32 v118, 32, v118
	v_subrev_nc_u32_e32 v119, 29, v118
	v_sub_nc_u32_e32 v118, 30, v118
	v_lshlrev_b32_sdwa v119, v119, v11 dst_sel:DWORD dst_unused:UNUSED_PAD src0_sel:DWORD src1_sel:WORD_1
	v_cndmask_b32_e32 v118, v40, v118, vcc_lo
	v_and_b32_e32 v119, 3, v119
	v_lshl_add_u32 v40, v118, 23, 0x37800000
	v_and_b32_sdwa v118, v15, v115 dst_sel:DWORD dst_unused:UNUSED_PAD src0_sel:WORD_1 src1_sel:DWORD
	v_cndmask_b32_e32 v10, v10, v119, vcc_lo
	v_and_b32_e32 v119, 0x80000000, v41
	v_cmp_lt_i16_e64 s14, 0x7f, v118
	s_and_b32 vcc_lo, exec_lo, s40
	v_lshlrev_b32_e32 v10, 21, v10
	v_or3_b32 v10, v119, v40, v10
                                        ; implicit-def: $vgpr119
	s_cbranch_vccz .LBB4_1773
; %bb.1760:                             ;   in Loop: Header=BB4_1543 Depth=2
	s_mov_b32 s41, 0
	s_and_saveexec_b32 s42, s14
	s_xor_b32 s14, exec_lo, s42
	s_cbranch_execz .LBB4_2165
; %bb.1761:                             ;   in Loop: Header=BB4_1543 Depth=2
	s_mov_b32 s41, -1
	s_mov_b32 s42, exec_lo
	v_cmpx_eq_u16_e32 0x80, v118
; %bb.1762:                             ;   in Loop: Header=BB4_1543 Depth=2
	s_xor_b32 s41, exec_lo, -1
; %bb.1763:                             ;   in Loop: Header=BB4_1543 Depth=2
	s_or_b32 exec_lo, exec_lo, s42
	s_and_b32 s41, s41, exec_lo
	s_or_saveexec_b32 s14, s14
	v_mov_b32_e32 v119, 0x7f800001
	s_xor_b32 exec_lo, exec_lo, s14
	s_cbranch_execnz .LBB4_2166
.LBB4_1764:                             ;   in Loop: Header=BB4_1543 Depth=2
	s_or_b32 exec_lo, exec_lo, s14
	s_and_saveexec_b32 s14, s41
	s_cbranch_execz .LBB4_1766
.LBB4_1765:                             ;   in Loop: Header=BB4_1543 Depth=2
	v_bfe_u32 v119, v15, 16, 2
	v_bfe_u32 v42, v15, 18, 5
	v_lshlrev_b32_sdwa v43, v116, v15 dst_sel:DWORD dst_unused:UNUSED_PAD src0_sel:DWORD src1_sel:WORD_1
	v_ffbh_u32_e32 v40, v119
	v_cmp_eq_u32_e32 vcc_lo, 0, v42
	v_min_u32_e32 v40, 32, v40
	v_subrev_nc_u32_e32 v41, 29, v40
	v_sub_nc_u32_e32 v40, 30, v40
	v_lshlrev_b32_sdwa v41, v41, v15 dst_sel:DWORD dst_unused:UNUSED_PAD src0_sel:DWORD src1_sel:WORD_1
	v_cndmask_b32_e32 v40, v42, v40, vcc_lo
	v_and_b32_e32 v41, 3, v41
	v_lshl_add_u32 v40, v40, 23, 0x37800000
	v_cndmask_b32_e32 v119, v119, v41, vcc_lo
	v_and_b32_e32 v41, 0x80000000, v43
	v_lshlrev_b32_e32 v119, 21, v119
	v_or3_b32 v119, v41, v40, v119
.LBB4_1766:                             ;   in Loop: Header=BB4_1543 Depth=2
	s_or_b32 exec_lo, exec_lo, s14
	v_and_b32_sdwa v41, v11, v115 dst_sel:DWORD dst_unused:UNUSED_PAD src0_sel:WORD_1 src1_sel:DWORD
	s_mov_b32 s14, 0
	s_mov_b32 s41, exec_lo
	v_cmpx_lt_i16_e32 0x7f, v41
	s_xor_b32 s41, exec_lo, s41
	s_cbranch_execz .LBB4_2167
; %bb.1767:                             ;   in Loop: Header=BB4_1543 Depth=2
	s_mov_b32 s14, -1
	s_mov_b32 s42, exec_lo
	v_cmpx_eq_u16_e32 0x80, v41
; %bb.1768:                             ;   in Loop: Header=BB4_1543 Depth=2
	s_xor_b32 s14, exec_lo, -1
; %bb.1769:                             ;   in Loop: Header=BB4_1543 Depth=2
	s_or_b32 exec_lo, exec_lo, s42
	s_and_b32 s14, s14, exec_lo
                                        ; implicit-def: $vgpr41
	s_or_saveexec_b32 s41, s41
	v_mov_b32_e32 v40, 0x7f800001
	s_xor_b32 exec_lo, exec_lo, s41
	s_cbranch_execnz .LBB4_2168
.LBB4_1770:                             ;   in Loop: Header=BB4_1543 Depth=2
	s_or_b32 exec_lo, exec_lo, s41
	s_and_saveexec_b32 s41, s14
.LBB4_1771:                             ;   in Loop: Header=BB4_1543 Depth=2
	v_mov_b32_e32 v40, v10
.LBB4_1772:                             ;   in Loop: Header=BB4_1543 Depth=2
	s_or_b32 exec_lo, exec_lo, s41
	v_max_f32_e32 v40, v40, v40
	v_max_f32_e32 v119, v119, v119
	s_mov_b32 s41, 0
	v_max_f32_e32 v119, v119, v40
.LBB4_1773:                             ;   in Loop: Header=BB4_1543 Depth=2
	s_and_b32 vcc_lo, exec_lo, s41
	s_cbranch_vccz .LBB4_1787
; %bb.1774:                             ;   in Loop: Header=BB4_1543 Depth=2
	s_mov_b32 s14, 0
	s_mov_b32 s41, exec_lo
	v_cmpx_lt_i16_e32 0x7f, v118
	s_xor_b32 s41, exec_lo, s41
	s_cbranch_execz .LBB4_2169
; %bb.1775:                             ;   in Loop: Header=BB4_1543 Depth=2
	s_mov_b32 s14, -1
	s_mov_b32 s42, exec_lo
	v_cmpx_eq_u16_e32 0x80, v118
; %bb.1776:                             ;   in Loop: Header=BB4_1543 Depth=2
	s_xor_b32 s14, exec_lo, -1
; %bb.1777:                             ;   in Loop: Header=BB4_1543 Depth=2
	s_or_b32 exec_lo, exec_lo, s42
	s_and_b32 s14, s14, exec_lo
                                        ; implicit-def: $vgpr118
	s_or_saveexec_b32 s41, s41
	v_mov_b32_e32 v119, 0x7f800001
	s_xor_b32 exec_lo, exec_lo, s41
	s_cbranch_execnz .LBB4_2170
.LBB4_1778:                             ;   in Loop: Header=BB4_1543 Depth=2
	s_or_b32 exec_lo, exec_lo, s41
	s_and_saveexec_b32 s41, s14
	s_cbranch_execz .LBB4_1780
.LBB4_1779:                             ;   in Loop: Header=BB4_1543 Depth=2
	v_bfe_u32 v118, v15, 16, 2
	v_bfe_u32 v41, v15, 18, 5
	v_lshlrev_b32_sdwa v42, v116, v15 dst_sel:DWORD dst_unused:UNUSED_PAD src0_sel:DWORD src1_sel:WORD_1
	v_ffbh_u32_e32 v119, v118
	v_cmp_eq_u32_e32 vcc_lo, 0, v41
	v_min_u32_e32 v119, 32, v119
	v_subrev_nc_u32_e32 v40, 29, v119
	v_sub_nc_u32_e32 v119, 30, v119
	v_lshlrev_b32_sdwa v40, v40, v15 dst_sel:DWORD dst_unused:UNUSED_PAD src0_sel:DWORD src1_sel:WORD_1
	v_cndmask_b32_e32 v119, v41, v119, vcc_lo
	v_and_b32_e32 v40, 3, v40
	v_lshl_add_u32 v119, v119, 23, 0x37800000
	v_cndmask_b32_e32 v118, v118, v40, vcc_lo
	v_and_b32_e32 v40, 0x80000000, v42
	v_lshlrev_b32_e32 v118, 21, v118
	v_or3_b32 v119, v40, v119, v118
.LBB4_1780:                             ;   in Loop: Header=BB4_1543 Depth=2
	s_or_b32 exec_lo, exec_lo, s41
	v_and_b32_sdwa v40, v11, v115 dst_sel:DWORD dst_unused:UNUSED_PAD src0_sel:WORD_1 src1_sel:DWORD
	s_mov_b32 s14, 0
	s_mov_b32 s41, exec_lo
	v_cmpx_lt_i16_e32 0x7f, v40
	s_xor_b32 s41, exec_lo, s41
	s_cbranch_execz .LBB4_2171
; %bb.1781:                             ;   in Loop: Header=BB4_1543 Depth=2
	s_mov_b32 s14, -1
	s_mov_b32 s42, exec_lo
	v_cmpx_eq_u16_e32 0x80, v40
; %bb.1782:                             ;   in Loop: Header=BB4_1543 Depth=2
	s_xor_b32 s14, exec_lo, -1
; %bb.1783:                             ;   in Loop: Header=BB4_1543 Depth=2
	s_or_b32 exec_lo, exec_lo, s42
	s_and_b32 s14, s14, exec_lo
                                        ; implicit-def: $vgpr40
	s_or_saveexec_b32 s41, s41
	v_mov_b32_e32 v118, 0x7f800001
	s_xor_b32 exec_lo, exec_lo, s41
	s_cbranch_execnz .LBB4_2172
.LBB4_1784:                             ;   in Loop: Header=BB4_1543 Depth=2
	s_or_b32 exec_lo, exec_lo, s41
	s_and_saveexec_b32 s41, s14
.LBB4_1785:                             ;   in Loop: Header=BB4_1543 Depth=2
	v_mov_b32_e32 v118, v10
.LBB4_1786:                             ;   in Loop: Header=BB4_1543 Depth=2
	s_or_b32 exec_lo, exec_lo, s41
	v_max_f32_e32 v10, v118, v118
	v_max_f32_e32 v118, v119, v119
	v_min_f32_e32 v119, v118, v10
.LBB4_1787:                             ;   in Loop: Header=BB4_1543 Depth=2
	v_and_b32_e32 v10, 0x7f800000, v119
	v_mov_b32_e32 v118, 0x80
	s_mov_b32 s41, exec_lo
	v_cmpx_ne_u32_e32 0x7f800000, v10
	s_cbranch_execz .LBB4_1795
; %bb.1788:                             ;   in Loop: Header=BB4_1543 Depth=2
	v_mov_b32_e32 v118, 0
	s_mov_b32 s42, exec_lo
	v_cmpx_ne_u32_e32 0, v119
	s_cbranch_execz .LBB4_1794
; %bb.1789:                             ;   in Loop: Header=BB4_1543 Depth=2
	v_bfe_u32 v10, v119, 23, 8
	v_and_b32_e32 v118, 0x7fffff, v119
	v_sub_nc_u32_e32 v40, 0x70, v10
	v_cmp_gt_u32_e32 vcc_lo, 0x71, v10
	v_or_b32_e32 v41, 0x800000, v118
	v_cndmask_b32_e32 v40, 0, v40, vcc_lo
	v_cmp_eq_u32_e32 vcc_lo, 0, v10
	v_add_nc_u32_e32 v10, 0xffffff91, v10
	v_cndmask_b32_e64 v40, v40, 0x6f, vcc_lo
	v_cndmask_b32_e32 v118, v41, v118, vcc_lo
	v_cndmask_b32_e64 v10, v10, 0xffffff92, vcc_lo
	v_lshl_add_u32 v41, 0x200000, v40, -1
	v_lshrrev_b32_e32 v42, v40, v118
	v_lshlrev_b32_e64 v44, v40, 0x100000
	v_add_nc_u32_e32 v40, v40, v10
	v_and_b32_e32 v118, v41, v118
	v_bfe_u32 v43, v42, 21, 1
	v_cmp_eq_u32_e64 s14, v118, v44
	v_add_nc_u32_e32 v41, -1, v43
	v_cndmask_b32_e64 v118, 0, v41, s14
	v_lshrrev_b32_e32 v41, 23, v42
	s_mov_b32 s14, exec_lo
	v_add_nc_u32_e32 v118, v118, v42
	v_xor_b32_e32 v41, 1, v41
	v_and_b32_e32 v10, 0x1fffff, v118
	v_add_nc_u32_e32 v118, v10, v42
                                        ; implicit-def: $vgpr10
	v_cmpx_ne_u32_e64 v40, v41
	s_xor_b32 s14, exec_lo, s14
; %bb.1790:                             ;   in Loop: Header=BB4_1543 Depth=2
	v_cmp_lt_u32_e32 vcc_lo, 0xffffff, v118
	v_sub_nc_u32_e32 v10, v40, v41
	v_cndmask_b32_e64 v40, 0, 1, vcc_lo
	v_add_co_ci_u32_e64 v10, null, 0, v10, vcc_lo
	v_lshrrev_b32_e32 v118, v40, v118
; %bb.1791:                             ;   in Loop: Header=BB4_1543 Depth=2
	s_andn2_saveexec_b32 s14, s14
; %bb.1792:                             ;   in Loop: Header=BB4_1543 Depth=2
	v_bfe_u32 v10, v118, 23, 1
; %bb.1793:                             ;   in Loop: Header=BB4_1543 Depth=2
	s_or_b32 exec_lo, exec_lo, s14
	v_lshrrev_b32_e32 v118, 21, v118
	v_min_i32_e32 v40, 31, v10
	v_cmp_gt_i32_e32 vcc_lo, 32, v10
	v_and_b32_sdwa v119, v119, v113 dst_sel:DWORD dst_unused:UNUSED_PAD src0_sel:BYTE_3 src1_sel:DWORD
	v_lshlrev_b32_e32 v40, 2, v40
	v_cndmask_b32_e32 v118, 3, v118, vcc_lo
	v_and_b32_e32 v40, 0xfc, v40
	v_and_b32_e32 v41, 3, v118
	v_or_b32_e32 v10, v10, v118
	v_or3_b32 v118, v40, v119, v41
	v_cmp_ne_u32_e32 vcc_lo, 0, v10
	v_cndmask_b32_e32 v118, 0, v118, vcc_lo
.LBB4_1794:                             ;   in Loop: Header=BB4_1543 Depth=2
	s_or_b32 exec_lo, exec_lo, s42
.LBB4_1795:                             ;   in Loop: Header=BB4_1543 Depth=2
	s_or_b32 exec_lo, exec_lo, s41
	v_bfe_u32 v10, v11, 24, 2
	v_bfe_u32 v41, v11, 26, 5
	v_cmp_gt_i16_sdwa s41, v15, v112 src0_sel:BYTE_3 src1_sel:DWORD
	s_mov_b32 s14, -1
	v_ffbh_u32_e32 v119, v10
	v_cmp_eq_u32_e32 vcc_lo, 0, v41
	v_min_u32_e32 v119, 32, v119
	v_subrev_nc_u32_e32 v40, 29, v119
	v_sub_nc_u32_e32 v119, 30, v119
	v_lshlrev_b32_sdwa v40, v40, v11 dst_sel:DWORD dst_unused:UNUSED_PAD src0_sel:DWORD src1_sel:BYTE_3
	v_cndmask_b32_e32 v119, v41, v119, vcc_lo
	v_and_b32_e32 v40, 3, v40
	v_lshl_add_u32 v119, v119, 23, 0x37800000
	v_cndmask_b32_e32 v10, v10, v40, vcc_lo
	v_and_b32_e32 v40, 0x80000000, v11
	s_and_b32 vcc_lo, exec_lo, s40
	v_lshlrev_b32_e32 v10, 21, v10
	v_or3_b32 v10, v40, v119, v10
                                        ; implicit-def: $vgpr119
	s_cbranch_vccz .LBB4_1809
; %bb.1796:                             ;   in Loop: Header=BB4_1543 Depth=2
	s_mov_b32 s14, 0
	s_and_saveexec_b32 s42, s41
	s_xor_b32 s41, exec_lo, s42
	s_cbranch_execz .LBB4_2173
; %bb.1797:                             ;   in Loop: Header=BB4_1543 Depth=2
	v_cmp_eq_u16_sdwa s43, v15, v113 src0_sel:BYTE_3 src1_sel:DWORD
	s_mov_b32 s14, -1
	s_and_saveexec_b32 s42, s43
; %bb.1798:                             ;   in Loop: Header=BB4_1543 Depth=2
	s_xor_b32 s14, exec_lo, -1
; %bb.1799:                             ;   in Loop: Header=BB4_1543 Depth=2
	s_or_b32 exec_lo, exec_lo, s42
	s_and_b32 s14, s14, exec_lo
	s_or_saveexec_b32 s41, s41
	v_mov_b32_e32 v119, 0x7f800001
	s_xor_b32 exec_lo, exec_lo, s41
	s_cbranch_execnz .LBB4_2174
.LBB4_1800:                             ;   in Loop: Header=BB4_1543 Depth=2
	s_or_b32 exec_lo, exec_lo, s41
	s_and_saveexec_b32 s41, s14
	s_cbranch_execz .LBB4_1802
.LBB4_1801:                             ;   in Loop: Header=BB4_1543 Depth=2
	v_bfe_u32 v119, v15, 24, 2
	v_bfe_u32 v42, v15, 26, 5
	v_ffbh_u32_e32 v40, v119
	v_cmp_eq_u32_e32 vcc_lo, 0, v42
	v_min_u32_e32 v40, 32, v40
	v_subrev_nc_u32_e32 v41, 29, v40
	v_sub_nc_u32_e32 v40, 30, v40
	v_lshlrev_b32_sdwa v41, v41, v15 dst_sel:DWORD dst_unused:UNUSED_PAD src0_sel:DWORD src1_sel:BYTE_3
	v_cndmask_b32_e32 v40, v42, v40, vcc_lo
	v_and_b32_e32 v41, 3, v41
	v_lshl_add_u32 v40, v40, 23, 0x37800000
	v_cndmask_b32_e32 v119, v119, v41, vcc_lo
	v_and_b32_e32 v41, 0x80000000, v15
	v_lshlrev_b32_e32 v119, 21, v119
	v_or3_b32 v119, v41, v40, v119
.LBB4_1802:                             ;   in Loop: Header=BB4_1543 Depth=2
	s_or_b32 exec_lo, exec_lo, s41
	v_cmp_gt_i16_sdwa s41, v11, v112 src0_sel:BYTE_3 src1_sel:DWORD
	s_mov_b32 s14, 0
	s_and_saveexec_b32 s42, s41
	s_xor_b32 s41, exec_lo, s42
	s_cbranch_execz .LBB4_2175
; %bb.1803:                             ;   in Loop: Header=BB4_1543 Depth=2
	v_cmp_eq_u16_sdwa s43, v11, v113 src0_sel:BYTE_3 src1_sel:DWORD
	s_mov_b32 s14, -1
	s_and_saveexec_b32 s42, s43
; %bb.1804:                             ;   in Loop: Header=BB4_1543 Depth=2
	s_xor_b32 s14, exec_lo, -1
; %bb.1805:                             ;   in Loop: Header=BB4_1543 Depth=2
	s_or_b32 exec_lo, exec_lo, s42
	s_and_b32 s14, s14, exec_lo
	s_or_saveexec_b32 s41, s41
	v_mov_b32_e32 v40, 0x7f800001
	s_xor_b32 exec_lo, exec_lo, s41
	s_cbranch_execnz .LBB4_2176
.LBB4_1806:                             ;   in Loop: Header=BB4_1543 Depth=2
	s_or_b32 exec_lo, exec_lo, s41
	s_and_saveexec_b32 s41, s14
.LBB4_1807:                             ;   in Loop: Header=BB4_1543 Depth=2
	v_mov_b32_e32 v40, v10
.LBB4_1808:                             ;   in Loop: Header=BB4_1543 Depth=2
	s_or_b32 exec_lo, exec_lo, s41
	v_max_f32_e32 v40, v40, v40
	v_max_f32_e32 v119, v119, v119
	s_mov_b32 s14, 0
	v_max_f32_e32 v119, v119, v40
.LBB4_1809:                             ;   in Loop: Header=BB4_1543 Depth=2
	s_and_b32 vcc_lo, exec_lo, s14
	s_cbranch_vccz .LBB4_1823
; %bb.1810:                             ;   in Loop: Header=BB4_1543 Depth=2
	v_cmp_gt_i16_sdwa s41, v15, v112 src0_sel:BYTE_3 src1_sel:DWORD
	s_mov_b32 s14, 0
	s_and_saveexec_b32 s42, s41
	s_xor_b32 s41, exec_lo, s42
	s_cbranch_execz .LBB4_2177
; %bb.1811:                             ;   in Loop: Header=BB4_1543 Depth=2
	v_cmp_eq_u16_sdwa s43, v15, v113 src0_sel:BYTE_3 src1_sel:DWORD
	s_mov_b32 s14, -1
	s_and_saveexec_b32 s42, s43
; %bb.1812:                             ;   in Loop: Header=BB4_1543 Depth=2
	s_xor_b32 s14, exec_lo, -1
; %bb.1813:                             ;   in Loop: Header=BB4_1543 Depth=2
	s_or_b32 exec_lo, exec_lo, s42
	s_and_b32 s14, s14, exec_lo
	s_or_saveexec_b32 s41, s41
	v_mov_b32_e32 v119, 0x7f800001
	s_xor_b32 exec_lo, exec_lo, s41
	s_cbranch_execnz .LBB4_2178
.LBB4_1814:                             ;   in Loop: Header=BB4_1543 Depth=2
	s_or_b32 exec_lo, exec_lo, s41
	s_and_saveexec_b32 s41, s14
	s_cbranch_execz .LBB4_1816
.LBB4_1815:                             ;   in Loop: Header=BB4_1543 Depth=2
	v_bfe_u32 v119, v15, 24, 2
	v_bfe_u32 v42, v15, 26, 5
	v_ffbh_u32_e32 v40, v119
	v_cmp_eq_u32_e32 vcc_lo, 0, v42
	v_min_u32_e32 v40, 32, v40
	v_subrev_nc_u32_e32 v41, 29, v40
	v_sub_nc_u32_e32 v40, 30, v40
	v_lshlrev_b32_sdwa v41, v41, v15 dst_sel:DWORD dst_unused:UNUSED_PAD src0_sel:DWORD src1_sel:BYTE_3
	v_cndmask_b32_e32 v40, v42, v40, vcc_lo
	v_and_b32_e32 v15, 0x80000000, v15
	v_and_b32_e32 v41, 3, v41
	v_lshl_add_u32 v40, v40, 23, 0x37800000
	v_cndmask_b32_e32 v119, v119, v41, vcc_lo
	v_lshlrev_b32_e32 v119, 21, v119
	v_or3_b32 v119, v15, v40, v119
.LBB4_1816:                             ;   in Loop: Header=BB4_1543 Depth=2
	s_or_b32 exec_lo, exec_lo, s41
	v_cmp_gt_i16_sdwa s41, v11, v112 src0_sel:BYTE_3 src1_sel:DWORD
	s_mov_b32 s14, 0
	s_and_saveexec_b32 s42, s41
	s_xor_b32 s41, exec_lo, s42
	s_cbranch_execz .LBB4_2179
; %bb.1817:                             ;   in Loop: Header=BB4_1543 Depth=2
	v_cmp_eq_u16_sdwa s43, v11, v113 src0_sel:BYTE_3 src1_sel:DWORD
	s_mov_b32 s14, -1
	s_and_saveexec_b32 s42, s43
; %bb.1818:                             ;   in Loop: Header=BB4_1543 Depth=2
	s_xor_b32 s14, exec_lo, -1
; %bb.1819:                             ;   in Loop: Header=BB4_1543 Depth=2
	s_or_b32 exec_lo, exec_lo, s42
	s_and_b32 s14, s14, exec_lo
	s_or_saveexec_b32 s41, s41
	v_mov_b32_e32 v15, 0x7f800001
	s_xor_b32 exec_lo, exec_lo, s41
	s_cbranch_execnz .LBB4_2180
.LBB4_1820:                             ;   in Loop: Header=BB4_1543 Depth=2
	s_or_b32 exec_lo, exec_lo, s41
	s_and_saveexec_b32 s41, s14
.LBB4_1821:                             ;   in Loop: Header=BB4_1543 Depth=2
	v_mov_b32_e32 v15, v10
.LBB4_1822:                             ;   in Loop: Header=BB4_1543 Depth=2
	s_or_b32 exec_lo, exec_lo, s41
	v_max_f32_e32 v10, v15, v15
	v_max_f32_e32 v11, v119, v119
	v_min_f32_e32 v119, v11, v10
.LBB4_1823:                             ;   in Loop: Header=BB4_1543 Depth=2
	v_and_b32_e32 v10, 0x7f800000, v119
	v_mov_b32_e32 v15, 0x8000
	s_mov_b32 s41, exec_lo
	v_cmpx_ne_u32_e32 0x7f800000, v10
	s_cbranch_execz .LBB4_1831
; %bb.1824:                             ;   in Loop: Header=BB4_1543 Depth=2
	v_mov_b32_e32 v15, 0
	s_mov_b32 s42, exec_lo
	v_cmpx_ne_u32_e32 0, v119
	s_cbranch_execz .LBB4_1830
; %bb.1825:                             ;   in Loop: Header=BB4_1543 Depth=2
	v_bfe_u32 v10, v119, 23, 8
	v_and_b32_e32 v11, 0x7fffff, v119
	v_sub_nc_u32_e32 v15, 0x70, v10
	v_cmp_gt_u32_e32 vcc_lo, 0x71, v10
	v_or_b32_e32 v40, 0x800000, v11
	v_cndmask_b32_e32 v15, 0, v15, vcc_lo
	v_cmp_eq_u32_e32 vcc_lo, 0, v10
	v_add_nc_u32_e32 v10, 0xffffff91, v10
	v_cndmask_b32_e64 v15, v15, 0x6f, vcc_lo
	v_cndmask_b32_e32 v11, v40, v11, vcc_lo
	v_cndmask_b32_e64 v10, v10, 0xffffff92, vcc_lo
	v_lshl_add_u32 v40, 0x200000, v15, -1
	v_lshrrev_b32_e32 v41, v15, v11
	v_lshlrev_b32_e64 v43, v15, 0x100000
	v_add_nc_u32_e32 v15, v15, v10
	v_and_b32_e32 v11, v40, v11
	v_bfe_u32 v42, v41, 21, 1
	v_cmp_eq_u32_e64 s14, v11, v43
	v_add_nc_u32_e32 v40, -1, v42
	v_cndmask_b32_e64 v11, 0, v40, s14
	v_lshrrev_b32_e32 v40, 23, v41
	s_mov_b32 s14, exec_lo
	v_add_nc_u32_e32 v11, v11, v41
	v_xor_b32_e32 v40, 1, v40
	v_and_b32_e32 v10, 0x1fffff, v11
	v_add_nc_u32_e32 v11, v10, v41
                                        ; implicit-def: $vgpr10
	v_cmpx_ne_u32_e64 v15, v40
	s_xor_b32 s14, exec_lo, s14
; %bb.1826:                             ;   in Loop: Header=BB4_1543 Depth=2
	v_cmp_lt_u32_e32 vcc_lo, 0xffffff, v11
	v_sub_nc_u32_e32 v10, v15, v40
	v_cndmask_b32_e64 v15, 0, 1, vcc_lo
	v_add_co_ci_u32_e64 v10, null, 0, v10, vcc_lo
	v_lshrrev_b32_e32 v11, v15, v11
; %bb.1827:                             ;   in Loop: Header=BB4_1543 Depth=2
	s_andn2_saveexec_b32 s14, s14
; %bb.1828:                             ;   in Loop: Header=BB4_1543 Depth=2
	v_bfe_u32 v10, v11, 23, 1
; %bb.1829:                             ;   in Loop: Header=BB4_1543 Depth=2
	s_or_b32 exec_lo, exec_lo, s14
	v_lshrrev_b32_e32 v11, 21, v11
	v_min_i32_e32 v15, 31, v10
	v_cmp_gt_i32_e32 vcc_lo, 32, v10
	v_and_b32_sdwa v119, v119, v113 dst_sel:DWORD dst_unused:UNUSED_PAD src0_sel:BYTE_3 src1_sel:DWORD
	v_lshlrev_b32_e32 v15, 2, v15
	v_cndmask_b32_e32 v11, 3, v11, vcc_lo
	v_and_b32_e32 v15, 0xfc, v15
	v_and_b32_e32 v40, 3, v11
	v_or_b32_e32 v10, v10, v11
	v_or3_b32 v15, v119, v15, v40
	v_cmp_ne_u32_e32 vcc_lo, 0, v10
	v_lshlrev_b32_e32 v11, 8, v15
	v_cndmask_b32_e32 v15, 0, v11, vcc_lo
.LBB4_1830:                             ;   in Loop: Header=BB4_1543 Depth=2
	s_or_b32 exec_lo, exec_lo, s42
.LBB4_1831:                             ;   in Loop: Header=BB4_1543 Depth=2
	s_or_b32 exec_lo, exec_lo, s41
	v_and_b32_e32 v10, 3, v12
	v_bfe_u32 v40, v12, 2, 5
	v_lshlrev_b32_e32 v41, 24, v12
	v_cmp_gt_i16_sdwa s41, v16, v112 src0_sel:BYTE_0 src1_sel:DWORD
	s_mov_b32 s14, -1
	v_ffbh_u32_e32 v11, v10
	v_cmp_eq_u32_e32 vcc_lo, 0, v40
	v_min_u32_e32 v11, 32, v11
	v_subrev_nc_u32_e32 v119, 29, v11
	v_sub_nc_u32_e32 v11, 30, v11
	v_lshlrev_b32_e32 v119, v119, v12
	v_cndmask_b32_e32 v11, v40, v11, vcc_lo
	v_and_b32_e32 v119, 3, v119
	v_lshl_add_u32 v11, v11, 23, 0x37800000
	v_cndmask_b32_e32 v10, v10, v119, vcc_lo
	v_and_b32_e32 v119, 0x80000000, v41
	s_and_b32 vcc_lo, exec_lo, s40
	v_lshlrev_b32_e32 v10, 21, v10
	v_or3_b32 v10, v119, v11, v10
                                        ; implicit-def: $vgpr11
	s_cbranch_vccz .LBB4_1845
; %bb.1832:                             ;   in Loop: Header=BB4_1543 Depth=2
	s_mov_b32 s14, 0
	s_and_saveexec_b32 s42, s41
	s_xor_b32 s41, exec_lo, s42
	s_cbranch_execz .LBB4_2181
; %bb.1833:                             ;   in Loop: Header=BB4_1543 Depth=2
	v_cmp_eq_u16_sdwa s43, v16, v113 src0_sel:BYTE_0 src1_sel:DWORD
	s_mov_b32 s14, -1
	s_and_saveexec_b32 s42, s43
; %bb.1834:                             ;   in Loop: Header=BB4_1543 Depth=2
	s_xor_b32 s14, exec_lo, -1
; %bb.1835:                             ;   in Loop: Header=BB4_1543 Depth=2
	s_or_b32 exec_lo, exec_lo, s42
	s_and_b32 s14, s14, exec_lo
	s_or_saveexec_b32 s41, s41
	v_mov_b32_e32 v11, 0x7f800001
	s_xor_b32 exec_lo, exec_lo, s41
	s_cbranch_execnz .LBB4_2182
.LBB4_1836:                             ;   in Loop: Header=BB4_1543 Depth=2
	s_or_b32 exec_lo, exec_lo, s41
	s_and_saveexec_b32 s41, s14
	s_cbranch_execz .LBB4_1838
.LBB4_1837:                             ;   in Loop: Header=BB4_1543 Depth=2
	v_and_b32_e32 v11, 3, v16
	v_bfe_u32 v41, v16, 2, 5
	v_lshlrev_b32_e32 v42, 24, v16
	v_ffbh_u32_e32 v119, v11
	v_cmp_eq_u32_e32 vcc_lo, 0, v41
	v_min_u32_e32 v119, 32, v119
	v_subrev_nc_u32_e32 v40, 29, v119
	v_sub_nc_u32_e32 v119, 30, v119
	v_lshlrev_b32_e32 v40, v40, v16
	v_cndmask_b32_e32 v119, v41, v119, vcc_lo
	v_and_b32_e32 v40, 3, v40
	v_lshl_add_u32 v119, v119, 23, 0x37800000
	v_cndmask_b32_e32 v11, v11, v40, vcc_lo
	v_and_b32_e32 v40, 0x80000000, v42
	v_lshlrev_b32_e32 v11, 21, v11
	v_or3_b32 v11, v40, v119, v11
.LBB4_1838:                             ;   in Loop: Header=BB4_1543 Depth=2
	s_or_b32 exec_lo, exec_lo, s41
	v_cmp_gt_i16_sdwa s41, v12, v112 src0_sel:BYTE_0 src1_sel:DWORD
	s_mov_b32 s14, 0
	s_and_saveexec_b32 s42, s41
	s_xor_b32 s41, exec_lo, s42
	s_cbranch_execz .LBB4_2183
; %bb.1839:                             ;   in Loop: Header=BB4_1543 Depth=2
	v_cmp_eq_u16_sdwa s43, v12, v113 src0_sel:BYTE_0 src1_sel:DWORD
	s_mov_b32 s14, -1
	s_and_saveexec_b32 s42, s43
; %bb.1840:                             ;   in Loop: Header=BB4_1543 Depth=2
	s_xor_b32 s14, exec_lo, -1
; %bb.1841:                             ;   in Loop: Header=BB4_1543 Depth=2
	s_or_b32 exec_lo, exec_lo, s42
	s_and_b32 s14, s14, exec_lo
	s_or_saveexec_b32 s41, s41
	v_mov_b32_e32 v119, 0x7f800001
	s_xor_b32 exec_lo, exec_lo, s41
	s_cbranch_execnz .LBB4_2184
.LBB4_1842:                             ;   in Loop: Header=BB4_1543 Depth=2
	s_or_b32 exec_lo, exec_lo, s41
	s_and_saveexec_b32 s41, s14
.LBB4_1843:                             ;   in Loop: Header=BB4_1543 Depth=2
	v_mov_b32_e32 v119, v10
.LBB4_1844:                             ;   in Loop: Header=BB4_1543 Depth=2
	s_or_b32 exec_lo, exec_lo, s41
	v_max_f32_e32 v119, v119, v119
	v_max_f32_e32 v11, v11, v11
	s_mov_b32 s14, 0
	v_max_f32_e32 v11, v11, v119
.LBB4_1845:                             ;   in Loop: Header=BB4_1543 Depth=2
	s_and_b32 vcc_lo, exec_lo, s14
	s_cbranch_vccz .LBB4_1859
; %bb.1846:                             ;   in Loop: Header=BB4_1543 Depth=2
	v_cmp_gt_i16_sdwa s41, v16, v112 src0_sel:BYTE_0 src1_sel:DWORD
	s_mov_b32 s14, 0
	s_and_saveexec_b32 s42, s41
	s_xor_b32 s41, exec_lo, s42
	s_cbranch_execz .LBB4_2185
; %bb.1847:                             ;   in Loop: Header=BB4_1543 Depth=2
	v_cmp_eq_u16_sdwa s43, v16, v113 src0_sel:BYTE_0 src1_sel:DWORD
	s_mov_b32 s14, -1
	s_and_saveexec_b32 s42, s43
; %bb.1848:                             ;   in Loop: Header=BB4_1543 Depth=2
	s_xor_b32 s14, exec_lo, -1
; %bb.1849:                             ;   in Loop: Header=BB4_1543 Depth=2
	s_or_b32 exec_lo, exec_lo, s42
	s_and_b32 s14, s14, exec_lo
	s_or_saveexec_b32 s41, s41
	v_mov_b32_e32 v11, 0x7f800001
	s_xor_b32 exec_lo, exec_lo, s41
	s_cbranch_execnz .LBB4_2186
.LBB4_1850:                             ;   in Loop: Header=BB4_1543 Depth=2
	s_or_b32 exec_lo, exec_lo, s41
	s_and_saveexec_b32 s41, s14
	s_cbranch_execz .LBB4_1852
.LBB4_1851:                             ;   in Loop: Header=BB4_1543 Depth=2
	v_and_b32_e32 v11, 3, v16
	v_bfe_u32 v41, v16, 2, 5
	v_lshlrev_b32_e32 v42, 24, v16
	v_ffbh_u32_e32 v119, v11
	v_cmp_eq_u32_e32 vcc_lo, 0, v41
	v_min_u32_e32 v119, 32, v119
	v_subrev_nc_u32_e32 v40, 29, v119
	v_sub_nc_u32_e32 v119, 30, v119
	v_lshlrev_b32_e32 v40, v40, v16
	v_cndmask_b32_e32 v119, v41, v119, vcc_lo
	v_and_b32_e32 v40, 3, v40
	v_lshl_add_u32 v119, v119, 23, 0x37800000
	v_cndmask_b32_e32 v11, v11, v40, vcc_lo
	v_and_b32_e32 v40, 0x80000000, v42
	v_lshlrev_b32_e32 v11, 21, v11
	v_or3_b32 v11, v40, v119, v11
.LBB4_1852:                             ;   in Loop: Header=BB4_1543 Depth=2
	s_or_b32 exec_lo, exec_lo, s41
	v_cmp_gt_i16_sdwa s41, v12, v112 src0_sel:BYTE_0 src1_sel:DWORD
	s_mov_b32 s14, 0
	s_and_saveexec_b32 s42, s41
	s_xor_b32 s41, exec_lo, s42
	s_cbranch_execz .LBB4_2187
; %bb.1853:                             ;   in Loop: Header=BB4_1543 Depth=2
	v_cmp_eq_u16_sdwa s43, v12, v113 src0_sel:BYTE_0 src1_sel:DWORD
	s_mov_b32 s14, -1
	s_and_saveexec_b32 s42, s43
; %bb.1854:                             ;   in Loop: Header=BB4_1543 Depth=2
	s_xor_b32 s14, exec_lo, -1
; %bb.1855:                             ;   in Loop: Header=BB4_1543 Depth=2
	s_or_b32 exec_lo, exec_lo, s42
	s_and_b32 s14, s14, exec_lo
	s_or_saveexec_b32 s41, s41
	v_mov_b32_e32 v119, 0x7f800001
	s_xor_b32 exec_lo, exec_lo, s41
	s_cbranch_execnz .LBB4_2188
.LBB4_1856:                             ;   in Loop: Header=BB4_1543 Depth=2
	s_or_b32 exec_lo, exec_lo, s41
	s_and_saveexec_b32 s41, s14
.LBB4_1857:                             ;   in Loop: Header=BB4_1543 Depth=2
	v_mov_b32_e32 v119, v10
.LBB4_1858:                             ;   in Loop: Header=BB4_1543 Depth=2
	s_or_b32 exec_lo, exec_lo, s41
	v_max_f32_e32 v10, v119, v119
	v_max_f32_e32 v11, v11, v11
	v_min_f32_e32 v11, v11, v10
.LBB4_1859:                             ;   in Loop: Header=BB4_1543 Depth=2
	v_and_b32_e32 v10, 0x7f800000, v11
	v_mov_b32_e32 v119, 0x80
	s_mov_b32 s41, exec_lo
	v_cmpx_ne_u32_e32 0x7f800000, v10
	s_cbranch_execz .LBB4_1867
; %bb.1860:                             ;   in Loop: Header=BB4_1543 Depth=2
	v_mov_b32_e32 v119, 0
	s_mov_b32 s42, exec_lo
	v_cmpx_ne_u32_e32 0, v11
	s_cbranch_execz .LBB4_1866
; %bb.1861:                             ;   in Loop: Header=BB4_1543 Depth=2
	v_bfe_u32 v10, v11, 23, 8
	v_and_b32_e32 v119, 0x7fffff, v11
	v_sub_nc_u32_e32 v40, 0x70, v10
	v_cmp_gt_u32_e32 vcc_lo, 0x71, v10
	v_or_b32_e32 v41, 0x800000, v119
	v_cndmask_b32_e32 v40, 0, v40, vcc_lo
	v_cmp_eq_u32_e32 vcc_lo, 0, v10
	v_add_nc_u32_e32 v10, 0xffffff91, v10
	v_cndmask_b32_e64 v40, v40, 0x6f, vcc_lo
	v_cndmask_b32_e32 v119, v41, v119, vcc_lo
	v_cndmask_b32_e64 v10, v10, 0xffffff92, vcc_lo
	v_lshl_add_u32 v41, 0x200000, v40, -1
	v_lshrrev_b32_e32 v42, v40, v119
	v_lshlrev_b32_e64 v44, v40, 0x100000
	v_add_nc_u32_e32 v40, v40, v10
	v_and_b32_e32 v119, v41, v119
	v_bfe_u32 v43, v42, 21, 1
	v_cmp_eq_u32_e64 s14, v119, v44
	v_add_nc_u32_e32 v41, -1, v43
	v_cndmask_b32_e64 v119, 0, v41, s14
	v_lshrrev_b32_e32 v41, 23, v42
	s_mov_b32 s14, exec_lo
	v_add_nc_u32_e32 v119, v119, v42
	v_xor_b32_e32 v41, 1, v41
	v_and_b32_e32 v10, 0x1fffff, v119
	v_add_nc_u32_e32 v119, v10, v42
                                        ; implicit-def: $vgpr10
	v_cmpx_ne_u32_e64 v40, v41
	s_xor_b32 s14, exec_lo, s14
; %bb.1862:                             ;   in Loop: Header=BB4_1543 Depth=2
	v_cmp_lt_u32_e32 vcc_lo, 0xffffff, v119
	v_sub_nc_u32_e32 v10, v40, v41
	v_cndmask_b32_e64 v40, 0, 1, vcc_lo
	v_add_co_ci_u32_e64 v10, null, 0, v10, vcc_lo
	v_lshrrev_b32_e32 v119, v40, v119
; %bb.1863:                             ;   in Loop: Header=BB4_1543 Depth=2
	s_andn2_saveexec_b32 s14, s14
; %bb.1864:                             ;   in Loop: Header=BB4_1543 Depth=2
	v_bfe_u32 v10, v119, 23, 1
; %bb.1865:                             ;   in Loop: Header=BB4_1543 Depth=2
	s_or_b32 exec_lo, exec_lo, s14
	v_lshrrev_b32_e32 v119, 21, v119
	v_min_i32_e32 v40, 31, v10
	v_cmp_gt_i32_e32 vcc_lo, 32, v10
	v_and_b32_sdwa v11, v11, v113 dst_sel:DWORD dst_unused:UNUSED_PAD src0_sel:BYTE_3 src1_sel:DWORD
	v_lshlrev_b32_e32 v40, 2, v40
	v_cndmask_b32_e32 v119, 3, v119, vcc_lo
	v_and_b32_e32 v40, 0xfc, v40
	v_and_b32_e32 v41, 3, v119
	v_or_b32_e32 v10, v10, v119
	v_or3_b32 v11, v40, v11, v41
	v_cmp_ne_u32_e32 vcc_lo, 0, v10
	v_cndmask_b32_e32 v119, 0, v11, vcc_lo
.LBB4_1866:                             ;   in Loop: Header=BB4_1543 Depth=2
	s_or_b32 exec_lo, exec_lo, s42
.LBB4_1867:                             ;   in Loop: Header=BB4_1543 Depth=2
	s_or_b32 exec_lo, exec_lo, s41
	v_and_b32_sdwa v10, v114, v12 dst_sel:DWORD dst_unused:UNUSED_PAD src0_sel:DWORD src1_sel:BYTE_1
	v_cmp_gt_i16_sdwa s41, v16, v112 src0_sel:BYTE_1 src1_sel:DWORD
	s_mov_b32 s14, -1
	v_and_b32_e32 v11, 3, v10
	v_bfe_u32 v42, v10, 2, 5
	v_ffbh_u32_e32 v40, v11
	v_cmp_eq_u32_e32 vcc_lo, 0, v42
	v_min_u32_e32 v40, 32, v40
	v_subrev_nc_u32_e32 v41, 29, v40
	v_sub_nc_u32_e32 v40, 30, v40
	v_lshlrev_b32_e32 v10, v41, v10
	v_lshlrev_b32_sdwa v41, v116, v12 dst_sel:DWORD dst_unused:UNUSED_PAD src0_sel:DWORD src1_sel:BYTE_1
	v_cndmask_b32_e32 v40, v42, v40, vcc_lo
	v_and_b32_e32 v10, 3, v10
	v_lshl_add_u32 v40, v40, 23, 0x37800000
	v_cndmask_b32_e32 v10, v11, v10, vcc_lo
	v_and_b32_e32 v11, 0x80000000, v41
	s_and_b32 vcc_lo, exec_lo, s40
	v_lshlrev_b32_e32 v10, 21, v10
	v_or3_b32 v10, v11, v40, v10
                                        ; implicit-def: $vgpr11
	s_cbranch_vccz .LBB4_1881
; %bb.1868:                             ;   in Loop: Header=BB4_1543 Depth=2
	s_mov_b32 s14, 0
	s_and_saveexec_b32 s42, s41
	s_xor_b32 s41, exec_lo, s42
	s_cbranch_execz .LBB4_2189
; %bb.1869:                             ;   in Loop: Header=BB4_1543 Depth=2
	v_cmp_eq_u16_sdwa s43, v16, v113 src0_sel:BYTE_1 src1_sel:DWORD
	s_mov_b32 s14, -1
	s_and_saveexec_b32 s42, s43
; %bb.1870:                             ;   in Loop: Header=BB4_1543 Depth=2
	s_xor_b32 s14, exec_lo, -1
; %bb.1871:                             ;   in Loop: Header=BB4_1543 Depth=2
	s_or_b32 exec_lo, exec_lo, s42
	s_and_b32 s14, s14, exec_lo
	s_or_saveexec_b32 s41, s41
	v_mov_b32_e32 v11, 0x7f800001
	s_xor_b32 exec_lo, exec_lo, s41
	s_cbranch_execnz .LBB4_2190
.LBB4_1872:                             ;   in Loop: Header=BB4_1543 Depth=2
	s_or_b32 exec_lo, exec_lo, s41
	s_and_saveexec_b32 s41, s14
	s_cbranch_execz .LBB4_1874
.LBB4_1873:                             ;   in Loop: Header=BB4_1543 Depth=2
	v_and_b32_sdwa v11, v114, v16 dst_sel:DWORD dst_unused:UNUSED_PAD src0_sel:DWORD src1_sel:BYTE_1
	v_and_b32_e32 v40, 3, v11
	v_bfe_u32 v43, v11, 2, 5
	v_ffbh_u32_e32 v41, v40
	v_cmp_eq_u32_e32 vcc_lo, 0, v43
	v_min_u32_e32 v41, 32, v41
	v_subrev_nc_u32_e32 v42, 29, v41
	v_sub_nc_u32_e32 v41, 30, v41
	v_lshlrev_b32_e32 v11, v42, v11
	v_lshlrev_b32_e32 v42, 16, v16
	v_cndmask_b32_e32 v41, v43, v41, vcc_lo
	v_and_b32_e32 v11, 3, v11
	v_lshl_add_u32 v41, v41, 23, 0x37800000
	v_cndmask_b32_e32 v11, v40, v11, vcc_lo
	v_and_b32_e32 v40, 0x80000000, v42
	v_lshlrev_b32_e32 v11, 21, v11
	v_or3_b32 v11, v40, v41, v11
.LBB4_1874:                             ;   in Loop: Header=BB4_1543 Depth=2
	s_or_b32 exec_lo, exec_lo, s41
	v_cmp_gt_i16_sdwa s41, v12, v112 src0_sel:BYTE_1 src1_sel:DWORD
	s_mov_b32 s14, 0
	s_and_saveexec_b32 s42, s41
	s_xor_b32 s41, exec_lo, s42
	s_cbranch_execz .LBB4_2191
; %bb.1875:                             ;   in Loop: Header=BB4_1543 Depth=2
	v_cmp_eq_u16_sdwa s43, v12, v113 src0_sel:BYTE_1 src1_sel:DWORD
	s_mov_b32 s14, -1
	s_and_saveexec_b32 s42, s43
; %bb.1876:                             ;   in Loop: Header=BB4_1543 Depth=2
	s_xor_b32 s14, exec_lo, -1
; %bb.1877:                             ;   in Loop: Header=BB4_1543 Depth=2
	s_or_b32 exec_lo, exec_lo, s42
	s_and_b32 s14, s14, exec_lo
	s_or_saveexec_b32 s41, s41
	v_mov_b32_e32 v40, 0x7f800001
	s_xor_b32 exec_lo, exec_lo, s41
	s_cbranch_execnz .LBB4_2192
.LBB4_1878:                             ;   in Loop: Header=BB4_1543 Depth=2
	s_or_b32 exec_lo, exec_lo, s41
	s_and_saveexec_b32 s41, s14
.LBB4_1879:                             ;   in Loop: Header=BB4_1543 Depth=2
	v_mov_b32_e32 v40, v10
.LBB4_1880:                             ;   in Loop: Header=BB4_1543 Depth=2
	s_or_b32 exec_lo, exec_lo, s41
	v_max_f32_e32 v40, v40, v40
	v_max_f32_e32 v11, v11, v11
	s_mov_b32 s14, 0
	v_max_f32_e32 v11, v11, v40
.LBB4_1881:                             ;   in Loop: Header=BB4_1543 Depth=2
	s_and_b32 vcc_lo, exec_lo, s14
	s_cbranch_vccz .LBB4_1895
; %bb.1882:                             ;   in Loop: Header=BB4_1543 Depth=2
	v_cmp_gt_i16_sdwa s41, v16, v112 src0_sel:BYTE_1 src1_sel:DWORD
	s_mov_b32 s14, 0
	s_and_saveexec_b32 s42, s41
	s_xor_b32 s41, exec_lo, s42
	s_cbranch_execz .LBB4_2193
; %bb.1883:                             ;   in Loop: Header=BB4_1543 Depth=2
	v_cmp_eq_u16_sdwa s43, v16, v113 src0_sel:BYTE_1 src1_sel:DWORD
	s_mov_b32 s14, -1
	s_and_saveexec_b32 s42, s43
; %bb.1884:                             ;   in Loop: Header=BB4_1543 Depth=2
	s_xor_b32 s14, exec_lo, -1
; %bb.1885:                             ;   in Loop: Header=BB4_1543 Depth=2
	s_or_b32 exec_lo, exec_lo, s42
	s_and_b32 s14, s14, exec_lo
	s_or_saveexec_b32 s41, s41
	v_mov_b32_e32 v11, 0x7f800001
	s_xor_b32 exec_lo, exec_lo, s41
	s_cbranch_execnz .LBB4_2194
.LBB4_1886:                             ;   in Loop: Header=BB4_1543 Depth=2
	s_or_b32 exec_lo, exec_lo, s41
	s_and_saveexec_b32 s41, s14
	s_cbranch_execz .LBB4_1888
.LBB4_1887:                             ;   in Loop: Header=BB4_1543 Depth=2
	v_and_b32_sdwa v11, v114, v16 dst_sel:DWORD dst_unused:UNUSED_PAD src0_sel:DWORD src1_sel:BYTE_1
	v_and_b32_e32 v40, 3, v11
	v_bfe_u32 v43, v11, 2, 5
	v_ffbh_u32_e32 v41, v40
	v_cmp_eq_u32_e32 vcc_lo, 0, v43
	v_min_u32_e32 v41, 32, v41
	v_subrev_nc_u32_e32 v42, 29, v41
	v_sub_nc_u32_e32 v41, 30, v41
	v_lshlrev_b32_e32 v11, v42, v11
	v_lshlrev_b32_e32 v42, 16, v16
	v_cndmask_b32_e32 v41, v43, v41, vcc_lo
	v_and_b32_e32 v11, 3, v11
	v_lshl_add_u32 v41, v41, 23, 0x37800000
	v_cndmask_b32_e32 v11, v40, v11, vcc_lo
	v_and_b32_e32 v40, 0x80000000, v42
	v_lshlrev_b32_e32 v11, 21, v11
	v_or3_b32 v11, v40, v41, v11
.LBB4_1888:                             ;   in Loop: Header=BB4_1543 Depth=2
	s_or_b32 exec_lo, exec_lo, s41
	v_cmp_gt_i16_sdwa s41, v12, v112 src0_sel:BYTE_1 src1_sel:DWORD
	s_mov_b32 s14, 0
	s_and_saveexec_b32 s42, s41
	s_xor_b32 s41, exec_lo, s42
	s_cbranch_execz .LBB4_2195
; %bb.1889:                             ;   in Loop: Header=BB4_1543 Depth=2
	v_cmp_eq_u16_sdwa s43, v12, v113 src0_sel:BYTE_1 src1_sel:DWORD
	s_mov_b32 s14, -1
	s_and_saveexec_b32 s42, s43
; %bb.1890:                             ;   in Loop: Header=BB4_1543 Depth=2
	s_xor_b32 s14, exec_lo, -1
; %bb.1891:                             ;   in Loop: Header=BB4_1543 Depth=2
	s_or_b32 exec_lo, exec_lo, s42
	s_and_b32 s14, s14, exec_lo
	s_or_saveexec_b32 s41, s41
	v_mov_b32_e32 v40, 0x7f800001
	s_xor_b32 exec_lo, exec_lo, s41
	s_cbranch_execnz .LBB4_2196
.LBB4_1892:                             ;   in Loop: Header=BB4_1543 Depth=2
	s_or_b32 exec_lo, exec_lo, s41
	s_and_saveexec_b32 s41, s14
.LBB4_1893:                             ;   in Loop: Header=BB4_1543 Depth=2
	v_mov_b32_e32 v40, v10
.LBB4_1894:                             ;   in Loop: Header=BB4_1543 Depth=2
	s_or_b32 exec_lo, exec_lo, s41
	v_max_f32_e32 v10, v40, v40
	v_max_f32_e32 v11, v11, v11
	v_min_f32_e32 v11, v11, v10
.LBB4_1895:                             ;   in Loop: Header=BB4_1543 Depth=2
	v_and_b32_e32 v10, 0x7f800000, v11
	v_mov_b32_e32 v40, 0x8000
	s_mov_b32 s41, exec_lo
	v_cmpx_ne_u32_e32 0x7f800000, v10
	s_cbranch_execz .LBB4_1903
; %bb.1896:                             ;   in Loop: Header=BB4_1543 Depth=2
	v_mov_b32_e32 v40, 0
	s_mov_b32 s42, exec_lo
	v_cmpx_ne_u32_e32 0, v11
	s_cbranch_execz .LBB4_1902
; %bb.1897:                             ;   in Loop: Header=BB4_1543 Depth=2
	v_bfe_u32 v10, v11, 23, 8
	v_and_b32_e32 v40, 0x7fffff, v11
	v_sub_nc_u32_e32 v41, 0x70, v10
	v_cmp_gt_u32_e32 vcc_lo, 0x71, v10
	v_or_b32_e32 v42, 0x800000, v40
	v_cndmask_b32_e32 v41, 0, v41, vcc_lo
	v_cmp_eq_u32_e32 vcc_lo, 0, v10
	v_add_nc_u32_e32 v10, 0xffffff91, v10
	v_cndmask_b32_e64 v41, v41, 0x6f, vcc_lo
	v_cndmask_b32_e32 v40, v42, v40, vcc_lo
	v_cndmask_b32_e64 v10, v10, 0xffffff92, vcc_lo
	v_lshl_add_u32 v42, 0x200000, v41, -1
	v_lshrrev_b32_e32 v43, v41, v40
	v_lshlrev_b32_e64 v45, v41, 0x100000
	v_add_nc_u32_e32 v41, v41, v10
	v_and_b32_e32 v40, v42, v40
	v_bfe_u32 v44, v43, 21, 1
	v_cmp_eq_u32_e64 s14, v40, v45
	v_add_nc_u32_e32 v42, -1, v44
	v_cndmask_b32_e64 v40, 0, v42, s14
	v_lshrrev_b32_e32 v42, 23, v43
	s_mov_b32 s14, exec_lo
	v_add_nc_u32_e32 v40, v40, v43
	v_xor_b32_e32 v42, 1, v42
	v_and_b32_e32 v10, 0x1fffff, v40
	v_add_nc_u32_e32 v40, v10, v43
                                        ; implicit-def: $vgpr10
	v_cmpx_ne_u32_e64 v41, v42
	s_xor_b32 s14, exec_lo, s14
; %bb.1898:                             ;   in Loop: Header=BB4_1543 Depth=2
	v_cmp_lt_u32_e32 vcc_lo, 0xffffff, v40
	v_sub_nc_u32_e32 v10, v41, v42
	v_cndmask_b32_e64 v41, 0, 1, vcc_lo
	v_add_co_ci_u32_e64 v10, null, 0, v10, vcc_lo
	v_lshrrev_b32_e32 v40, v41, v40
; %bb.1899:                             ;   in Loop: Header=BB4_1543 Depth=2
	s_andn2_saveexec_b32 s14, s14
; %bb.1900:                             ;   in Loop: Header=BB4_1543 Depth=2
	v_bfe_u32 v10, v40, 23, 1
; %bb.1901:                             ;   in Loop: Header=BB4_1543 Depth=2
	s_or_b32 exec_lo, exec_lo, s14
	v_lshrrev_b32_e32 v40, 21, v40
	v_min_i32_e32 v41, 31, v10
	v_cmp_gt_i32_e32 vcc_lo, 32, v10
	v_and_b32_sdwa v11, v11, v113 dst_sel:DWORD dst_unused:UNUSED_PAD src0_sel:BYTE_3 src1_sel:DWORD
	v_lshlrev_b32_e32 v41, 2, v41
	v_cndmask_b32_e32 v40, 3, v40, vcc_lo
	v_and_b32_e32 v41, 0xfc, v41
	v_and_b32_e32 v42, 3, v40
	v_or_b32_e32 v10, v10, v40
	v_or3_b32 v11, v11, v41, v42
	v_cmp_ne_u32_e32 vcc_lo, 0, v10
	v_lshlrev_b32_e32 v11, 8, v11
	v_cndmask_b32_e32 v40, 0, v11, vcc_lo
.LBB4_1902:                             ;   in Loop: Header=BB4_1543 Depth=2
	s_or_b32 exec_lo, exec_lo, s42
.LBB4_1903:                             ;   in Loop: Header=BB4_1543 Depth=2
	s_or_b32 exec_lo, exec_lo, s41
	v_bfe_u32 v10, v12, 16, 2
	v_bfe_u32 v42, v12, 18, 5
	v_lshlrev_b32_e32 v43, 8, v12
	s_mov_b32 s41, -1
	v_ffbh_u32_e32 v11, v10
	v_cmp_eq_u32_e32 vcc_lo, 0, v42
	v_min_u32_e32 v11, 32, v11
	v_subrev_nc_u32_e32 v41, 29, v11
	v_sub_nc_u32_e32 v11, 30, v11
	v_lshlrev_b32_sdwa v41, v41, v12 dst_sel:DWORD dst_unused:UNUSED_PAD src0_sel:DWORD src1_sel:WORD_1
	v_cndmask_b32_e32 v11, v42, v11, vcc_lo
	v_and_b32_e32 v41, 3, v41
	v_lshl_add_u32 v42, v11, 23, 0x37800000
	v_and_b32_sdwa v11, v16, v115 dst_sel:DWORD dst_unused:UNUSED_PAD src0_sel:WORD_1 src1_sel:DWORD
	v_cndmask_b32_e32 v10, v10, v41, vcc_lo
	v_and_b32_e32 v41, 0x80000000, v43
	v_cmp_lt_i16_e64 s14, 0x7f, v11
	s_and_b32 vcc_lo, exec_lo, s40
	v_lshlrev_b32_e32 v10, 21, v10
	v_or3_b32 v10, v41, v42, v10
                                        ; implicit-def: $vgpr42
	s_cbranch_vccz .LBB4_1917
; %bb.1904:                             ;   in Loop: Header=BB4_1543 Depth=2
	s_mov_b32 s41, 0
	s_and_saveexec_b32 s42, s14
	s_xor_b32 s14, exec_lo, s42
	s_cbranch_execz .LBB4_2197
; %bb.1905:                             ;   in Loop: Header=BB4_1543 Depth=2
	s_mov_b32 s41, -1
	s_mov_b32 s42, exec_lo
	v_cmpx_eq_u16_e32 0x80, v11
; %bb.1906:                             ;   in Loop: Header=BB4_1543 Depth=2
	s_xor_b32 s41, exec_lo, -1
; %bb.1907:                             ;   in Loop: Header=BB4_1543 Depth=2
	s_or_b32 exec_lo, exec_lo, s42
	s_and_b32 s41, s41, exec_lo
	s_or_saveexec_b32 s14, s14
	v_mov_b32_e32 v41, 0x7f800001
	s_xor_b32 exec_lo, exec_lo, s14
	s_cbranch_execnz .LBB4_2198
.LBB4_1908:                             ;   in Loop: Header=BB4_1543 Depth=2
	s_or_b32 exec_lo, exec_lo, s14
	s_and_saveexec_b32 s14, s41
	s_cbranch_execz .LBB4_1910
.LBB4_1909:                             ;   in Loop: Header=BB4_1543 Depth=2
	v_bfe_u32 v41, v16, 16, 2
	v_bfe_u32 v44, v16, 18, 5
	v_lshlrev_b32_sdwa v45, v116, v16 dst_sel:DWORD dst_unused:UNUSED_PAD src0_sel:DWORD src1_sel:WORD_1
	v_ffbh_u32_e32 v42, v41
	v_cmp_eq_u32_e32 vcc_lo, 0, v44
	v_min_u32_e32 v42, 32, v42
	v_subrev_nc_u32_e32 v43, 29, v42
	v_sub_nc_u32_e32 v42, 30, v42
	v_lshlrev_b32_sdwa v43, v43, v16 dst_sel:DWORD dst_unused:UNUSED_PAD src0_sel:DWORD src1_sel:WORD_1
	v_cndmask_b32_e32 v42, v44, v42, vcc_lo
	v_and_b32_e32 v43, 3, v43
	v_lshl_add_u32 v42, v42, 23, 0x37800000
	v_cndmask_b32_e32 v41, v41, v43, vcc_lo
	v_and_b32_e32 v43, 0x80000000, v45
	v_lshlrev_b32_e32 v41, 21, v41
	v_or3_b32 v41, v43, v42, v41
.LBB4_1910:                             ;   in Loop: Header=BB4_1543 Depth=2
	s_or_b32 exec_lo, exec_lo, s14
	v_and_b32_sdwa v43, v12, v115 dst_sel:DWORD dst_unused:UNUSED_PAD src0_sel:WORD_1 src1_sel:DWORD
	s_mov_b32 s14, 0
	s_mov_b32 s41, exec_lo
	v_cmpx_lt_i16_e32 0x7f, v43
	s_xor_b32 s41, exec_lo, s41
	s_cbranch_execz .LBB4_2199
; %bb.1911:                             ;   in Loop: Header=BB4_1543 Depth=2
	s_mov_b32 s14, -1
	s_mov_b32 s42, exec_lo
	v_cmpx_eq_u16_e32 0x80, v43
; %bb.1912:                             ;   in Loop: Header=BB4_1543 Depth=2
	s_xor_b32 s14, exec_lo, -1
; %bb.1913:                             ;   in Loop: Header=BB4_1543 Depth=2
	s_or_b32 exec_lo, exec_lo, s42
	s_and_b32 s14, s14, exec_lo
                                        ; implicit-def: $vgpr43
	s_or_saveexec_b32 s41, s41
	v_mov_b32_e32 v42, 0x7f800001
	s_xor_b32 exec_lo, exec_lo, s41
	s_cbranch_execnz .LBB4_2200
.LBB4_1914:                             ;   in Loop: Header=BB4_1543 Depth=2
	s_or_b32 exec_lo, exec_lo, s41
	s_and_saveexec_b32 s41, s14
.LBB4_1915:                             ;   in Loop: Header=BB4_1543 Depth=2
	v_mov_b32_e32 v42, v10
.LBB4_1916:                             ;   in Loop: Header=BB4_1543 Depth=2
	s_or_b32 exec_lo, exec_lo, s41
	v_max_f32_e32 v42, v42, v42
	v_max_f32_e32 v41, v41, v41
	s_mov_b32 s41, 0
	v_max_f32_e32 v42, v41, v42
.LBB4_1917:                             ;   in Loop: Header=BB4_1543 Depth=2
	s_and_b32 vcc_lo, exec_lo, s41
	s_cbranch_vccz .LBB4_1931
; %bb.1918:                             ;   in Loop: Header=BB4_1543 Depth=2
	s_mov_b32 s14, 0
	s_mov_b32 s41, exec_lo
	v_cmpx_lt_i16_e32 0x7f, v11
	s_xor_b32 s41, exec_lo, s41
	s_cbranch_execz .LBB4_2201
; %bb.1919:                             ;   in Loop: Header=BB4_1543 Depth=2
	s_mov_b32 s14, -1
	s_mov_b32 s42, exec_lo
	v_cmpx_eq_u16_e32 0x80, v11
; %bb.1920:                             ;   in Loop: Header=BB4_1543 Depth=2
	s_xor_b32 s14, exec_lo, -1
; %bb.1921:                             ;   in Loop: Header=BB4_1543 Depth=2
	s_or_b32 exec_lo, exec_lo, s42
	s_and_b32 s14, s14, exec_lo
                                        ; implicit-def: $vgpr11
	s_or_saveexec_b32 s41, s41
	v_mov_b32_e32 v41, 0x7f800001
	s_xor_b32 exec_lo, exec_lo, s41
	s_cbranch_execnz .LBB4_2202
.LBB4_1922:                             ;   in Loop: Header=BB4_1543 Depth=2
	s_or_b32 exec_lo, exec_lo, s41
	s_and_saveexec_b32 s41, s14
	s_cbranch_execz .LBB4_1924
.LBB4_1923:                             ;   in Loop: Header=BB4_1543 Depth=2
	v_bfe_u32 v11, v16, 16, 2
	v_bfe_u32 v43, v16, 18, 5
	v_lshlrev_b32_sdwa v44, v116, v16 dst_sel:DWORD dst_unused:UNUSED_PAD src0_sel:DWORD src1_sel:WORD_1
	v_ffbh_u32_e32 v41, v11
	v_cmp_eq_u32_e32 vcc_lo, 0, v43
	v_min_u32_e32 v41, 32, v41
	v_subrev_nc_u32_e32 v42, 29, v41
	v_sub_nc_u32_e32 v41, 30, v41
	v_lshlrev_b32_sdwa v42, v42, v16 dst_sel:DWORD dst_unused:UNUSED_PAD src0_sel:DWORD src1_sel:WORD_1
	v_cndmask_b32_e32 v41, v43, v41, vcc_lo
	v_and_b32_e32 v42, 3, v42
	v_lshl_add_u32 v41, v41, 23, 0x37800000
	v_cndmask_b32_e32 v11, v11, v42, vcc_lo
	v_and_b32_e32 v42, 0x80000000, v44
	v_lshlrev_b32_e32 v11, 21, v11
	v_or3_b32 v41, v42, v41, v11
.LBB4_1924:                             ;   in Loop: Header=BB4_1543 Depth=2
	s_or_b32 exec_lo, exec_lo, s41
	v_and_b32_sdwa v42, v12, v115 dst_sel:DWORD dst_unused:UNUSED_PAD src0_sel:WORD_1 src1_sel:DWORD
	s_mov_b32 s14, 0
	s_mov_b32 s41, exec_lo
	v_cmpx_lt_i16_e32 0x7f, v42
	s_xor_b32 s41, exec_lo, s41
	s_cbranch_execz .LBB4_2203
; %bb.1925:                             ;   in Loop: Header=BB4_1543 Depth=2
	s_mov_b32 s14, -1
	s_mov_b32 s42, exec_lo
	v_cmpx_eq_u16_e32 0x80, v42
; %bb.1926:                             ;   in Loop: Header=BB4_1543 Depth=2
	s_xor_b32 s14, exec_lo, -1
; %bb.1927:                             ;   in Loop: Header=BB4_1543 Depth=2
	s_or_b32 exec_lo, exec_lo, s42
	s_and_b32 s14, s14, exec_lo
                                        ; implicit-def: $vgpr42
	s_or_saveexec_b32 s41, s41
	v_mov_b32_e32 v11, 0x7f800001
	s_xor_b32 exec_lo, exec_lo, s41
	s_cbranch_execnz .LBB4_2204
.LBB4_1928:                             ;   in Loop: Header=BB4_1543 Depth=2
	s_or_b32 exec_lo, exec_lo, s41
	s_and_saveexec_b32 s41, s14
.LBB4_1929:                             ;   in Loop: Header=BB4_1543 Depth=2
	v_mov_b32_e32 v11, v10
.LBB4_1930:                             ;   in Loop: Header=BB4_1543 Depth=2
	s_or_b32 exec_lo, exec_lo, s41
	v_max_f32_e32 v10, v11, v11
	v_max_f32_e32 v11, v41, v41
	v_min_f32_e32 v42, v11, v10
.LBB4_1931:                             ;   in Loop: Header=BB4_1543 Depth=2
	v_and_b32_e32 v10, 0x7f800000, v42
	v_mov_b32_e32 v41, 0x80
	s_mov_b32 s41, exec_lo
	v_cmpx_ne_u32_e32 0x7f800000, v10
	s_cbranch_execz .LBB4_1939
; %bb.1932:                             ;   in Loop: Header=BB4_1543 Depth=2
	v_mov_b32_e32 v41, 0
	s_mov_b32 s42, exec_lo
	v_cmpx_ne_u32_e32 0, v42
	s_cbranch_execz .LBB4_1938
; %bb.1933:                             ;   in Loop: Header=BB4_1543 Depth=2
	v_bfe_u32 v10, v42, 23, 8
	v_and_b32_e32 v11, 0x7fffff, v42
	v_sub_nc_u32_e32 v41, 0x70, v10
	v_cmp_gt_u32_e32 vcc_lo, 0x71, v10
	v_or_b32_e32 v43, 0x800000, v11
	v_cndmask_b32_e32 v41, 0, v41, vcc_lo
	v_cmp_eq_u32_e32 vcc_lo, 0, v10
	v_add_nc_u32_e32 v10, 0xffffff91, v10
	v_cndmask_b32_e64 v41, v41, 0x6f, vcc_lo
	v_cndmask_b32_e32 v11, v43, v11, vcc_lo
	v_cndmask_b32_e64 v10, v10, 0xffffff92, vcc_lo
	v_lshl_add_u32 v43, 0x200000, v41, -1
	v_lshrrev_b32_e32 v44, v41, v11
	v_lshlrev_b32_e64 v46, v41, 0x100000
	v_add_nc_u32_e32 v41, v41, v10
	v_and_b32_e32 v11, v43, v11
	v_bfe_u32 v45, v44, 21, 1
	v_cmp_eq_u32_e64 s14, v11, v46
	v_add_nc_u32_e32 v43, -1, v45
	v_cndmask_b32_e64 v11, 0, v43, s14
	v_lshrrev_b32_e32 v43, 23, v44
	s_mov_b32 s14, exec_lo
	v_add_nc_u32_e32 v11, v11, v44
	v_xor_b32_e32 v43, 1, v43
	v_and_b32_e32 v10, 0x1fffff, v11
	v_add_nc_u32_e32 v11, v10, v44
                                        ; implicit-def: $vgpr10
	v_cmpx_ne_u32_e64 v41, v43
	s_xor_b32 s14, exec_lo, s14
; %bb.1934:                             ;   in Loop: Header=BB4_1543 Depth=2
	v_cmp_lt_u32_e32 vcc_lo, 0xffffff, v11
	v_sub_nc_u32_e32 v10, v41, v43
	v_cndmask_b32_e64 v41, 0, 1, vcc_lo
	v_add_co_ci_u32_e64 v10, null, 0, v10, vcc_lo
	v_lshrrev_b32_e32 v11, v41, v11
; %bb.1935:                             ;   in Loop: Header=BB4_1543 Depth=2
	s_andn2_saveexec_b32 s14, s14
; %bb.1936:                             ;   in Loop: Header=BB4_1543 Depth=2
	v_bfe_u32 v10, v11, 23, 1
; %bb.1937:                             ;   in Loop: Header=BB4_1543 Depth=2
	s_or_b32 exec_lo, exec_lo, s14
	v_lshrrev_b32_e32 v11, 21, v11
	v_min_i32_e32 v41, 31, v10
	v_cmp_gt_i32_e32 vcc_lo, 32, v10
	v_and_b32_sdwa v42, v42, v113 dst_sel:DWORD dst_unused:UNUSED_PAD src0_sel:BYTE_3 src1_sel:DWORD
	v_lshlrev_b32_e32 v41, 2, v41
	v_cndmask_b32_e32 v11, 3, v11, vcc_lo
	v_and_b32_e32 v41, 0xfc, v41
	v_and_b32_e32 v43, 3, v11
	v_or_b32_e32 v10, v10, v11
	v_or3_b32 v11, v41, v42, v43
	v_cmp_ne_u32_e32 vcc_lo, 0, v10
	v_cndmask_b32_e32 v41, 0, v11, vcc_lo
.LBB4_1938:                             ;   in Loop: Header=BB4_1543 Depth=2
	s_or_b32 exec_lo, exec_lo, s42
.LBB4_1939:                             ;   in Loop: Header=BB4_1543 Depth=2
	s_or_b32 exec_lo, exec_lo, s41
	v_bfe_u32 v10, v12, 24, 2
	v_bfe_u32 v43, v12, 26, 5
	v_cmp_gt_i16_sdwa s41, v16, v112 src0_sel:BYTE_3 src1_sel:DWORD
	s_mov_b32 s14, -1
	v_ffbh_u32_e32 v11, v10
	v_cmp_eq_u32_e32 vcc_lo, 0, v43
	v_min_u32_e32 v11, 32, v11
	v_subrev_nc_u32_e32 v42, 29, v11
	v_sub_nc_u32_e32 v11, 30, v11
	v_lshlrev_b32_sdwa v42, v42, v12 dst_sel:DWORD dst_unused:UNUSED_PAD src0_sel:DWORD src1_sel:BYTE_3
	v_cndmask_b32_e32 v11, v43, v11, vcc_lo
	v_and_b32_e32 v42, 3, v42
	v_lshl_add_u32 v11, v11, 23, 0x37800000
	v_cndmask_b32_e32 v10, v10, v42, vcc_lo
	v_and_b32_e32 v42, 0x80000000, v12
	s_and_b32 vcc_lo, exec_lo, s40
	v_lshlrev_b32_e32 v10, 21, v10
	v_or3_b32 v10, v42, v11, v10
                                        ; implicit-def: $vgpr11
	s_cbranch_vccz .LBB4_1953
; %bb.1940:                             ;   in Loop: Header=BB4_1543 Depth=2
	s_mov_b32 s14, 0
	s_and_saveexec_b32 s42, s41
	s_xor_b32 s41, exec_lo, s42
	s_cbranch_execz .LBB4_2205
; %bb.1941:                             ;   in Loop: Header=BB4_1543 Depth=2
	v_cmp_eq_u16_sdwa s43, v16, v113 src0_sel:BYTE_3 src1_sel:DWORD
	s_mov_b32 s14, -1
	s_and_saveexec_b32 s42, s43
; %bb.1942:                             ;   in Loop: Header=BB4_1543 Depth=2
	s_xor_b32 s14, exec_lo, -1
; %bb.1943:                             ;   in Loop: Header=BB4_1543 Depth=2
	s_or_b32 exec_lo, exec_lo, s42
	s_and_b32 s14, s14, exec_lo
	s_or_saveexec_b32 s41, s41
	v_mov_b32_e32 v11, 0x7f800001
	s_xor_b32 exec_lo, exec_lo, s41
	s_cbranch_execnz .LBB4_2206
.LBB4_1944:                             ;   in Loop: Header=BB4_1543 Depth=2
	s_or_b32 exec_lo, exec_lo, s41
	s_and_saveexec_b32 s41, s14
	s_cbranch_execz .LBB4_1946
.LBB4_1945:                             ;   in Loop: Header=BB4_1543 Depth=2
	v_bfe_u32 v11, v16, 24, 2
	v_bfe_u32 v44, v16, 26, 5
	v_ffbh_u32_e32 v42, v11
	v_cmp_eq_u32_e32 vcc_lo, 0, v44
	v_min_u32_e32 v42, 32, v42
	v_subrev_nc_u32_e32 v43, 29, v42
	v_sub_nc_u32_e32 v42, 30, v42
	v_lshlrev_b32_sdwa v43, v43, v16 dst_sel:DWORD dst_unused:UNUSED_PAD src0_sel:DWORD src1_sel:BYTE_3
	v_cndmask_b32_e32 v42, v44, v42, vcc_lo
	v_and_b32_e32 v43, 3, v43
	v_lshl_add_u32 v42, v42, 23, 0x37800000
	v_cndmask_b32_e32 v11, v11, v43, vcc_lo
	v_and_b32_e32 v43, 0x80000000, v16
	v_lshlrev_b32_e32 v11, 21, v11
	v_or3_b32 v11, v43, v42, v11
.LBB4_1946:                             ;   in Loop: Header=BB4_1543 Depth=2
	s_or_b32 exec_lo, exec_lo, s41
	v_cmp_gt_i16_sdwa s41, v12, v112 src0_sel:BYTE_3 src1_sel:DWORD
	s_mov_b32 s14, 0
	s_and_saveexec_b32 s42, s41
	s_xor_b32 s41, exec_lo, s42
	s_cbranch_execz .LBB4_2207
; %bb.1947:                             ;   in Loop: Header=BB4_1543 Depth=2
	v_cmp_eq_u16_sdwa s43, v12, v113 src0_sel:BYTE_3 src1_sel:DWORD
	s_mov_b32 s14, -1
	s_and_saveexec_b32 s42, s43
; %bb.1948:                             ;   in Loop: Header=BB4_1543 Depth=2
	s_xor_b32 s14, exec_lo, -1
; %bb.1949:                             ;   in Loop: Header=BB4_1543 Depth=2
	s_or_b32 exec_lo, exec_lo, s42
	s_and_b32 s14, s14, exec_lo
	s_or_saveexec_b32 s41, s41
	v_mov_b32_e32 v42, 0x7f800001
	s_xor_b32 exec_lo, exec_lo, s41
	s_cbranch_execnz .LBB4_2208
.LBB4_1950:                             ;   in Loop: Header=BB4_1543 Depth=2
	s_or_b32 exec_lo, exec_lo, s41
	s_and_saveexec_b32 s41, s14
.LBB4_1951:                             ;   in Loop: Header=BB4_1543 Depth=2
	v_mov_b32_e32 v42, v10
.LBB4_1952:                             ;   in Loop: Header=BB4_1543 Depth=2
	s_or_b32 exec_lo, exec_lo, s41
	v_max_f32_e32 v42, v42, v42
	v_max_f32_e32 v11, v11, v11
	s_mov_b32 s14, 0
	v_max_f32_e32 v11, v11, v42
.LBB4_1953:                             ;   in Loop: Header=BB4_1543 Depth=2
	s_and_b32 vcc_lo, exec_lo, s14
	s_cbranch_vccz .LBB4_1967
; %bb.1954:                             ;   in Loop: Header=BB4_1543 Depth=2
	v_cmp_gt_i16_sdwa s41, v16, v112 src0_sel:BYTE_3 src1_sel:DWORD
	s_mov_b32 s14, 0
	s_and_saveexec_b32 s42, s41
	s_xor_b32 s41, exec_lo, s42
	s_cbranch_execz .LBB4_2209
; %bb.1955:                             ;   in Loop: Header=BB4_1543 Depth=2
	v_cmp_eq_u16_sdwa s43, v16, v113 src0_sel:BYTE_3 src1_sel:DWORD
	s_mov_b32 s14, -1
	s_and_saveexec_b32 s42, s43
; %bb.1956:                             ;   in Loop: Header=BB4_1543 Depth=2
	s_xor_b32 s14, exec_lo, -1
; %bb.1957:                             ;   in Loop: Header=BB4_1543 Depth=2
	s_or_b32 exec_lo, exec_lo, s42
	s_and_b32 s14, s14, exec_lo
	s_or_saveexec_b32 s41, s41
	v_mov_b32_e32 v11, 0x7f800001
	s_xor_b32 exec_lo, exec_lo, s41
	s_cbranch_execnz .LBB4_2210
.LBB4_1958:                             ;   in Loop: Header=BB4_1543 Depth=2
	s_or_b32 exec_lo, exec_lo, s41
	s_and_saveexec_b32 s41, s14
	s_cbranch_execz .LBB4_1960
.LBB4_1959:                             ;   in Loop: Header=BB4_1543 Depth=2
	v_bfe_u32 v11, v16, 24, 2
	v_bfe_u32 v44, v16, 26, 5
	v_ffbh_u32_e32 v42, v11
	v_cmp_eq_u32_e32 vcc_lo, 0, v44
	v_min_u32_e32 v42, 32, v42
	v_subrev_nc_u32_e32 v43, 29, v42
	v_sub_nc_u32_e32 v42, 30, v42
	v_lshlrev_b32_sdwa v43, v43, v16 dst_sel:DWORD dst_unused:UNUSED_PAD src0_sel:DWORD src1_sel:BYTE_3
	v_cndmask_b32_e32 v42, v44, v42, vcc_lo
	v_and_b32_e32 v16, 0x80000000, v16
	v_and_b32_e32 v43, 3, v43
	v_lshl_add_u32 v42, v42, 23, 0x37800000
	v_cndmask_b32_e32 v11, v11, v43, vcc_lo
	v_lshlrev_b32_e32 v11, 21, v11
	v_or3_b32 v11, v16, v42, v11
.LBB4_1960:                             ;   in Loop: Header=BB4_1543 Depth=2
	s_or_b32 exec_lo, exec_lo, s41
	v_cmp_gt_i16_sdwa s41, v12, v112 src0_sel:BYTE_3 src1_sel:DWORD
	s_mov_b32 s14, 0
	s_and_saveexec_b32 s42, s41
	s_xor_b32 s41, exec_lo, s42
	s_cbranch_execz .LBB4_2211
; %bb.1961:                             ;   in Loop: Header=BB4_1543 Depth=2
	v_cmp_eq_u16_sdwa s43, v12, v113 src0_sel:BYTE_3 src1_sel:DWORD
	s_mov_b32 s14, -1
	s_and_saveexec_b32 s42, s43
; %bb.1962:                             ;   in Loop: Header=BB4_1543 Depth=2
	s_xor_b32 s14, exec_lo, -1
; %bb.1963:                             ;   in Loop: Header=BB4_1543 Depth=2
	s_or_b32 exec_lo, exec_lo, s42
	s_and_b32 s14, s14, exec_lo
	s_or_saveexec_b32 s41, s41
	v_mov_b32_e32 v16, 0x7f800001
	s_xor_b32 exec_lo, exec_lo, s41
	s_cbranch_execnz .LBB4_2212
.LBB4_1964:                             ;   in Loop: Header=BB4_1543 Depth=2
	s_or_b32 exec_lo, exec_lo, s41
	s_and_saveexec_b32 s41, s14
.LBB4_1965:                             ;   in Loop: Header=BB4_1543 Depth=2
	v_mov_b32_e32 v16, v10
.LBB4_1966:                             ;   in Loop: Header=BB4_1543 Depth=2
	s_or_b32 exec_lo, exec_lo, s41
	v_max_f32_e32 v10, v16, v16
	v_max_f32_e32 v11, v11, v11
	v_min_f32_e32 v11, v11, v10
.LBB4_1967:                             ;   in Loop: Header=BB4_1543 Depth=2
	v_and_b32_e32 v10, 0x7f800000, v11
	v_mov_b32_e32 v16, 0x8000
	s_mov_b32 s41, exec_lo
	v_cmpx_ne_u32_e32 0x7f800000, v10
	s_cbranch_execz .LBB4_1975
; %bb.1968:                             ;   in Loop: Header=BB4_1543 Depth=2
	v_mov_b32_e32 v16, 0
	s_mov_b32 s42, exec_lo
	v_cmpx_ne_u32_e32 0, v11
	s_cbranch_execz .LBB4_1974
; %bb.1969:                             ;   in Loop: Header=BB4_1543 Depth=2
	v_bfe_u32 v10, v11, 23, 8
	v_and_b32_e32 v12, 0x7fffff, v11
	v_sub_nc_u32_e32 v16, 0x70, v10
	v_cmp_gt_u32_e32 vcc_lo, 0x71, v10
	v_or_b32_e32 v42, 0x800000, v12
	v_cndmask_b32_e32 v16, 0, v16, vcc_lo
	v_cmp_eq_u32_e32 vcc_lo, 0, v10
	v_add_nc_u32_e32 v10, 0xffffff91, v10
	v_cndmask_b32_e64 v16, v16, 0x6f, vcc_lo
	v_cndmask_b32_e32 v12, v42, v12, vcc_lo
	v_cndmask_b32_e64 v10, v10, 0xffffff92, vcc_lo
	v_lshl_add_u32 v42, 0x200000, v16, -1
	v_lshrrev_b32_e32 v43, v16, v12
	v_lshlrev_b32_e64 v45, v16, 0x100000
	v_add_nc_u32_e32 v16, v16, v10
	v_and_b32_e32 v12, v42, v12
	v_bfe_u32 v44, v43, 21, 1
	v_cmp_eq_u32_e64 s14, v12, v45
	v_add_nc_u32_e32 v42, -1, v44
	v_cndmask_b32_e64 v12, 0, v42, s14
	v_lshrrev_b32_e32 v42, 23, v43
	s_mov_b32 s14, exec_lo
	v_add_nc_u32_e32 v12, v12, v43
	v_xor_b32_e32 v42, 1, v42
	v_and_b32_e32 v10, 0x1fffff, v12
	v_add_nc_u32_e32 v12, v10, v43
                                        ; implicit-def: $vgpr10
	v_cmpx_ne_u32_e64 v16, v42
	s_xor_b32 s14, exec_lo, s14
; %bb.1970:                             ;   in Loop: Header=BB4_1543 Depth=2
	v_cmp_lt_u32_e32 vcc_lo, 0xffffff, v12
	v_sub_nc_u32_e32 v10, v16, v42
	v_cndmask_b32_e64 v16, 0, 1, vcc_lo
	v_add_co_ci_u32_e64 v10, null, 0, v10, vcc_lo
	v_lshrrev_b32_e32 v12, v16, v12
; %bb.1971:                             ;   in Loop: Header=BB4_1543 Depth=2
	s_andn2_saveexec_b32 s14, s14
; %bb.1972:                             ;   in Loop: Header=BB4_1543 Depth=2
	v_bfe_u32 v10, v12, 23, 1
; %bb.1973:                             ;   in Loop: Header=BB4_1543 Depth=2
	s_or_b32 exec_lo, exec_lo, s14
	v_lshrrev_b32_e32 v12, 21, v12
	v_min_i32_e32 v16, 31, v10
	v_cmp_gt_i32_e32 vcc_lo, 32, v10
	v_and_b32_sdwa v11, v11, v113 dst_sel:DWORD dst_unused:UNUSED_PAD src0_sel:BYTE_3 src1_sel:DWORD
	v_lshlrev_b32_e32 v16, 2, v16
	v_cndmask_b32_e32 v12, 3, v12, vcc_lo
	v_and_b32_e32 v16, 0xfc, v16
	v_and_b32_e32 v42, 3, v12
	v_or_b32_e32 v10, v10, v12
	v_or3_b32 v11, v11, v16, v42
	v_cmp_ne_u32_e32 vcc_lo, 0, v10
	v_lshlrev_b32_e32 v11, 8, v11
	v_cndmask_b32_e32 v16, 0, v11, vcc_lo
.LBB4_1974:                             ;   in Loop: Header=BB4_1543 Depth=2
	s_or_b32 exec_lo, exec_lo, s42
.LBB4_1975:                             ;   in Loop: Header=BB4_1543 Depth=2
	s_or_b32 exec_lo, exec_lo, s41
	v_and_b32_e32 v10, 3, v13
	v_bfe_u32 v42, v13, 2, 5
	v_lshlrev_b32_e32 v43, 24, v13
	v_cmp_gt_i16_sdwa s41, v17, v112 src0_sel:BYTE_0 src1_sel:DWORD
	s_mov_b32 s14, -1
	v_ffbh_u32_e32 v11, v10
	v_cmp_eq_u32_e32 vcc_lo, 0, v42
	v_min_u32_e32 v11, 32, v11
	v_subrev_nc_u32_e32 v12, 29, v11
	v_sub_nc_u32_e32 v11, 30, v11
	v_lshlrev_b32_e32 v12, v12, v13
	v_cndmask_b32_e32 v11, v42, v11, vcc_lo
	v_and_b32_e32 v12, 3, v12
	v_lshl_add_u32 v11, v11, 23, 0x37800000
	v_cndmask_b32_e32 v10, v10, v12, vcc_lo
	v_and_b32_e32 v12, 0x80000000, v43
	s_and_b32 vcc_lo, exec_lo, s40
	v_lshlrev_b32_e32 v10, 21, v10
	v_or3_b32 v10, v12, v11, v10
                                        ; implicit-def: $vgpr11
	s_cbranch_vccz .LBB4_1989
; %bb.1976:                             ;   in Loop: Header=BB4_1543 Depth=2
	s_mov_b32 s14, 0
	s_and_saveexec_b32 s42, s41
	s_xor_b32 s41, exec_lo, s42
	s_cbranch_execz .LBB4_2213
; %bb.1977:                             ;   in Loop: Header=BB4_1543 Depth=2
	v_cmp_eq_u16_sdwa s43, v17, v113 src0_sel:BYTE_0 src1_sel:DWORD
	s_mov_b32 s14, -1
	s_and_saveexec_b32 s42, s43
; %bb.1978:                             ;   in Loop: Header=BB4_1543 Depth=2
	s_xor_b32 s14, exec_lo, -1
; %bb.1979:                             ;   in Loop: Header=BB4_1543 Depth=2
	s_or_b32 exec_lo, exec_lo, s42
	s_and_b32 s14, s14, exec_lo
	s_or_saveexec_b32 s41, s41
	v_mov_b32_e32 v11, 0x7f800001
	s_xor_b32 exec_lo, exec_lo, s41
	s_cbranch_execnz .LBB4_2214
.LBB4_1980:                             ;   in Loop: Header=BB4_1543 Depth=2
	s_or_b32 exec_lo, exec_lo, s41
	s_and_saveexec_b32 s41, s14
	s_cbranch_execz .LBB4_1982
.LBB4_1981:                             ;   in Loop: Header=BB4_1543 Depth=2
	v_and_b32_e32 v11, 3, v17
	v_bfe_u32 v43, v17, 2, 5
	v_lshlrev_b32_e32 v44, 24, v17
	v_ffbh_u32_e32 v12, v11
	v_cmp_eq_u32_e32 vcc_lo, 0, v43
	v_min_u32_e32 v12, 32, v12
	v_subrev_nc_u32_e32 v42, 29, v12
	v_sub_nc_u32_e32 v12, 30, v12
	v_lshlrev_b32_e32 v42, v42, v17
	v_cndmask_b32_e32 v12, v43, v12, vcc_lo
	v_and_b32_e32 v42, 3, v42
	v_lshl_add_u32 v12, v12, 23, 0x37800000
	v_cndmask_b32_e32 v11, v11, v42, vcc_lo
	v_and_b32_e32 v42, 0x80000000, v44
	v_lshlrev_b32_e32 v11, 21, v11
	v_or3_b32 v11, v42, v12, v11
.LBB4_1982:                             ;   in Loop: Header=BB4_1543 Depth=2
	s_or_b32 exec_lo, exec_lo, s41
	v_cmp_gt_i16_sdwa s41, v13, v112 src0_sel:BYTE_0 src1_sel:DWORD
	s_mov_b32 s14, 0
	s_and_saveexec_b32 s42, s41
	s_xor_b32 s41, exec_lo, s42
	s_cbranch_execz .LBB4_2215
; %bb.1983:                             ;   in Loop: Header=BB4_1543 Depth=2
	v_cmp_eq_u16_sdwa s43, v13, v113 src0_sel:BYTE_0 src1_sel:DWORD
	s_mov_b32 s14, -1
	s_and_saveexec_b32 s42, s43
; %bb.1984:                             ;   in Loop: Header=BB4_1543 Depth=2
	s_xor_b32 s14, exec_lo, -1
; %bb.1985:                             ;   in Loop: Header=BB4_1543 Depth=2
	s_or_b32 exec_lo, exec_lo, s42
	s_and_b32 s14, s14, exec_lo
	s_or_saveexec_b32 s41, s41
	v_mov_b32_e32 v12, 0x7f800001
	s_xor_b32 exec_lo, exec_lo, s41
	s_cbranch_execnz .LBB4_2216
.LBB4_1986:                             ;   in Loop: Header=BB4_1543 Depth=2
	s_or_b32 exec_lo, exec_lo, s41
	s_and_saveexec_b32 s41, s14
.LBB4_1987:                             ;   in Loop: Header=BB4_1543 Depth=2
	v_mov_b32_e32 v12, v10
.LBB4_1988:                             ;   in Loop: Header=BB4_1543 Depth=2
	s_or_b32 exec_lo, exec_lo, s41
	v_max_f32_e32 v12, v12, v12
	v_max_f32_e32 v11, v11, v11
	s_mov_b32 s14, 0
	v_max_f32_e32 v11, v11, v12
.LBB4_1989:                             ;   in Loop: Header=BB4_1543 Depth=2
	s_and_b32 vcc_lo, exec_lo, s14
	s_cbranch_vccz .LBB4_2003
; %bb.1990:                             ;   in Loop: Header=BB4_1543 Depth=2
	v_cmp_gt_i16_sdwa s41, v17, v112 src0_sel:BYTE_0 src1_sel:DWORD
	s_mov_b32 s14, 0
	s_and_saveexec_b32 s42, s41
	s_xor_b32 s41, exec_lo, s42
	s_cbranch_execz .LBB4_2217
; %bb.1991:                             ;   in Loop: Header=BB4_1543 Depth=2
	v_cmp_eq_u16_sdwa s43, v17, v113 src0_sel:BYTE_0 src1_sel:DWORD
	s_mov_b32 s14, -1
	s_and_saveexec_b32 s42, s43
; %bb.1992:                             ;   in Loop: Header=BB4_1543 Depth=2
	s_xor_b32 s14, exec_lo, -1
; %bb.1993:                             ;   in Loop: Header=BB4_1543 Depth=2
	s_or_b32 exec_lo, exec_lo, s42
	s_and_b32 s14, s14, exec_lo
	s_or_saveexec_b32 s41, s41
	v_mov_b32_e32 v11, 0x7f800001
	s_xor_b32 exec_lo, exec_lo, s41
	s_cbranch_execnz .LBB4_2218
.LBB4_1994:                             ;   in Loop: Header=BB4_1543 Depth=2
	s_or_b32 exec_lo, exec_lo, s41
	s_and_saveexec_b32 s41, s14
	s_cbranch_execz .LBB4_1996
.LBB4_1995:                             ;   in Loop: Header=BB4_1543 Depth=2
	v_and_b32_e32 v11, 3, v17
	v_bfe_u32 v43, v17, 2, 5
	v_lshlrev_b32_e32 v44, 24, v17
	v_ffbh_u32_e32 v12, v11
	v_cmp_eq_u32_e32 vcc_lo, 0, v43
	v_min_u32_e32 v12, 32, v12
	v_subrev_nc_u32_e32 v42, 29, v12
	v_sub_nc_u32_e32 v12, 30, v12
	v_lshlrev_b32_e32 v42, v42, v17
	v_cndmask_b32_e32 v12, v43, v12, vcc_lo
	v_and_b32_e32 v42, 3, v42
	v_lshl_add_u32 v12, v12, 23, 0x37800000
	v_cndmask_b32_e32 v11, v11, v42, vcc_lo
	v_and_b32_e32 v42, 0x80000000, v44
	v_lshlrev_b32_e32 v11, 21, v11
	v_or3_b32 v11, v42, v12, v11
.LBB4_1996:                             ;   in Loop: Header=BB4_1543 Depth=2
	s_or_b32 exec_lo, exec_lo, s41
	v_cmp_gt_i16_sdwa s41, v13, v112 src0_sel:BYTE_0 src1_sel:DWORD
	s_mov_b32 s14, 0
	s_and_saveexec_b32 s42, s41
	s_xor_b32 s41, exec_lo, s42
	s_cbranch_execz .LBB4_2219
; %bb.1997:                             ;   in Loop: Header=BB4_1543 Depth=2
	v_cmp_eq_u16_sdwa s43, v13, v113 src0_sel:BYTE_0 src1_sel:DWORD
	s_mov_b32 s14, -1
	s_and_saveexec_b32 s42, s43
; %bb.1998:                             ;   in Loop: Header=BB4_1543 Depth=2
	s_xor_b32 s14, exec_lo, -1
; %bb.1999:                             ;   in Loop: Header=BB4_1543 Depth=2
	s_or_b32 exec_lo, exec_lo, s42
	s_and_b32 s14, s14, exec_lo
	s_or_saveexec_b32 s41, s41
	v_mov_b32_e32 v12, 0x7f800001
	s_xor_b32 exec_lo, exec_lo, s41
	s_cbranch_execnz .LBB4_2220
.LBB4_2000:                             ;   in Loop: Header=BB4_1543 Depth=2
	s_or_b32 exec_lo, exec_lo, s41
	s_and_saveexec_b32 s41, s14
.LBB4_2001:                             ;   in Loop: Header=BB4_1543 Depth=2
	v_mov_b32_e32 v12, v10
.LBB4_2002:                             ;   in Loop: Header=BB4_1543 Depth=2
	s_or_b32 exec_lo, exec_lo, s41
	v_max_f32_e32 v10, v12, v12
	v_max_f32_e32 v11, v11, v11
	v_min_f32_e32 v11, v11, v10
.LBB4_2003:                             ;   in Loop: Header=BB4_1543 Depth=2
	v_and_b32_e32 v10, 0x7f800000, v11
	v_mov_b32_e32 v42, 0x80
	s_mov_b32 s41, exec_lo
	v_cmpx_ne_u32_e32 0x7f800000, v10
	s_cbranch_execz .LBB4_2011
; %bb.2004:                             ;   in Loop: Header=BB4_1543 Depth=2
	v_mov_b32_e32 v42, 0
	s_mov_b32 s42, exec_lo
	v_cmpx_ne_u32_e32 0, v11
	s_cbranch_execz .LBB4_2010
; %bb.2005:                             ;   in Loop: Header=BB4_1543 Depth=2
	v_bfe_u32 v10, v11, 23, 8
	v_and_b32_e32 v12, 0x7fffff, v11
	v_sub_nc_u32_e32 v42, 0x70, v10
	v_cmp_gt_u32_e32 vcc_lo, 0x71, v10
	v_or_b32_e32 v43, 0x800000, v12
	v_cndmask_b32_e32 v42, 0, v42, vcc_lo
	v_cmp_eq_u32_e32 vcc_lo, 0, v10
	v_add_nc_u32_e32 v10, 0xffffff91, v10
	v_cndmask_b32_e64 v42, v42, 0x6f, vcc_lo
	v_cndmask_b32_e32 v12, v43, v12, vcc_lo
	v_cndmask_b32_e64 v10, v10, 0xffffff92, vcc_lo
	v_lshl_add_u32 v43, 0x200000, v42, -1
	v_lshrrev_b32_e32 v44, v42, v12
	v_lshlrev_b32_e64 v46, v42, 0x100000
	v_add_nc_u32_e32 v42, v42, v10
	v_and_b32_e32 v12, v43, v12
	v_bfe_u32 v45, v44, 21, 1
	v_cmp_eq_u32_e64 s14, v12, v46
	v_add_nc_u32_e32 v43, -1, v45
	v_cndmask_b32_e64 v12, 0, v43, s14
	v_lshrrev_b32_e32 v43, 23, v44
	s_mov_b32 s14, exec_lo
	v_add_nc_u32_e32 v12, v12, v44
	v_xor_b32_e32 v43, 1, v43
	v_and_b32_e32 v10, 0x1fffff, v12
	v_add_nc_u32_e32 v12, v10, v44
                                        ; implicit-def: $vgpr10
	v_cmpx_ne_u32_e64 v42, v43
	s_xor_b32 s14, exec_lo, s14
; %bb.2006:                             ;   in Loop: Header=BB4_1543 Depth=2
	v_cmp_lt_u32_e32 vcc_lo, 0xffffff, v12
	v_sub_nc_u32_e32 v10, v42, v43
	v_cndmask_b32_e64 v42, 0, 1, vcc_lo
	v_add_co_ci_u32_e64 v10, null, 0, v10, vcc_lo
	v_lshrrev_b32_e32 v12, v42, v12
; %bb.2007:                             ;   in Loop: Header=BB4_1543 Depth=2
	s_andn2_saveexec_b32 s14, s14
; %bb.2008:                             ;   in Loop: Header=BB4_1543 Depth=2
	v_bfe_u32 v10, v12, 23, 1
; %bb.2009:                             ;   in Loop: Header=BB4_1543 Depth=2
	s_or_b32 exec_lo, exec_lo, s14
	v_lshrrev_b32_e32 v12, 21, v12
	v_min_i32_e32 v42, 31, v10
	v_cmp_gt_i32_e32 vcc_lo, 32, v10
	v_and_b32_sdwa v11, v11, v113 dst_sel:DWORD dst_unused:UNUSED_PAD src0_sel:BYTE_3 src1_sel:DWORD
	v_lshlrev_b32_e32 v42, 2, v42
	v_cndmask_b32_e32 v12, 3, v12, vcc_lo
	v_and_b32_e32 v42, 0xfc, v42
	v_and_b32_e32 v43, 3, v12
	v_or_b32_e32 v10, v10, v12
	v_or3_b32 v11, v42, v11, v43
	v_cmp_ne_u32_e32 vcc_lo, 0, v10
	v_cndmask_b32_e32 v42, 0, v11, vcc_lo
.LBB4_2010:                             ;   in Loop: Header=BB4_1543 Depth=2
	s_or_b32 exec_lo, exec_lo, s42
.LBB4_2011:                             ;   in Loop: Header=BB4_1543 Depth=2
	s_or_b32 exec_lo, exec_lo, s41
	v_and_b32_sdwa v10, v114, v13 dst_sel:DWORD dst_unused:UNUSED_PAD src0_sel:DWORD src1_sel:BYTE_1
	v_cmp_gt_i16_sdwa s41, v17, v112 src0_sel:BYTE_1 src1_sel:DWORD
	s_mov_b32 s14, -1
	v_and_b32_e32 v11, 3, v10
	v_bfe_u32 v44, v10, 2, 5
	v_ffbh_u32_e32 v12, v11
	v_cmp_eq_u32_e32 vcc_lo, 0, v44
	v_min_u32_e32 v12, 32, v12
	v_subrev_nc_u32_e32 v43, 29, v12
	v_sub_nc_u32_e32 v12, 30, v12
	v_lshlrev_b32_e32 v10, v43, v10
	v_lshlrev_b32_sdwa v43, v116, v13 dst_sel:DWORD dst_unused:UNUSED_PAD src0_sel:DWORD src1_sel:BYTE_1
	v_cndmask_b32_e32 v12, v44, v12, vcc_lo
	v_and_b32_e32 v10, 3, v10
	v_lshl_add_u32 v12, v12, 23, 0x37800000
	v_cndmask_b32_e32 v10, v11, v10, vcc_lo
	v_and_b32_e32 v11, 0x80000000, v43
	s_and_b32 vcc_lo, exec_lo, s40
	v_lshlrev_b32_e32 v10, 21, v10
	v_or3_b32 v10, v11, v12, v10
                                        ; implicit-def: $vgpr11
	s_cbranch_vccz .LBB4_2025
; %bb.2012:                             ;   in Loop: Header=BB4_1543 Depth=2
	s_mov_b32 s14, 0
	s_and_saveexec_b32 s42, s41
	s_xor_b32 s41, exec_lo, s42
	s_cbranch_execz .LBB4_2221
; %bb.2013:                             ;   in Loop: Header=BB4_1543 Depth=2
	v_cmp_eq_u16_sdwa s43, v17, v113 src0_sel:BYTE_1 src1_sel:DWORD
	s_mov_b32 s14, -1
	s_and_saveexec_b32 s42, s43
; %bb.2014:                             ;   in Loop: Header=BB4_1543 Depth=2
	s_xor_b32 s14, exec_lo, -1
; %bb.2015:                             ;   in Loop: Header=BB4_1543 Depth=2
	s_or_b32 exec_lo, exec_lo, s42
	s_and_b32 s14, s14, exec_lo
	s_or_saveexec_b32 s41, s41
	v_mov_b32_e32 v11, 0x7f800001
	s_xor_b32 exec_lo, exec_lo, s41
	s_cbranch_execnz .LBB4_2222
.LBB4_2016:                             ;   in Loop: Header=BB4_1543 Depth=2
	s_or_b32 exec_lo, exec_lo, s41
	s_and_saveexec_b32 s41, s14
	s_cbranch_execz .LBB4_2018
.LBB4_2017:                             ;   in Loop: Header=BB4_1543 Depth=2
	v_and_b32_sdwa v11, v114, v17 dst_sel:DWORD dst_unused:UNUSED_PAD src0_sel:DWORD src1_sel:BYTE_1
	v_and_b32_e32 v12, 3, v11
	v_bfe_u32 v45, v11, 2, 5
	v_ffbh_u32_e32 v43, v12
	v_cmp_eq_u32_e32 vcc_lo, 0, v45
	v_min_u32_e32 v43, 32, v43
	v_subrev_nc_u32_e32 v44, 29, v43
	v_sub_nc_u32_e32 v43, 30, v43
	v_lshlrev_b32_e32 v11, v44, v11
	v_lshlrev_b32_e32 v44, 16, v17
	v_cndmask_b32_e32 v43, v45, v43, vcc_lo
	v_and_b32_e32 v11, 3, v11
	v_lshl_add_u32 v43, v43, 23, 0x37800000
	v_cndmask_b32_e32 v11, v12, v11, vcc_lo
	v_and_b32_e32 v12, 0x80000000, v44
	v_lshlrev_b32_e32 v11, 21, v11
	v_or3_b32 v11, v12, v43, v11
.LBB4_2018:                             ;   in Loop: Header=BB4_1543 Depth=2
	s_or_b32 exec_lo, exec_lo, s41
	v_cmp_gt_i16_sdwa s41, v13, v112 src0_sel:BYTE_1 src1_sel:DWORD
	s_mov_b32 s14, 0
	s_and_saveexec_b32 s42, s41
	s_xor_b32 s41, exec_lo, s42
	s_cbranch_execz .LBB4_2223
; %bb.2019:                             ;   in Loop: Header=BB4_1543 Depth=2
	v_cmp_eq_u16_sdwa s43, v13, v113 src0_sel:BYTE_1 src1_sel:DWORD
	s_mov_b32 s14, -1
	s_and_saveexec_b32 s42, s43
; %bb.2020:                             ;   in Loop: Header=BB4_1543 Depth=2
	s_xor_b32 s14, exec_lo, -1
; %bb.2021:                             ;   in Loop: Header=BB4_1543 Depth=2
	s_or_b32 exec_lo, exec_lo, s42
	s_and_b32 s14, s14, exec_lo
	s_or_saveexec_b32 s41, s41
	v_mov_b32_e32 v12, 0x7f800001
	s_xor_b32 exec_lo, exec_lo, s41
	s_cbranch_execnz .LBB4_2224
.LBB4_2022:                             ;   in Loop: Header=BB4_1543 Depth=2
	s_or_b32 exec_lo, exec_lo, s41
	s_and_saveexec_b32 s41, s14
.LBB4_2023:                             ;   in Loop: Header=BB4_1543 Depth=2
	v_mov_b32_e32 v12, v10
.LBB4_2024:                             ;   in Loop: Header=BB4_1543 Depth=2
	s_or_b32 exec_lo, exec_lo, s41
	v_max_f32_e32 v12, v12, v12
	v_max_f32_e32 v11, v11, v11
	s_mov_b32 s14, 0
	v_max_f32_e32 v11, v11, v12
.LBB4_2025:                             ;   in Loop: Header=BB4_1543 Depth=2
	s_and_b32 vcc_lo, exec_lo, s14
	s_cbranch_vccz .LBB4_2039
; %bb.2026:                             ;   in Loop: Header=BB4_1543 Depth=2
	v_cmp_gt_i16_sdwa s41, v17, v112 src0_sel:BYTE_1 src1_sel:DWORD
	s_mov_b32 s14, 0
	s_and_saveexec_b32 s42, s41
	s_xor_b32 s41, exec_lo, s42
	s_cbranch_execz .LBB4_2225
; %bb.2027:                             ;   in Loop: Header=BB4_1543 Depth=2
	v_cmp_eq_u16_sdwa s43, v17, v113 src0_sel:BYTE_1 src1_sel:DWORD
	s_mov_b32 s14, -1
	s_and_saveexec_b32 s42, s43
; %bb.2028:                             ;   in Loop: Header=BB4_1543 Depth=2
	s_xor_b32 s14, exec_lo, -1
; %bb.2029:                             ;   in Loop: Header=BB4_1543 Depth=2
	s_or_b32 exec_lo, exec_lo, s42
	s_and_b32 s14, s14, exec_lo
	s_or_saveexec_b32 s41, s41
	v_mov_b32_e32 v11, 0x7f800001
	s_xor_b32 exec_lo, exec_lo, s41
	s_cbranch_execnz .LBB4_2226
.LBB4_2030:                             ;   in Loop: Header=BB4_1543 Depth=2
	s_or_b32 exec_lo, exec_lo, s41
	s_and_saveexec_b32 s41, s14
	s_cbranch_execz .LBB4_2032
.LBB4_2031:                             ;   in Loop: Header=BB4_1543 Depth=2
	v_and_b32_sdwa v11, v114, v17 dst_sel:DWORD dst_unused:UNUSED_PAD src0_sel:DWORD src1_sel:BYTE_1
	v_and_b32_e32 v12, 3, v11
	v_bfe_u32 v45, v11, 2, 5
	v_ffbh_u32_e32 v43, v12
	v_cmp_eq_u32_e32 vcc_lo, 0, v45
	v_min_u32_e32 v43, 32, v43
	v_subrev_nc_u32_e32 v44, 29, v43
	v_sub_nc_u32_e32 v43, 30, v43
	v_lshlrev_b32_e32 v11, v44, v11
	v_lshlrev_b32_e32 v44, 16, v17
	v_cndmask_b32_e32 v43, v45, v43, vcc_lo
	v_and_b32_e32 v11, 3, v11
	v_lshl_add_u32 v43, v43, 23, 0x37800000
	v_cndmask_b32_e32 v11, v12, v11, vcc_lo
	v_and_b32_e32 v12, 0x80000000, v44
	v_lshlrev_b32_e32 v11, 21, v11
	v_or3_b32 v11, v12, v43, v11
.LBB4_2032:                             ;   in Loop: Header=BB4_1543 Depth=2
	s_or_b32 exec_lo, exec_lo, s41
	v_cmp_gt_i16_sdwa s41, v13, v112 src0_sel:BYTE_1 src1_sel:DWORD
	s_mov_b32 s14, 0
	s_and_saveexec_b32 s42, s41
	s_xor_b32 s41, exec_lo, s42
	s_cbranch_execz .LBB4_2227
; %bb.2033:                             ;   in Loop: Header=BB4_1543 Depth=2
	v_cmp_eq_u16_sdwa s43, v13, v113 src0_sel:BYTE_1 src1_sel:DWORD
	s_mov_b32 s14, -1
	s_and_saveexec_b32 s42, s43
; %bb.2034:                             ;   in Loop: Header=BB4_1543 Depth=2
	s_xor_b32 s14, exec_lo, -1
; %bb.2035:                             ;   in Loop: Header=BB4_1543 Depth=2
	s_or_b32 exec_lo, exec_lo, s42
	s_and_b32 s14, s14, exec_lo
	s_or_saveexec_b32 s41, s41
	v_mov_b32_e32 v12, 0x7f800001
	s_xor_b32 exec_lo, exec_lo, s41
	s_cbranch_execnz .LBB4_2228
.LBB4_2036:                             ;   in Loop: Header=BB4_1543 Depth=2
	s_or_b32 exec_lo, exec_lo, s41
	s_and_saveexec_b32 s41, s14
.LBB4_2037:                             ;   in Loop: Header=BB4_1543 Depth=2
	v_mov_b32_e32 v12, v10
.LBB4_2038:                             ;   in Loop: Header=BB4_1543 Depth=2
	s_or_b32 exec_lo, exec_lo, s41
	v_max_f32_e32 v10, v12, v12
	v_max_f32_e32 v11, v11, v11
	v_min_f32_e32 v11, v11, v10
.LBB4_2039:                             ;   in Loop: Header=BB4_1543 Depth=2
	v_and_b32_e32 v10, 0x7f800000, v11
	v_mov_b32_e32 v43, 0x8000
	s_mov_b32 s41, exec_lo
	v_cmpx_ne_u32_e32 0x7f800000, v10
	s_cbranch_execz .LBB4_2047
; %bb.2040:                             ;   in Loop: Header=BB4_1543 Depth=2
	v_mov_b32_e32 v43, 0
	s_mov_b32 s42, exec_lo
	v_cmpx_ne_u32_e32 0, v11
	s_cbranch_execz .LBB4_2046
; %bb.2041:                             ;   in Loop: Header=BB4_1543 Depth=2
	v_bfe_u32 v10, v11, 23, 8
	v_and_b32_e32 v12, 0x7fffff, v11
	v_sub_nc_u32_e32 v43, 0x70, v10
	v_cmp_gt_u32_e32 vcc_lo, 0x71, v10
	v_or_b32_e32 v44, 0x800000, v12
	v_cndmask_b32_e32 v43, 0, v43, vcc_lo
	v_cmp_eq_u32_e32 vcc_lo, 0, v10
	v_add_nc_u32_e32 v10, 0xffffff91, v10
	v_cndmask_b32_e64 v43, v43, 0x6f, vcc_lo
	v_cndmask_b32_e32 v12, v44, v12, vcc_lo
	v_cndmask_b32_e64 v10, v10, 0xffffff92, vcc_lo
	v_lshl_add_u32 v44, 0x200000, v43, -1
	v_lshrrev_b32_e32 v45, v43, v12
	v_lshlrev_b32_e64 v47, v43, 0x100000
	v_add_nc_u32_e32 v43, v43, v10
	v_and_b32_e32 v12, v44, v12
	v_bfe_u32 v46, v45, 21, 1
	v_cmp_eq_u32_e64 s14, v12, v47
	v_add_nc_u32_e32 v44, -1, v46
	v_cndmask_b32_e64 v12, 0, v44, s14
	v_lshrrev_b32_e32 v44, 23, v45
	s_mov_b32 s14, exec_lo
	v_add_nc_u32_e32 v12, v12, v45
	v_xor_b32_e32 v44, 1, v44
	v_and_b32_e32 v10, 0x1fffff, v12
	v_add_nc_u32_e32 v12, v10, v45
                                        ; implicit-def: $vgpr10
	v_cmpx_ne_u32_e64 v43, v44
	s_xor_b32 s14, exec_lo, s14
; %bb.2042:                             ;   in Loop: Header=BB4_1543 Depth=2
	v_cmp_lt_u32_e32 vcc_lo, 0xffffff, v12
	v_sub_nc_u32_e32 v10, v43, v44
	v_cndmask_b32_e64 v43, 0, 1, vcc_lo
	v_add_co_ci_u32_e64 v10, null, 0, v10, vcc_lo
	v_lshrrev_b32_e32 v12, v43, v12
; %bb.2043:                             ;   in Loop: Header=BB4_1543 Depth=2
	s_andn2_saveexec_b32 s14, s14
; %bb.2044:                             ;   in Loop: Header=BB4_1543 Depth=2
	v_bfe_u32 v10, v12, 23, 1
; %bb.2045:                             ;   in Loop: Header=BB4_1543 Depth=2
	s_or_b32 exec_lo, exec_lo, s14
	v_lshrrev_b32_e32 v12, 21, v12
	v_min_i32_e32 v43, 31, v10
	v_cmp_gt_i32_e32 vcc_lo, 32, v10
	v_and_b32_sdwa v11, v11, v113 dst_sel:DWORD dst_unused:UNUSED_PAD src0_sel:BYTE_3 src1_sel:DWORD
	v_lshlrev_b32_e32 v43, 2, v43
	v_cndmask_b32_e32 v12, 3, v12, vcc_lo
	v_and_b32_e32 v43, 0xfc, v43
	v_and_b32_e32 v44, 3, v12
	v_or_b32_e32 v10, v10, v12
	v_or3_b32 v11, v11, v43, v44
	v_cmp_ne_u32_e32 vcc_lo, 0, v10
	v_lshlrev_b32_e32 v11, 8, v11
	v_cndmask_b32_e32 v43, 0, v11, vcc_lo
.LBB4_2046:                             ;   in Loop: Header=BB4_1543 Depth=2
	s_or_b32 exec_lo, exec_lo, s42
.LBB4_2047:                             ;   in Loop: Header=BB4_1543 Depth=2
	s_or_b32 exec_lo, exec_lo, s41
	v_bfe_u32 v10, v13, 16, 2
	v_bfe_u32 v44, v13, 18, 5
	v_lshlrev_b32_e32 v45, 8, v13
	s_mov_b32 s41, -1
	v_ffbh_u32_e32 v11, v10
	v_cmp_eq_u32_e32 vcc_lo, 0, v44
	v_min_u32_e32 v11, 32, v11
	v_subrev_nc_u32_e32 v12, 29, v11
	v_sub_nc_u32_e32 v11, 30, v11
	v_lshlrev_b32_sdwa v12, v12, v13 dst_sel:DWORD dst_unused:UNUSED_PAD src0_sel:DWORD src1_sel:WORD_1
	v_cndmask_b32_e32 v11, v44, v11, vcc_lo
	v_and_b32_e32 v12, 3, v12
	v_lshl_add_u32 v44, v11, 23, 0x37800000
	v_and_b32_sdwa v11, v17, v115 dst_sel:DWORD dst_unused:UNUSED_PAD src0_sel:WORD_1 src1_sel:DWORD
	v_cndmask_b32_e32 v10, v10, v12, vcc_lo
	v_and_b32_e32 v12, 0x80000000, v45
	v_cmp_lt_i16_e64 s14, 0x7f, v11
	s_and_b32 vcc_lo, exec_lo, s40
	v_lshlrev_b32_e32 v10, 21, v10
	v_or3_b32 v10, v12, v44, v10
                                        ; implicit-def: $vgpr12
	s_cbranch_vccz .LBB4_2061
; %bb.2048:                             ;   in Loop: Header=BB4_1543 Depth=2
	s_mov_b32 s41, 0
	s_and_saveexec_b32 s42, s14
	s_xor_b32 s14, exec_lo, s42
	s_cbranch_execz .LBB4_2229
; %bb.2049:                             ;   in Loop: Header=BB4_1543 Depth=2
	s_mov_b32 s41, -1
	s_mov_b32 s42, exec_lo
	v_cmpx_eq_u16_e32 0x80, v11
; %bb.2050:                             ;   in Loop: Header=BB4_1543 Depth=2
	s_xor_b32 s41, exec_lo, -1
; %bb.2051:                             ;   in Loop: Header=BB4_1543 Depth=2
	s_or_b32 exec_lo, exec_lo, s42
	s_and_b32 s41, s41, exec_lo
	s_or_saveexec_b32 s14, s14
	v_mov_b32_e32 v12, 0x7f800001
	s_xor_b32 exec_lo, exec_lo, s14
	s_cbranch_execnz .LBB4_2230
.LBB4_2052:                             ;   in Loop: Header=BB4_1543 Depth=2
	s_or_b32 exec_lo, exec_lo, s14
	s_and_saveexec_b32 s14, s41
	s_cbranch_execz .LBB4_2054
.LBB4_2053:                             ;   in Loop: Header=BB4_1543 Depth=2
	v_bfe_u32 v12, v17, 16, 2
	v_bfe_u32 v46, v17, 18, 5
	v_lshlrev_b32_sdwa v47, v116, v17 dst_sel:DWORD dst_unused:UNUSED_PAD src0_sel:DWORD src1_sel:WORD_1
	v_ffbh_u32_e32 v44, v12
	v_cmp_eq_u32_e32 vcc_lo, 0, v46
	v_min_u32_e32 v44, 32, v44
	v_subrev_nc_u32_e32 v45, 29, v44
	v_sub_nc_u32_e32 v44, 30, v44
	v_lshlrev_b32_sdwa v45, v45, v17 dst_sel:DWORD dst_unused:UNUSED_PAD src0_sel:DWORD src1_sel:WORD_1
	v_cndmask_b32_e32 v44, v46, v44, vcc_lo
	v_and_b32_e32 v45, 3, v45
	v_lshl_add_u32 v44, v44, 23, 0x37800000
	v_cndmask_b32_e32 v12, v12, v45, vcc_lo
	v_and_b32_e32 v45, 0x80000000, v47
	v_lshlrev_b32_e32 v12, 21, v12
	v_or3_b32 v12, v45, v44, v12
.LBB4_2054:                             ;   in Loop: Header=BB4_1543 Depth=2
	s_or_b32 exec_lo, exec_lo, s14
	v_and_b32_sdwa v45, v13, v115 dst_sel:DWORD dst_unused:UNUSED_PAD src0_sel:WORD_1 src1_sel:DWORD
	s_mov_b32 s14, 0
	s_mov_b32 s41, exec_lo
	v_cmpx_lt_i16_e32 0x7f, v45
	s_xor_b32 s41, exec_lo, s41
	s_cbranch_execz .LBB4_2231
; %bb.2055:                             ;   in Loop: Header=BB4_1543 Depth=2
	s_mov_b32 s14, -1
	s_mov_b32 s42, exec_lo
	v_cmpx_eq_u16_e32 0x80, v45
; %bb.2056:                             ;   in Loop: Header=BB4_1543 Depth=2
	s_xor_b32 s14, exec_lo, -1
; %bb.2057:                             ;   in Loop: Header=BB4_1543 Depth=2
	s_or_b32 exec_lo, exec_lo, s42
	s_and_b32 s14, s14, exec_lo
                                        ; implicit-def: $vgpr45
	s_or_saveexec_b32 s41, s41
	v_mov_b32_e32 v44, 0x7f800001
	s_xor_b32 exec_lo, exec_lo, s41
	s_cbranch_execnz .LBB4_2232
.LBB4_2058:                             ;   in Loop: Header=BB4_1543 Depth=2
	s_or_b32 exec_lo, exec_lo, s41
	s_and_saveexec_b32 s41, s14
.LBB4_2059:                             ;   in Loop: Header=BB4_1543 Depth=2
	v_mov_b32_e32 v44, v10
.LBB4_2060:                             ;   in Loop: Header=BB4_1543 Depth=2
	s_or_b32 exec_lo, exec_lo, s41
	v_max_f32_e32 v44, v44, v44
	v_max_f32_e32 v12, v12, v12
	s_mov_b32 s41, 0
	v_max_f32_e32 v12, v12, v44
.LBB4_2061:                             ;   in Loop: Header=BB4_1543 Depth=2
	s_and_b32 vcc_lo, exec_lo, s41
	s_cbranch_vccz .LBB4_2075
; %bb.2062:                             ;   in Loop: Header=BB4_1543 Depth=2
	s_mov_b32 s14, 0
	s_mov_b32 s41, exec_lo
	v_cmpx_lt_i16_e32 0x7f, v11
	s_xor_b32 s41, exec_lo, s41
	s_cbranch_execz .LBB4_2233
; %bb.2063:                             ;   in Loop: Header=BB4_1543 Depth=2
	s_mov_b32 s14, -1
	s_mov_b32 s42, exec_lo
	v_cmpx_eq_u16_e32 0x80, v11
; %bb.2064:                             ;   in Loop: Header=BB4_1543 Depth=2
	s_xor_b32 s14, exec_lo, -1
; %bb.2065:                             ;   in Loop: Header=BB4_1543 Depth=2
	s_or_b32 exec_lo, exec_lo, s42
	s_and_b32 s14, s14, exec_lo
                                        ; implicit-def: $vgpr11
	s_or_saveexec_b32 s41, s41
	v_mov_b32_e32 v12, 0x7f800001
	s_xor_b32 exec_lo, exec_lo, s41
	s_cbranch_execnz .LBB4_2234
.LBB4_2066:                             ;   in Loop: Header=BB4_1543 Depth=2
	s_or_b32 exec_lo, exec_lo, s41
	s_and_saveexec_b32 s41, s14
	s_cbranch_execz .LBB4_2068
.LBB4_2067:                             ;   in Loop: Header=BB4_1543 Depth=2
	v_bfe_u32 v11, v17, 16, 2
	v_bfe_u32 v45, v17, 18, 5
	v_lshlrev_b32_sdwa v46, v116, v17 dst_sel:DWORD dst_unused:UNUSED_PAD src0_sel:DWORD src1_sel:WORD_1
	v_ffbh_u32_e32 v12, v11
	v_cmp_eq_u32_e32 vcc_lo, 0, v45
	v_min_u32_e32 v12, 32, v12
	v_subrev_nc_u32_e32 v44, 29, v12
	v_sub_nc_u32_e32 v12, 30, v12
	v_lshlrev_b32_sdwa v44, v44, v17 dst_sel:DWORD dst_unused:UNUSED_PAD src0_sel:DWORD src1_sel:WORD_1
	v_cndmask_b32_e32 v12, v45, v12, vcc_lo
	v_and_b32_e32 v44, 3, v44
	v_lshl_add_u32 v12, v12, 23, 0x37800000
	v_cndmask_b32_e32 v11, v11, v44, vcc_lo
	v_and_b32_e32 v44, 0x80000000, v46
	v_lshlrev_b32_e32 v11, 21, v11
	v_or3_b32 v12, v44, v12, v11
.LBB4_2068:                             ;   in Loop: Header=BB4_1543 Depth=2
	s_or_b32 exec_lo, exec_lo, s41
	v_and_b32_sdwa v44, v13, v115 dst_sel:DWORD dst_unused:UNUSED_PAD src0_sel:WORD_1 src1_sel:DWORD
	s_mov_b32 s14, 0
	s_mov_b32 s41, exec_lo
	v_cmpx_lt_i16_e32 0x7f, v44
	s_xor_b32 s41, exec_lo, s41
	s_cbranch_execz .LBB4_2235
; %bb.2069:                             ;   in Loop: Header=BB4_1543 Depth=2
	s_mov_b32 s14, -1
	s_mov_b32 s42, exec_lo
	v_cmpx_eq_u16_e32 0x80, v44
; %bb.2070:                             ;   in Loop: Header=BB4_1543 Depth=2
	s_xor_b32 s14, exec_lo, -1
; %bb.2071:                             ;   in Loop: Header=BB4_1543 Depth=2
	s_or_b32 exec_lo, exec_lo, s42
	s_and_b32 s14, s14, exec_lo
                                        ; implicit-def: $vgpr44
	s_or_saveexec_b32 s41, s41
	v_mov_b32_e32 v11, 0x7f800001
	s_xor_b32 exec_lo, exec_lo, s41
	s_cbranch_execnz .LBB4_2236
.LBB4_2072:                             ;   in Loop: Header=BB4_1543 Depth=2
	s_or_b32 exec_lo, exec_lo, s41
	s_and_saveexec_b32 s41, s14
.LBB4_2073:                             ;   in Loop: Header=BB4_1543 Depth=2
	v_mov_b32_e32 v11, v10
.LBB4_2074:                             ;   in Loop: Header=BB4_1543 Depth=2
	s_or_b32 exec_lo, exec_lo, s41
	v_max_f32_e32 v10, v11, v11
	v_max_f32_e32 v11, v12, v12
	v_min_f32_e32 v12, v11, v10
.LBB4_2075:                             ;   in Loop: Header=BB4_1543 Depth=2
	v_and_b32_e32 v10, 0x7f800000, v12
	v_mov_b32_e32 v44, 0x80
	s_mov_b32 s41, exec_lo
	v_cmpx_ne_u32_e32 0x7f800000, v10
	s_cbranch_execz .LBB4_2083
; %bb.2076:                             ;   in Loop: Header=BB4_1543 Depth=2
	v_mov_b32_e32 v44, 0
	s_mov_b32 s42, exec_lo
	v_cmpx_ne_u32_e32 0, v12
	s_cbranch_execz .LBB4_2082
; %bb.2077:                             ;   in Loop: Header=BB4_1543 Depth=2
	v_bfe_u32 v10, v12, 23, 8
	v_and_b32_e32 v11, 0x7fffff, v12
	v_sub_nc_u32_e32 v44, 0x70, v10
	v_cmp_gt_u32_e32 vcc_lo, 0x71, v10
	v_or_b32_e32 v45, 0x800000, v11
	v_cndmask_b32_e32 v44, 0, v44, vcc_lo
	v_cmp_eq_u32_e32 vcc_lo, 0, v10
	v_add_nc_u32_e32 v10, 0xffffff91, v10
	v_cndmask_b32_e64 v44, v44, 0x6f, vcc_lo
	v_cndmask_b32_e32 v11, v45, v11, vcc_lo
	v_cndmask_b32_e64 v10, v10, 0xffffff92, vcc_lo
	v_lshl_add_u32 v45, 0x200000, v44, -1
	v_lshrrev_b32_e32 v46, v44, v11
	v_lshlrev_b32_e64 v56, v44, 0x100000
	v_add_nc_u32_e32 v44, v44, v10
	v_and_b32_e32 v11, v45, v11
	v_bfe_u32 v47, v46, 21, 1
	v_cmp_eq_u32_e64 s14, v11, v56
	v_add_nc_u32_e32 v45, -1, v47
	v_cndmask_b32_e64 v11, 0, v45, s14
	v_lshrrev_b32_e32 v45, 23, v46
	s_mov_b32 s14, exec_lo
	v_add_nc_u32_e32 v11, v11, v46
	v_xor_b32_e32 v45, 1, v45
	v_and_b32_e32 v10, 0x1fffff, v11
	v_add_nc_u32_e32 v11, v10, v46
                                        ; implicit-def: $vgpr10
	v_cmpx_ne_u32_e64 v44, v45
	s_xor_b32 s14, exec_lo, s14
; %bb.2078:                             ;   in Loop: Header=BB4_1543 Depth=2
	v_cmp_lt_u32_e32 vcc_lo, 0xffffff, v11
	v_sub_nc_u32_e32 v10, v44, v45
	v_cndmask_b32_e64 v44, 0, 1, vcc_lo
	v_add_co_ci_u32_e64 v10, null, 0, v10, vcc_lo
	v_lshrrev_b32_e32 v11, v44, v11
; %bb.2079:                             ;   in Loop: Header=BB4_1543 Depth=2
	s_andn2_saveexec_b32 s14, s14
; %bb.2080:                             ;   in Loop: Header=BB4_1543 Depth=2
	v_bfe_u32 v10, v11, 23, 1
; %bb.2081:                             ;   in Loop: Header=BB4_1543 Depth=2
	s_or_b32 exec_lo, exec_lo, s14
	v_lshrrev_b32_e32 v11, 21, v11
	v_min_i32_e32 v44, 31, v10
	v_cmp_gt_i32_e32 vcc_lo, 32, v10
	v_and_b32_sdwa v12, v12, v113 dst_sel:DWORD dst_unused:UNUSED_PAD src0_sel:BYTE_3 src1_sel:DWORD
	v_lshlrev_b32_e32 v44, 2, v44
	v_cndmask_b32_e32 v11, 3, v11, vcc_lo
	v_and_b32_e32 v44, 0xfc, v44
	v_and_b32_e32 v45, 3, v11
	v_or_b32_e32 v10, v10, v11
	v_or3_b32 v11, v44, v12, v45
	v_cmp_ne_u32_e32 vcc_lo, 0, v10
	v_cndmask_b32_e32 v44, 0, v11, vcc_lo
.LBB4_2082:                             ;   in Loop: Header=BB4_1543 Depth=2
	s_or_b32 exec_lo, exec_lo, s42
.LBB4_2083:                             ;   in Loop: Header=BB4_1543 Depth=2
	s_or_b32 exec_lo, exec_lo, s41
	v_bfe_u32 v10, v13, 24, 2
	v_bfe_u32 v45, v13, 26, 5
	v_cmp_gt_i16_sdwa s41, v17, v112 src0_sel:BYTE_3 src1_sel:DWORD
	s_mov_b32 s14, -1
	v_ffbh_u32_e32 v11, v10
	v_cmp_eq_u32_e32 vcc_lo, 0, v45
	v_min_u32_e32 v11, 32, v11
	v_subrev_nc_u32_e32 v12, 29, v11
	v_sub_nc_u32_e32 v11, 30, v11
	v_lshlrev_b32_sdwa v12, v12, v13 dst_sel:DWORD dst_unused:UNUSED_PAD src0_sel:DWORD src1_sel:BYTE_3
	v_cndmask_b32_e32 v11, v45, v11, vcc_lo
	v_and_b32_e32 v12, 3, v12
	v_lshl_add_u32 v11, v11, 23, 0x37800000
	v_cndmask_b32_e32 v10, v10, v12, vcc_lo
	v_and_b32_e32 v12, 0x80000000, v13
	s_and_b32 vcc_lo, exec_lo, s40
	v_lshlrev_b32_e32 v10, 21, v10
	v_or3_b32 v45, v12, v11, v10
                                        ; implicit-def: $vgpr10
	s_cbranch_vccz .LBB4_2097
; %bb.2084:                             ;   in Loop: Header=BB4_1543 Depth=2
	s_mov_b32 s14, 0
	s_and_saveexec_b32 s42, s41
	s_xor_b32 s41, exec_lo, s42
	s_cbranch_execz .LBB4_2237
; %bb.2085:                             ;   in Loop: Header=BB4_1543 Depth=2
	v_cmp_eq_u16_sdwa s43, v17, v113 src0_sel:BYTE_3 src1_sel:DWORD
	s_mov_b32 s14, -1
	s_and_saveexec_b32 s42, s43
; %bb.2086:                             ;   in Loop: Header=BB4_1543 Depth=2
	s_xor_b32 s14, exec_lo, -1
; %bb.2087:                             ;   in Loop: Header=BB4_1543 Depth=2
	s_or_b32 exec_lo, exec_lo, s42
	s_and_b32 s14, s14, exec_lo
	s_or_saveexec_b32 s41, s41
	v_mov_b32_e32 v10, 0x7f800001
	s_xor_b32 exec_lo, exec_lo, s41
	s_cbranch_execnz .LBB4_2238
.LBB4_2088:                             ;   in Loop: Header=BB4_1543 Depth=2
	s_or_b32 exec_lo, exec_lo, s41
	s_and_saveexec_b32 s41, s14
	s_cbranch_execz .LBB4_2090
.LBB4_2089:                             ;   in Loop: Header=BB4_1543 Depth=2
	v_bfe_u32 v10, v17, 24, 2
	v_bfe_u32 v46, v17, 26, 5
	v_ffbh_u32_e32 v11, v10
	v_cmp_eq_u32_e32 vcc_lo, 0, v46
	v_min_u32_e32 v11, 32, v11
	v_subrev_nc_u32_e32 v12, 29, v11
	v_sub_nc_u32_e32 v11, 30, v11
	v_lshlrev_b32_sdwa v12, v12, v17 dst_sel:DWORD dst_unused:UNUSED_PAD src0_sel:DWORD src1_sel:BYTE_3
	v_cndmask_b32_e32 v11, v46, v11, vcc_lo
	v_and_b32_e32 v12, 3, v12
	v_lshl_add_u32 v11, v11, 23, 0x37800000
	v_cndmask_b32_e32 v10, v10, v12, vcc_lo
	v_and_b32_e32 v12, 0x80000000, v17
	v_lshlrev_b32_e32 v10, 21, v10
	v_or3_b32 v10, v12, v11, v10
.LBB4_2090:                             ;   in Loop: Header=BB4_1543 Depth=2
	s_or_b32 exec_lo, exec_lo, s41
	v_cmp_gt_i16_sdwa s41, v13, v112 src0_sel:BYTE_3 src1_sel:DWORD
	s_mov_b32 s14, 0
	s_and_saveexec_b32 s42, s41
	s_xor_b32 s41, exec_lo, s42
	s_cbranch_execz .LBB4_2239
; %bb.2091:                             ;   in Loop: Header=BB4_1543 Depth=2
	v_cmp_eq_u16_sdwa s43, v13, v113 src0_sel:BYTE_3 src1_sel:DWORD
	s_mov_b32 s14, -1
	s_and_saveexec_b32 s42, s43
; %bb.2092:                             ;   in Loop: Header=BB4_1543 Depth=2
	s_xor_b32 s14, exec_lo, -1
; %bb.2093:                             ;   in Loop: Header=BB4_1543 Depth=2
	s_or_b32 exec_lo, exec_lo, s42
	s_and_b32 s14, s14, exec_lo
	s_or_saveexec_b32 s41, s41
	v_mov_b32_e32 v11, 0x7f800001
	s_xor_b32 exec_lo, exec_lo, s41
	s_cbranch_execnz .LBB4_2240
.LBB4_2094:                             ;   in Loop: Header=BB4_1543 Depth=2
	s_or_b32 exec_lo, exec_lo, s41
	s_and_saveexec_b32 s41, s14
.LBB4_2095:                             ;   in Loop: Header=BB4_1543 Depth=2
	v_mov_b32_e32 v11, v45
.LBB4_2096:                             ;   in Loop: Header=BB4_1543 Depth=2
	s_or_b32 exec_lo, exec_lo, s41
	v_max_f32_e32 v11, v11, v11
	v_max_f32_e32 v10, v10, v10
	s_mov_b32 s14, 0
	v_max_f32_e32 v10, v10, v11
.LBB4_2097:                             ;   in Loop: Header=BB4_1543 Depth=2
	s_and_b32 vcc_lo, exec_lo, s14
	s_cbranch_vccz .LBB4_2111
; %bb.2098:                             ;   in Loop: Header=BB4_1543 Depth=2
	v_cmp_gt_i16_sdwa s41, v17, v112 src0_sel:BYTE_3 src1_sel:DWORD
	s_mov_b32 s14, 0
	s_and_saveexec_b32 s42, s41
	s_xor_b32 s41, exec_lo, s42
	s_cbranch_execz .LBB4_2241
; %bb.2099:                             ;   in Loop: Header=BB4_1543 Depth=2
	v_cmp_eq_u16_sdwa s43, v17, v113 src0_sel:BYTE_3 src1_sel:DWORD
	s_mov_b32 s14, -1
	s_and_saveexec_b32 s42, s43
; %bb.2100:                             ;   in Loop: Header=BB4_1543 Depth=2
	s_xor_b32 s14, exec_lo, -1
; %bb.2101:                             ;   in Loop: Header=BB4_1543 Depth=2
	s_or_b32 exec_lo, exec_lo, s42
	s_and_b32 s14, s14, exec_lo
	s_or_saveexec_b32 s41, s41
	v_mov_b32_e32 v46, 0x7f800001
	s_xor_b32 exec_lo, exec_lo, s41
	s_cbranch_execnz .LBB4_2242
.LBB4_2102:                             ;   in Loop: Header=BB4_1543 Depth=2
	s_or_b32 exec_lo, exec_lo, s41
	s_and_saveexec_b32 s41, s14
	s_cbranch_execz .LBB4_2104
.LBB4_2103:                             ;   in Loop: Header=BB4_1543 Depth=2
	v_bfe_u32 v10, v17, 24, 2
	v_bfe_u32 v46, v17, 26, 5
	v_ffbh_u32_e32 v11, v10
	v_cmp_eq_u32_e32 vcc_lo, 0, v46
	v_min_u32_e32 v11, 32, v11
	v_subrev_nc_u32_e32 v12, 29, v11
	v_sub_nc_u32_e32 v11, 30, v11
	v_lshlrev_b32_sdwa v12, v12, v17 dst_sel:DWORD dst_unused:UNUSED_PAD src0_sel:DWORD src1_sel:BYTE_3
	v_cndmask_b32_e32 v11, v46, v11, vcc_lo
	v_and_b32_e32 v12, 3, v12
	v_lshl_add_u32 v11, v11, 23, 0x37800000
	v_cndmask_b32_e32 v10, v10, v12, vcc_lo
	v_and_b32_e32 v12, 0x80000000, v17
	v_lshlrev_b32_e32 v10, 21, v10
	v_or3_b32 v46, v12, v11, v10
.LBB4_2104:                             ;   in Loop: Header=BB4_1543 Depth=2
	s_or_b32 exec_lo, exec_lo, s41
	v_cmp_gt_i16_sdwa s41, v13, v112 src0_sel:BYTE_3 src1_sel:DWORD
	s_mov_b32 s14, 0
	s_and_saveexec_b32 s42, s41
	s_xor_b32 s41, exec_lo, s42
	s_cbranch_execz .LBB4_2243
; %bb.2105:                             ;   in Loop: Header=BB4_1543 Depth=2
	v_cmp_eq_u16_sdwa s43, v13, v113 src0_sel:BYTE_3 src1_sel:DWORD
	s_mov_b32 s14, -1
	s_and_saveexec_b32 s42, s43
; %bb.2106:                             ;   in Loop: Header=BB4_1543 Depth=2
	s_xor_b32 s14, exec_lo, -1
; %bb.2107:                             ;   in Loop: Header=BB4_1543 Depth=2
	s_or_b32 exec_lo, exec_lo, s42
	s_and_b32 s14, s14, exec_lo
                                        ; implicit-def: $vgpr10_vgpr11_vgpr12_vgpr13
	s_or_saveexec_b32 s41, s41
	v_mov_b32_e32 v10, 0x7f800001
	s_xor_b32 exec_lo, exec_lo, s41
	s_cbranch_execnz .LBB4_2244
.LBB4_2108:                             ;   in Loop: Header=BB4_1543 Depth=2
	s_or_b32 exec_lo, exec_lo, s41
	s_and_saveexec_b32 s41, s14
.LBB4_2109:                             ;   in Loop: Header=BB4_1543 Depth=2
	v_mov_b32_e32 v10, v45
.LBB4_2110:                             ;   in Loop: Header=BB4_1543 Depth=2
	s_or_b32 exec_lo, exec_lo, s41
	v_max_f32_e32 v10, v10, v10
	v_max_f32_e32 v11, v46, v46
	v_min_f32_e32 v10, v11, v10
.LBB4_2111:                             ;   in Loop: Header=BB4_1543 Depth=2
	v_and_b32_e32 v11, 0x7f800000, v10
	v_cmp_ne_u32_e32 vcc_lo, 0x7f800000, v11
	v_mov_b32_e32 v11, 0x8000
	s_and_saveexec_b32 s41, vcc_lo
	s_cbranch_execz .LBB4_1542
; %bb.2112:                             ;   in Loop: Header=BB4_1543 Depth=2
	v_mov_b32_e32 v11, 0
	s_mov_b32 s42, exec_lo
	v_cmpx_ne_u32_e32 0, v10
	s_cbranch_execz .LBB4_1541
; %bb.2113:                             ;   in Loop: Header=BB4_1543 Depth=2
	v_bfe_u32 v11, v10, 23, 8
	v_and_b32_e32 v12, 0x7fffff, v10
	v_sub_nc_u32_e32 v13, 0x70, v11
	v_cmp_gt_u32_e32 vcc_lo, 0x71, v11
	v_or_b32_e32 v17, 0x800000, v12
	v_cndmask_b32_e32 v13, 0, v13, vcc_lo
	v_cmp_eq_u32_e32 vcc_lo, 0, v11
	v_add_nc_u32_e32 v11, 0xffffff91, v11
	v_cndmask_b32_e64 v13, v13, 0x6f, vcc_lo
	v_cndmask_b32_e32 v12, v17, v12, vcc_lo
	v_cndmask_b32_e64 v11, v11, 0xffffff92, vcc_lo
	v_lshl_add_u32 v17, 0x200000, v13, -1
	v_lshrrev_b32_e32 v45, v13, v12
	v_lshlrev_b32_e64 v47, v13, 0x100000
	v_add_nc_u32_e32 v13, v13, v11
	v_and_b32_e32 v12, v17, v12
	v_bfe_u32 v46, v45, 21, 1
	v_cmp_eq_u32_e64 s14, v12, v47
	v_add_nc_u32_e32 v17, -1, v46
	v_cndmask_b32_e64 v12, 0, v17, s14
	v_lshrrev_b32_e32 v17, 23, v45
	s_mov_b32 s14, exec_lo
	v_add_nc_u32_e32 v12, v12, v45
	v_xor_b32_e32 v17, 1, v17
	v_and_b32_e32 v11, 0x1fffff, v12
	v_add_nc_u32_e32 v12, v11, v45
                                        ; implicit-def: $vgpr11
	v_cmpx_ne_u32_e64 v13, v17
	s_xor_b32 s14, exec_lo, s14
; %bb.2114:                             ;   in Loop: Header=BB4_1543 Depth=2
	v_cmp_lt_u32_e32 vcc_lo, 0xffffff, v12
	v_sub_nc_u32_e32 v11, v13, v17
	v_cndmask_b32_e64 v13, 0, 1, vcc_lo
	v_add_co_ci_u32_e64 v11, null, 0, v11, vcc_lo
	v_lshrrev_b32_e32 v12, v13, v12
; %bb.2115:                             ;   in Loop: Header=BB4_1543 Depth=2
	s_andn2_saveexec_b32 s14, s14
	s_cbranch_execz .LBB4_1540
; %bb.2116:                             ;   in Loop: Header=BB4_1543 Depth=2
	v_bfe_u32 v11, v12, 23, 1
	s_branch .LBB4_1540
.LBB4_2117:                             ;   in Loop: Header=BB4_1543 Depth=2
	s_or_saveexec_b32 s41, s41
	v_mov_b32_e32 v81, 0x7f800001
	s_xor_b32 exec_lo, exec_lo, s41
	s_cbranch_execz .LBB4_1548
.LBB4_2118:                             ;   in Loop: Header=BB4_1543 Depth=2
	v_cmp_ne_u16_sdwa s42, v14, v52 src0_sel:BYTE_0 src1_sel:DWORD
	v_mov_b32_e32 v81, 0
	s_andn2_b32 s14, s14, exec_lo
	s_and_b32 s42, s42, exec_lo
	s_or_b32 s14, s14, s42
	s_or_b32 exec_lo, exec_lo, s41
	s_and_saveexec_b32 s41, s14
	s_cbranch_execnz .LBB4_1549
	s_branch .LBB4_1550
.LBB4_2119:                             ;   in Loop: Header=BB4_1543 Depth=2
	s_or_saveexec_b32 s41, s41
	v_mov_b32_e32 v82, 0x7f800001
	s_xor_b32 exec_lo, exec_lo, s41
	s_cbranch_execz .LBB4_1554
.LBB4_2120:                             ;   in Loop: Header=BB4_1543 Depth=2
	v_cmp_ne_u16_sdwa s42, v10, v52 src0_sel:BYTE_0 src1_sel:DWORD
	v_mov_b32_e32 v82, 0
	s_andn2_b32 s14, s14, exec_lo
	s_and_b32 s42, s42, exec_lo
	s_or_b32 s14, s14, s42
	s_or_b32 exec_lo, exec_lo, s41
	s_and_saveexec_b32 s41, s14
	s_cbranch_execnz .LBB4_1555
	s_branch .LBB4_1556
.LBB4_2121:                             ;   in Loop: Header=BB4_1543 Depth=2
	s_or_saveexec_b32 s41, s41
	v_mov_b32_e32 v81, 0x7f800001
	s_xor_b32 exec_lo, exec_lo, s41
	s_cbranch_execz .LBB4_1562
.LBB4_2122:                             ;   in Loop: Header=BB4_1543 Depth=2
	v_cmp_ne_u16_sdwa s42, v14, v52 src0_sel:BYTE_0 src1_sel:DWORD
	v_mov_b32_e32 v81, 0
	s_andn2_b32 s14, s14, exec_lo
	s_and_b32 s42, s42, exec_lo
	s_or_b32 s14, s14, s42
	s_or_b32 exec_lo, exec_lo, s41
	s_and_saveexec_b32 s41, s14
	s_cbranch_execnz .LBB4_1563
	s_branch .LBB4_1564
.LBB4_2123:                             ;   in Loop: Header=BB4_1543 Depth=2
	s_or_saveexec_b32 s41, s41
	v_mov_b32_e32 v82, 0x7f800001
	s_xor_b32 exec_lo, exec_lo, s41
	s_cbranch_execz .LBB4_1568
.LBB4_2124:                             ;   in Loop: Header=BB4_1543 Depth=2
	v_cmp_ne_u16_sdwa s42, v10, v52 src0_sel:BYTE_0 src1_sel:DWORD
	v_mov_b32_e32 v82, 0
	s_andn2_b32 s14, s14, exec_lo
	s_and_b32 s42, s42, exec_lo
	s_or_b32 s14, s14, s42
	s_or_b32 exec_lo, exec_lo, s41
	s_and_saveexec_b32 s41, s14
	s_cbranch_execnz .LBB4_1569
	s_branch .LBB4_1570
.LBB4_2125:                             ;   in Loop: Header=BB4_1543 Depth=2
	s_or_saveexec_b32 s41, s41
	v_mov_b32_e32 v82, 0x7f800001
	s_xor_b32 exec_lo, exec_lo, s41
	s_cbranch_execz .LBB4_1584
.LBB4_2126:                             ;   in Loop: Header=BB4_1543 Depth=2
	v_cmp_ne_u16_sdwa s42, v14, v52 src0_sel:BYTE_1 src1_sel:DWORD
	v_mov_b32_e32 v82, 0
	s_andn2_b32 s14, s14, exec_lo
	s_and_b32 s42, s42, exec_lo
	s_or_b32 s14, s14, s42
	s_or_b32 exec_lo, exec_lo, s41
	s_and_saveexec_b32 s41, s14
	s_cbranch_execnz .LBB4_1585
	s_branch .LBB4_1586
.LBB4_2127:                             ;   in Loop: Header=BB4_1543 Depth=2
	s_or_saveexec_b32 s41, s41
	v_mov_b32_e32 v83, 0x7f800001
	s_xor_b32 exec_lo, exec_lo, s41
	s_cbranch_execz .LBB4_1590
.LBB4_2128:                             ;   in Loop: Header=BB4_1543 Depth=2
	v_cmp_ne_u16_sdwa s42, v10, v52 src0_sel:BYTE_1 src1_sel:DWORD
	v_mov_b32_e32 v83, 0
	s_andn2_b32 s14, s14, exec_lo
	s_and_b32 s42, s42, exec_lo
	s_or_b32 s14, s14, s42
	s_or_b32 exec_lo, exec_lo, s41
	s_and_saveexec_b32 s41, s14
	s_cbranch_execnz .LBB4_1591
	s_branch .LBB4_1592
.LBB4_2129:                             ;   in Loop: Header=BB4_1543 Depth=2
	s_or_saveexec_b32 s41, s41
	v_mov_b32_e32 v82, 0x7f800001
	s_xor_b32 exec_lo, exec_lo, s41
	s_cbranch_execz .LBB4_1598
.LBB4_2130:                             ;   in Loop: Header=BB4_1543 Depth=2
	v_cmp_ne_u16_sdwa s42, v14, v52 src0_sel:BYTE_1 src1_sel:DWORD
	v_mov_b32_e32 v82, 0
	s_andn2_b32 s14, s14, exec_lo
	s_and_b32 s42, s42, exec_lo
	s_or_b32 s14, s14, s42
	s_or_b32 exec_lo, exec_lo, s41
	s_and_saveexec_b32 s41, s14
	s_cbranch_execnz .LBB4_1599
	s_branch .LBB4_1600
.LBB4_2131:                             ;   in Loop: Header=BB4_1543 Depth=2
	s_or_saveexec_b32 s41, s41
	v_mov_b32_e32 v83, 0x7f800001
	s_xor_b32 exec_lo, exec_lo, s41
	s_cbranch_execz .LBB4_1604
.LBB4_2132:                             ;   in Loop: Header=BB4_1543 Depth=2
	v_cmp_ne_u16_sdwa s42, v10, v52 src0_sel:BYTE_1 src1_sel:DWORD
	v_mov_b32_e32 v83, 0
	s_andn2_b32 s14, s14, exec_lo
	s_and_b32 s42, s42, exec_lo
	s_or_b32 s14, s14, s42
	s_or_b32 exec_lo, exec_lo, s41
	s_and_saveexec_b32 s41, s14
	s_cbranch_execnz .LBB4_1605
	s_branch .LBB4_1606
.LBB4_2133:                             ;   in Loop: Header=BB4_1543 Depth=2
	s_or_saveexec_b32 s14, s14
	v_mov_b32_e32 v117, 0x7f800001
	s_xor_b32 exec_lo, exec_lo, s14
	s_cbranch_execz .LBB4_1620
.LBB4_2134:                             ;   in Loop: Header=BB4_1543 Depth=2
	v_cmp_ne_u16_e32 vcc_lo, 0, v83
	v_mov_b32_e32 v117, 0
	s_andn2_b32 s41, s41, exec_lo
	s_and_b32 s42, vcc_lo, exec_lo
	s_or_b32 s41, s41, s42
	s_or_b32 exec_lo, exec_lo, s14
	s_and_saveexec_b32 s14, s41
	s_cbranch_execnz .LBB4_1621
	s_branch .LBB4_1622
.LBB4_2135:                             ;   in Loop: Header=BB4_1543 Depth=2
	s_or_saveexec_b32 s41, s41
	v_mov_b32_e32 v118, 0x7f800001
	s_xor_b32 exec_lo, exec_lo, s41
	s_cbranch_execz .LBB4_1626
.LBB4_2136:                             ;   in Loop: Header=BB4_1543 Depth=2
	v_cmp_ne_u16_e32 vcc_lo, 0, v119
	v_mov_b32_e32 v118, 0
	s_andn2_b32 s14, s14, exec_lo
	s_and_b32 s42, vcc_lo, exec_lo
	s_or_b32 s14, s14, s42
	s_or_b32 exec_lo, exec_lo, s41
	s_and_saveexec_b32 s41, s14
	s_cbranch_execnz .LBB4_1627
	s_branch .LBB4_1628
.LBB4_2137:                             ;   in Loop: Header=BB4_1543 Depth=2
	s_or_saveexec_b32 s41, s41
	v_mov_b32_e32 v117, 0x7f800001
	s_xor_b32 exec_lo, exec_lo, s41
	s_cbranch_execz .LBB4_1634
.LBB4_2138:                             ;   in Loop: Header=BB4_1543 Depth=2
	v_cmp_ne_u16_e32 vcc_lo, 0, v83
	v_mov_b32_e32 v117, 0
	s_andn2_b32 s14, s14, exec_lo
	s_and_b32 s42, vcc_lo, exec_lo
	s_or_b32 s14, s14, s42
	s_or_b32 exec_lo, exec_lo, s41
	s_and_saveexec_b32 s41, s14
	s_cbranch_execnz .LBB4_1635
	s_branch .LBB4_1636
.LBB4_2139:                             ;   in Loop: Header=BB4_1543 Depth=2
	s_or_saveexec_b32 s41, s41
	v_mov_b32_e32 v83, 0x7f800001
	s_xor_b32 exec_lo, exec_lo, s41
	s_cbranch_execz .LBB4_1640
.LBB4_2140:                             ;   in Loop: Header=BB4_1543 Depth=2
	v_cmp_ne_u16_e32 vcc_lo, 0, v118
	v_mov_b32_e32 v83, 0
	s_andn2_b32 s14, s14, exec_lo
	s_and_b32 s42, vcc_lo, exec_lo
	s_or_b32 s14, s14, s42
	s_or_b32 exec_lo, exec_lo, s41
	s_and_saveexec_b32 s41, s14
	s_cbranch_execnz .LBB4_1641
	s_branch .LBB4_1642
.LBB4_2141:                             ;   in Loop: Header=BB4_1543 Depth=2
	s_or_saveexec_b32 s41, s41
	v_mov_b32_e32 v117, 0x7f800001
	s_xor_b32 exec_lo, exec_lo, s41
	s_cbranch_execz .LBB4_1656
.LBB4_2142:                             ;   in Loop: Header=BB4_1543 Depth=2
	v_cmp_ne_u16_sdwa s42, v14, v52 src0_sel:BYTE_3 src1_sel:DWORD
	v_mov_b32_e32 v117, 0
	s_andn2_b32 s14, s14, exec_lo
	s_and_b32 s42, s42, exec_lo
	s_or_b32 s14, s14, s42
	s_or_b32 exec_lo, exec_lo, s41
	s_and_saveexec_b32 s41, s14
	s_cbranch_execnz .LBB4_1657
	s_branch .LBB4_1658
.LBB4_2143:                             ;   in Loop: Header=BB4_1543 Depth=2
	s_or_saveexec_b32 s41, s41
	v_mov_b32_e32 v118, 0x7f800001
	s_xor_b32 exec_lo, exec_lo, s41
	s_cbranch_execz .LBB4_1662
.LBB4_2144:                             ;   in Loop: Header=BB4_1543 Depth=2
	v_cmp_ne_u16_sdwa s42, v10, v52 src0_sel:BYTE_3 src1_sel:DWORD
	v_mov_b32_e32 v118, 0
	s_andn2_b32 s14, s14, exec_lo
	s_and_b32 s42, s42, exec_lo
	s_or_b32 s14, s14, s42
	s_or_b32 exec_lo, exec_lo, s41
	s_and_saveexec_b32 s41, s14
	s_cbranch_execnz .LBB4_1663
	s_branch .LBB4_1664
.LBB4_2145:                             ;   in Loop: Header=BB4_1543 Depth=2
	s_or_saveexec_b32 s41, s41
	v_mov_b32_e32 v117, 0x7f800001
	s_xor_b32 exec_lo, exec_lo, s41
	s_cbranch_execz .LBB4_1670
.LBB4_2146:                             ;   in Loop: Header=BB4_1543 Depth=2
	v_cmp_ne_u16_sdwa s42, v14, v52 src0_sel:BYTE_3 src1_sel:DWORD
	v_mov_b32_e32 v117, 0
	s_andn2_b32 s14, s14, exec_lo
	s_and_b32 s42, s42, exec_lo
	s_or_b32 s14, s14, s42
	s_or_b32 exec_lo, exec_lo, s41
	s_and_saveexec_b32 s41, s14
	s_cbranch_execnz .LBB4_1671
	s_branch .LBB4_1672
.LBB4_2147:                             ;   in Loop: Header=BB4_1543 Depth=2
	s_or_saveexec_b32 s41, s41
	v_mov_b32_e32 v14, 0x7f800001
	s_xor_b32 exec_lo, exec_lo, s41
	s_cbranch_execz .LBB4_1676
.LBB4_2148:                             ;   in Loop: Header=BB4_1543 Depth=2
	v_cmp_ne_u16_sdwa s42, v10, v52 src0_sel:BYTE_3 src1_sel:DWORD
	v_mov_b32_e32 v14, 0
	s_andn2_b32 s14, s14, exec_lo
	s_and_b32 s42, s42, exec_lo
	s_or_b32 s14, s14, s42
	s_or_b32 exec_lo, exec_lo, s41
	s_and_saveexec_b32 s41, s14
	s_cbranch_execnz .LBB4_1677
	s_branch .LBB4_1678
.LBB4_2149:                             ;   in Loop: Header=BB4_1543 Depth=2
	s_or_saveexec_b32 s41, s41
	v_mov_b32_e32 v83, 0x7f800001
	s_xor_b32 exec_lo, exec_lo, s41
	s_cbranch_execz .LBB4_1692
.LBB4_2150:                             ;   in Loop: Header=BB4_1543 Depth=2
	v_cmp_ne_u16_sdwa s42, v15, v52 src0_sel:BYTE_0 src1_sel:DWORD
	v_mov_b32_e32 v83, 0
	s_andn2_b32 s14, s14, exec_lo
	s_and_b32 s42, s42, exec_lo
	s_or_b32 s14, s14, s42
	s_or_b32 exec_lo, exec_lo, s41
	s_and_saveexec_b32 s41, s14
	s_cbranch_execnz .LBB4_1693
	s_branch .LBB4_1694
.LBB4_2151:                             ;   in Loop: Header=BB4_1543 Depth=2
	s_or_saveexec_b32 s41, s41
	v_mov_b32_e32 v117, 0x7f800001
	s_xor_b32 exec_lo, exec_lo, s41
	s_cbranch_execz .LBB4_1698
.LBB4_2152:                             ;   in Loop: Header=BB4_1543 Depth=2
	v_cmp_ne_u16_sdwa s42, v11, v52 src0_sel:BYTE_0 src1_sel:DWORD
	v_mov_b32_e32 v117, 0
	s_andn2_b32 s14, s14, exec_lo
	s_and_b32 s42, s42, exec_lo
	s_or_b32 s14, s14, s42
	s_or_b32 exec_lo, exec_lo, s41
	s_and_saveexec_b32 s41, s14
	s_cbranch_execnz .LBB4_1699
	s_branch .LBB4_1700
.LBB4_2153:                             ;   in Loop: Header=BB4_1543 Depth=2
	s_or_saveexec_b32 s41, s41
	v_mov_b32_e32 v83, 0x7f800001
	s_xor_b32 exec_lo, exec_lo, s41
	s_cbranch_execz .LBB4_1706
.LBB4_2154:                             ;   in Loop: Header=BB4_1543 Depth=2
	v_cmp_ne_u16_sdwa s42, v15, v52 src0_sel:BYTE_0 src1_sel:DWORD
	v_mov_b32_e32 v83, 0
	s_andn2_b32 s14, s14, exec_lo
	s_and_b32 s42, s42, exec_lo
	s_or_b32 s14, s14, s42
	s_or_b32 exec_lo, exec_lo, s41
	s_and_saveexec_b32 s41, s14
	s_cbranch_execnz .LBB4_1707
	s_branch .LBB4_1708
.LBB4_2155:                             ;   in Loop: Header=BB4_1543 Depth=2
	s_or_saveexec_b32 s41, s41
	v_mov_b32_e32 v117, 0x7f800001
	s_xor_b32 exec_lo, exec_lo, s41
	s_cbranch_execz .LBB4_1712
.LBB4_2156:                             ;   in Loop: Header=BB4_1543 Depth=2
	v_cmp_ne_u16_sdwa s42, v11, v52 src0_sel:BYTE_0 src1_sel:DWORD
	v_mov_b32_e32 v117, 0
	s_andn2_b32 s14, s14, exec_lo
	s_and_b32 s42, s42, exec_lo
	s_or_b32 s14, s14, s42
	s_or_b32 exec_lo, exec_lo, s41
	s_and_saveexec_b32 s41, s14
	s_cbranch_execnz .LBB4_1713
	s_branch .LBB4_1714
.LBB4_2157:                             ;   in Loop: Header=BB4_1543 Depth=2
	s_or_saveexec_b32 s41, s41
	v_mov_b32_e32 v117, 0x7f800001
	s_xor_b32 exec_lo, exec_lo, s41
	s_cbranch_execz .LBB4_1728
.LBB4_2158:                             ;   in Loop: Header=BB4_1543 Depth=2
	v_cmp_ne_u16_sdwa s42, v15, v52 src0_sel:BYTE_1 src1_sel:DWORD
	v_mov_b32_e32 v117, 0
	s_andn2_b32 s14, s14, exec_lo
	s_and_b32 s42, s42, exec_lo
	s_or_b32 s14, s14, s42
	s_or_b32 exec_lo, exec_lo, s41
	s_and_saveexec_b32 s41, s14
	s_cbranch_execnz .LBB4_1729
	s_branch .LBB4_1730
.LBB4_2159:                             ;   in Loop: Header=BB4_1543 Depth=2
	s_or_saveexec_b32 s41, s41
	v_mov_b32_e32 v118, 0x7f800001
	s_xor_b32 exec_lo, exec_lo, s41
	s_cbranch_execz .LBB4_1734
.LBB4_2160:                             ;   in Loop: Header=BB4_1543 Depth=2
	v_cmp_ne_u16_sdwa s42, v11, v52 src0_sel:BYTE_1 src1_sel:DWORD
	v_mov_b32_e32 v118, 0
	s_andn2_b32 s14, s14, exec_lo
	s_and_b32 s42, s42, exec_lo
	s_or_b32 s14, s14, s42
	s_or_b32 exec_lo, exec_lo, s41
	s_and_saveexec_b32 s41, s14
	s_cbranch_execnz .LBB4_1735
	s_branch .LBB4_1736
.LBB4_2161:                             ;   in Loop: Header=BB4_1543 Depth=2
	s_or_saveexec_b32 s41, s41
	v_mov_b32_e32 v117, 0x7f800001
	s_xor_b32 exec_lo, exec_lo, s41
	s_cbranch_execz .LBB4_1742
.LBB4_2162:                             ;   in Loop: Header=BB4_1543 Depth=2
	v_cmp_ne_u16_sdwa s42, v15, v52 src0_sel:BYTE_1 src1_sel:DWORD
	v_mov_b32_e32 v117, 0
	s_andn2_b32 s14, s14, exec_lo
	s_and_b32 s42, s42, exec_lo
	s_or_b32 s14, s14, s42
	s_or_b32 exec_lo, exec_lo, s41
	s_and_saveexec_b32 s41, s14
	s_cbranch_execnz .LBB4_1743
	s_branch .LBB4_1744
.LBB4_2163:                             ;   in Loop: Header=BB4_1543 Depth=2
	s_or_saveexec_b32 s41, s41
	v_mov_b32_e32 v118, 0x7f800001
	s_xor_b32 exec_lo, exec_lo, s41
	s_cbranch_execz .LBB4_1748
.LBB4_2164:                             ;   in Loop: Header=BB4_1543 Depth=2
	v_cmp_ne_u16_sdwa s42, v11, v52 src0_sel:BYTE_1 src1_sel:DWORD
	v_mov_b32_e32 v118, 0
	s_andn2_b32 s14, s14, exec_lo
	s_and_b32 s42, s42, exec_lo
	s_or_b32 s14, s14, s42
	s_or_b32 exec_lo, exec_lo, s41
	s_and_saveexec_b32 s41, s14
	s_cbranch_execnz .LBB4_1749
	s_branch .LBB4_1750
.LBB4_2165:                             ;   in Loop: Header=BB4_1543 Depth=2
	s_or_saveexec_b32 s14, s14
	v_mov_b32_e32 v119, 0x7f800001
	s_xor_b32 exec_lo, exec_lo, s14
	s_cbranch_execz .LBB4_1764
.LBB4_2166:                             ;   in Loop: Header=BB4_1543 Depth=2
	v_cmp_ne_u16_e32 vcc_lo, 0, v118
	v_mov_b32_e32 v119, 0
	s_andn2_b32 s41, s41, exec_lo
	s_and_b32 s42, vcc_lo, exec_lo
	s_or_b32 s41, s41, s42
	s_or_b32 exec_lo, exec_lo, s14
	s_and_saveexec_b32 s14, s41
	s_cbranch_execnz .LBB4_1765
	s_branch .LBB4_1766
.LBB4_2167:                             ;   in Loop: Header=BB4_1543 Depth=2
	s_or_saveexec_b32 s41, s41
	v_mov_b32_e32 v40, 0x7f800001
	s_xor_b32 exec_lo, exec_lo, s41
	s_cbranch_execz .LBB4_1770
.LBB4_2168:                             ;   in Loop: Header=BB4_1543 Depth=2
	v_cmp_ne_u16_e32 vcc_lo, 0, v41
	v_mov_b32_e32 v40, 0
	s_andn2_b32 s14, s14, exec_lo
	s_and_b32 s42, vcc_lo, exec_lo
	s_or_b32 s14, s14, s42
	s_or_b32 exec_lo, exec_lo, s41
	s_and_saveexec_b32 s41, s14
	s_cbranch_execnz .LBB4_1771
	s_branch .LBB4_1772
.LBB4_2169:                             ;   in Loop: Header=BB4_1543 Depth=2
	s_or_saveexec_b32 s41, s41
	v_mov_b32_e32 v119, 0x7f800001
	s_xor_b32 exec_lo, exec_lo, s41
	s_cbranch_execz .LBB4_1778
.LBB4_2170:                             ;   in Loop: Header=BB4_1543 Depth=2
	v_cmp_ne_u16_e32 vcc_lo, 0, v118
	v_mov_b32_e32 v119, 0
	s_andn2_b32 s14, s14, exec_lo
	s_and_b32 s42, vcc_lo, exec_lo
	s_or_b32 s14, s14, s42
	s_or_b32 exec_lo, exec_lo, s41
	s_and_saveexec_b32 s41, s14
	s_cbranch_execnz .LBB4_1779
	s_branch .LBB4_1780
.LBB4_2171:                             ;   in Loop: Header=BB4_1543 Depth=2
	s_or_saveexec_b32 s41, s41
	v_mov_b32_e32 v118, 0x7f800001
	s_xor_b32 exec_lo, exec_lo, s41
	s_cbranch_execz .LBB4_1784
.LBB4_2172:                             ;   in Loop: Header=BB4_1543 Depth=2
	v_cmp_ne_u16_e32 vcc_lo, 0, v40
	v_mov_b32_e32 v118, 0
	s_andn2_b32 s14, s14, exec_lo
	s_and_b32 s42, vcc_lo, exec_lo
	s_or_b32 s14, s14, s42
	s_or_b32 exec_lo, exec_lo, s41
	s_and_saveexec_b32 s41, s14
	s_cbranch_execnz .LBB4_1785
	s_branch .LBB4_1786
.LBB4_2173:                             ;   in Loop: Header=BB4_1543 Depth=2
	s_or_saveexec_b32 s41, s41
	v_mov_b32_e32 v119, 0x7f800001
	s_xor_b32 exec_lo, exec_lo, s41
	s_cbranch_execz .LBB4_1800
.LBB4_2174:                             ;   in Loop: Header=BB4_1543 Depth=2
	v_cmp_ne_u16_sdwa s42, v15, v52 src0_sel:BYTE_3 src1_sel:DWORD
	v_mov_b32_e32 v119, 0
	s_andn2_b32 s14, s14, exec_lo
	s_and_b32 s42, s42, exec_lo
	s_or_b32 s14, s14, s42
	s_or_b32 exec_lo, exec_lo, s41
	s_and_saveexec_b32 s41, s14
	s_cbranch_execnz .LBB4_1801
	s_branch .LBB4_1802
.LBB4_2175:                             ;   in Loop: Header=BB4_1543 Depth=2
	s_or_saveexec_b32 s41, s41
	v_mov_b32_e32 v40, 0x7f800001
	s_xor_b32 exec_lo, exec_lo, s41
	s_cbranch_execz .LBB4_1806
.LBB4_2176:                             ;   in Loop: Header=BB4_1543 Depth=2
	v_cmp_ne_u16_sdwa s42, v11, v52 src0_sel:BYTE_3 src1_sel:DWORD
	v_mov_b32_e32 v40, 0
	s_andn2_b32 s14, s14, exec_lo
	s_and_b32 s42, s42, exec_lo
	s_or_b32 s14, s14, s42
	s_or_b32 exec_lo, exec_lo, s41
	s_and_saveexec_b32 s41, s14
	s_cbranch_execnz .LBB4_1807
	s_branch .LBB4_1808
.LBB4_2177:                             ;   in Loop: Header=BB4_1543 Depth=2
	s_or_saveexec_b32 s41, s41
	v_mov_b32_e32 v119, 0x7f800001
	s_xor_b32 exec_lo, exec_lo, s41
	s_cbranch_execz .LBB4_1814
.LBB4_2178:                             ;   in Loop: Header=BB4_1543 Depth=2
	v_cmp_ne_u16_sdwa s42, v15, v52 src0_sel:BYTE_3 src1_sel:DWORD
	v_mov_b32_e32 v119, 0
	s_andn2_b32 s14, s14, exec_lo
	s_and_b32 s42, s42, exec_lo
	s_or_b32 s14, s14, s42
	s_or_b32 exec_lo, exec_lo, s41
	s_and_saveexec_b32 s41, s14
	s_cbranch_execnz .LBB4_1815
	s_branch .LBB4_1816
.LBB4_2179:                             ;   in Loop: Header=BB4_1543 Depth=2
	s_or_saveexec_b32 s41, s41
	v_mov_b32_e32 v15, 0x7f800001
	s_xor_b32 exec_lo, exec_lo, s41
	s_cbranch_execz .LBB4_1820
.LBB4_2180:                             ;   in Loop: Header=BB4_1543 Depth=2
	v_cmp_ne_u16_sdwa s42, v11, v52 src0_sel:BYTE_3 src1_sel:DWORD
	v_mov_b32_e32 v15, 0
	s_andn2_b32 s14, s14, exec_lo
	s_and_b32 s42, s42, exec_lo
	s_or_b32 s14, s14, s42
	s_or_b32 exec_lo, exec_lo, s41
	s_and_saveexec_b32 s41, s14
	s_cbranch_execnz .LBB4_1821
	s_branch .LBB4_1822
.LBB4_2181:                             ;   in Loop: Header=BB4_1543 Depth=2
	s_or_saveexec_b32 s41, s41
	v_mov_b32_e32 v11, 0x7f800001
	s_xor_b32 exec_lo, exec_lo, s41
	s_cbranch_execz .LBB4_1836
.LBB4_2182:                             ;   in Loop: Header=BB4_1543 Depth=2
	v_cmp_ne_u16_sdwa s42, v16, v52 src0_sel:BYTE_0 src1_sel:DWORD
	v_mov_b32_e32 v11, 0
	s_andn2_b32 s14, s14, exec_lo
	s_and_b32 s42, s42, exec_lo
	s_or_b32 s14, s14, s42
	s_or_b32 exec_lo, exec_lo, s41
	s_and_saveexec_b32 s41, s14
	s_cbranch_execnz .LBB4_1837
	s_branch .LBB4_1838
.LBB4_2183:                             ;   in Loop: Header=BB4_1543 Depth=2
	s_or_saveexec_b32 s41, s41
	v_mov_b32_e32 v119, 0x7f800001
	s_xor_b32 exec_lo, exec_lo, s41
	s_cbranch_execz .LBB4_1842
.LBB4_2184:                             ;   in Loop: Header=BB4_1543 Depth=2
	v_cmp_ne_u16_sdwa s42, v12, v52 src0_sel:BYTE_0 src1_sel:DWORD
	v_mov_b32_e32 v119, 0
	s_andn2_b32 s14, s14, exec_lo
	s_and_b32 s42, s42, exec_lo
	s_or_b32 s14, s14, s42
	s_or_b32 exec_lo, exec_lo, s41
	s_and_saveexec_b32 s41, s14
	s_cbranch_execnz .LBB4_1843
	s_branch .LBB4_1844
.LBB4_2185:                             ;   in Loop: Header=BB4_1543 Depth=2
	s_or_saveexec_b32 s41, s41
	v_mov_b32_e32 v11, 0x7f800001
	s_xor_b32 exec_lo, exec_lo, s41
	s_cbranch_execz .LBB4_1850
.LBB4_2186:                             ;   in Loop: Header=BB4_1543 Depth=2
	v_cmp_ne_u16_sdwa s42, v16, v52 src0_sel:BYTE_0 src1_sel:DWORD
	v_mov_b32_e32 v11, 0
	s_andn2_b32 s14, s14, exec_lo
	s_and_b32 s42, s42, exec_lo
	s_or_b32 s14, s14, s42
	s_or_b32 exec_lo, exec_lo, s41
	s_and_saveexec_b32 s41, s14
	s_cbranch_execnz .LBB4_1851
	s_branch .LBB4_1852
.LBB4_2187:                             ;   in Loop: Header=BB4_1543 Depth=2
	s_or_saveexec_b32 s41, s41
	v_mov_b32_e32 v119, 0x7f800001
	s_xor_b32 exec_lo, exec_lo, s41
	s_cbranch_execz .LBB4_1856
.LBB4_2188:                             ;   in Loop: Header=BB4_1543 Depth=2
	v_cmp_ne_u16_sdwa s42, v12, v52 src0_sel:BYTE_0 src1_sel:DWORD
	v_mov_b32_e32 v119, 0
	s_andn2_b32 s14, s14, exec_lo
	s_and_b32 s42, s42, exec_lo
	s_or_b32 s14, s14, s42
	s_or_b32 exec_lo, exec_lo, s41
	s_and_saveexec_b32 s41, s14
	s_cbranch_execnz .LBB4_1857
	s_branch .LBB4_1858
.LBB4_2189:                             ;   in Loop: Header=BB4_1543 Depth=2
	s_or_saveexec_b32 s41, s41
	v_mov_b32_e32 v11, 0x7f800001
	s_xor_b32 exec_lo, exec_lo, s41
	s_cbranch_execz .LBB4_1872
.LBB4_2190:                             ;   in Loop: Header=BB4_1543 Depth=2
	v_cmp_ne_u16_sdwa s42, v16, v52 src0_sel:BYTE_1 src1_sel:DWORD
	v_mov_b32_e32 v11, 0
	s_andn2_b32 s14, s14, exec_lo
	s_and_b32 s42, s42, exec_lo
	s_or_b32 s14, s14, s42
	s_or_b32 exec_lo, exec_lo, s41
	s_and_saveexec_b32 s41, s14
	s_cbranch_execnz .LBB4_1873
	s_branch .LBB4_1874
.LBB4_2191:                             ;   in Loop: Header=BB4_1543 Depth=2
	s_or_saveexec_b32 s41, s41
	v_mov_b32_e32 v40, 0x7f800001
	s_xor_b32 exec_lo, exec_lo, s41
	s_cbranch_execz .LBB4_1878
.LBB4_2192:                             ;   in Loop: Header=BB4_1543 Depth=2
	v_cmp_ne_u16_sdwa s42, v12, v52 src0_sel:BYTE_1 src1_sel:DWORD
	v_mov_b32_e32 v40, 0
	s_andn2_b32 s14, s14, exec_lo
	s_and_b32 s42, s42, exec_lo
	s_or_b32 s14, s14, s42
	s_or_b32 exec_lo, exec_lo, s41
	s_and_saveexec_b32 s41, s14
	s_cbranch_execnz .LBB4_1879
	s_branch .LBB4_1880
.LBB4_2193:                             ;   in Loop: Header=BB4_1543 Depth=2
	s_or_saveexec_b32 s41, s41
	v_mov_b32_e32 v11, 0x7f800001
	s_xor_b32 exec_lo, exec_lo, s41
	s_cbranch_execz .LBB4_1886
.LBB4_2194:                             ;   in Loop: Header=BB4_1543 Depth=2
	v_cmp_ne_u16_sdwa s42, v16, v52 src0_sel:BYTE_1 src1_sel:DWORD
	v_mov_b32_e32 v11, 0
	s_andn2_b32 s14, s14, exec_lo
	s_and_b32 s42, s42, exec_lo
	s_or_b32 s14, s14, s42
	s_or_b32 exec_lo, exec_lo, s41
	s_and_saveexec_b32 s41, s14
	s_cbranch_execnz .LBB4_1887
	s_branch .LBB4_1888
.LBB4_2195:                             ;   in Loop: Header=BB4_1543 Depth=2
	s_or_saveexec_b32 s41, s41
	v_mov_b32_e32 v40, 0x7f800001
	s_xor_b32 exec_lo, exec_lo, s41
	s_cbranch_execz .LBB4_1892
.LBB4_2196:                             ;   in Loop: Header=BB4_1543 Depth=2
	v_cmp_ne_u16_sdwa s42, v12, v52 src0_sel:BYTE_1 src1_sel:DWORD
	v_mov_b32_e32 v40, 0
	s_andn2_b32 s14, s14, exec_lo
	s_and_b32 s42, s42, exec_lo
	s_or_b32 s14, s14, s42
	s_or_b32 exec_lo, exec_lo, s41
	s_and_saveexec_b32 s41, s14
	s_cbranch_execnz .LBB4_1893
	s_branch .LBB4_1894
.LBB4_2197:                             ;   in Loop: Header=BB4_1543 Depth=2
	s_or_saveexec_b32 s14, s14
	v_mov_b32_e32 v41, 0x7f800001
	s_xor_b32 exec_lo, exec_lo, s14
	s_cbranch_execz .LBB4_1908
.LBB4_2198:                             ;   in Loop: Header=BB4_1543 Depth=2
	v_cmp_ne_u16_e32 vcc_lo, 0, v11
	v_mov_b32_e32 v41, 0
	s_andn2_b32 s41, s41, exec_lo
	s_and_b32 s42, vcc_lo, exec_lo
	s_or_b32 s41, s41, s42
	s_or_b32 exec_lo, exec_lo, s14
	s_and_saveexec_b32 s14, s41
	s_cbranch_execnz .LBB4_1909
	s_branch .LBB4_1910
.LBB4_2199:                             ;   in Loop: Header=BB4_1543 Depth=2
	s_or_saveexec_b32 s41, s41
	v_mov_b32_e32 v42, 0x7f800001
	s_xor_b32 exec_lo, exec_lo, s41
	s_cbranch_execz .LBB4_1914
.LBB4_2200:                             ;   in Loop: Header=BB4_1543 Depth=2
	v_cmp_ne_u16_e32 vcc_lo, 0, v43
	v_mov_b32_e32 v42, 0
	s_andn2_b32 s14, s14, exec_lo
	s_and_b32 s42, vcc_lo, exec_lo
	s_or_b32 s14, s14, s42
	s_or_b32 exec_lo, exec_lo, s41
	s_and_saveexec_b32 s41, s14
	s_cbranch_execnz .LBB4_1915
	s_branch .LBB4_1916
.LBB4_2201:                             ;   in Loop: Header=BB4_1543 Depth=2
	s_or_saveexec_b32 s41, s41
	v_mov_b32_e32 v41, 0x7f800001
	s_xor_b32 exec_lo, exec_lo, s41
	s_cbranch_execz .LBB4_1922
.LBB4_2202:                             ;   in Loop: Header=BB4_1543 Depth=2
	v_cmp_ne_u16_e32 vcc_lo, 0, v11
	v_mov_b32_e32 v41, 0
	s_andn2_b32 s14, s14, exec_lo
	s_and_b32 s42, vcc_lo, exec_lo
	s_or_b32 s14, s14, s42
	s_or_b32 exec_lo, exec_lo, s41
	s_and_saveexec_b32 s41, s14
	s_cbranch_execnz .LBB4_1923
	s_branch .LBB4_1924
.LBB4_2203:                             ;   in Loop: Header=BB4_1543 Depth=2
	s_or_saveexec_b32 s41, s41
	v_mov_b32_e32 v11, 0x7f800001
	s_xor_b32 exec_lo, exec_lo, s41
	s_cbranch_execz .LBB4_1928
.LBB4_2204:                             ;   in Loop: Header=BB4_1543 Depth=2
	v_cmp_ne_u16_e32 vcc_lo, 0, v42
	v_mov_b32_e32 v11, 0
	s_andn2_b32 s14, s14, exec_lo
	s_and_b32 s42, vcc_lo, exec_lo
	s_or_b32 s14, s14, s42
	s_or_b32 exec_lo, exec_lo, s41
	s_and_saveexec_b32 s41, s14
	s_cbranch_execnz .LBB4_1929
	s_branch .LBB4_1930
.LBB4_2205:                             ;   in Loop: Header=BB4_1543 Depth=2
	s_or_saveexec_b32 s41, s41
	v_mov_b32_e32 v11, 0x7f800001
	s_xor_b32 exec_lo, exec_lo, s41
	s_cbranch_execz .LBB4_1944
.LBB4_2206:                             ;   in Loop: Header=BB4_1543 Depth=2
	v_cmp_ne_u16_sdwa s42, v16, v52 src0_sel:BYTE_3 src1_sel:DWORD
	v_mov_b32_e32 v11, 0
	s_andn2_b32 s14, s14, exec_lo
	s_and_b32 s42, s42, exec_lo
	s_or_b32 s14, s14, s42
	s_or_b32 exec_lo, exec_lo, s41
	s_and_saveexec_b32 s41, s14
	s_cbranch_execnz .LBB4_1945
	s_branch .LBB4_1946
.LBB4_2207:                             ;   in Loop: Header=BB4_1543 Depth=2
	s_or_saveexec_b32 s41, s41
	v_mov_b32_e32 v42, 0x7f800001
	s_xor_b32 exec_lo, exec_lo, s41
	s_cbranch_execz .LBB4_1950
.LBB4_2208:                             ;   in Loop: Header=BB4_1543 Depth=2
	v_cmp_ne_u16_sdwa s42, v12, v52 src0_sel:BYTE_3 src1_sel:DWORD
	v_mov_b32_e32 v42, 0
	s_andn2_b32 s14, s14, exec_lo
	s_and_b32 s42, s42, exec_lo
	s_or_b32 s14, s14, s42
	s_or_b32 exec_lo, exec_lo, s41
	s_and_saveexec_b32 s41, s14
	s_cbranch_execnz .LBB4_1951
	s_branch .LBB4_1952
.LBB4_2209:                             ;   in Loop: Header=BB4_1543 Depth=2
	s_or_saveexec_b32 s41, s41
	v_mov_b32_e32 v11, 0x7f800001
	s_xor_b32 exec_lo, exec_lo, s41
	s_cbranch_execz .LBB4_1958
.LBB4_2210:                             ;   in Loop: Header=BB4_1543 Depth=2
	v_cmp_ne_u16_sdwa s42, v16, v52 src0_sel:BYTE_3 src1_sel:DWORD
	v_mov_b32_e32 v11, 0
	s_andn2_b32 s14, s14, exec_lo
	s_and_b32 s42, s42, exec_lo
	s_or_b32 s14, s14, s42
	s_or_b32 exec_lo, exec_lo, s41
	s_and_saveexec_b32 s41, s14
	s_cbranch_execnz .LBB4_1959
	s_branch .LBB4_1960
.LBB4_2211:                             ;   in Loop: Header=BB4_1543 Depth=2
	s_or_saveexec_b32 s41, s41
	v_mov_b32_e32 v16, 0x7f800001
	s_xor_b32 exec_lo, exec_lo, s41
	s_cbranch_execz .LBB4_1964
.LBB4_2212:                             ;   in Loop: Header=BB4_1543 Depth=2
	v_cmp_ne_u16_sdwa s42, v12, v52 src0_sel:BYTE_3 src1_sel:DWORD
	v_mov_b32_e32 v16, 0
	s_andn2_b32 s14, s14, exec_lo
	s_and_b32 s42, s42, exec_lo
	s_or_b32 s14, s14, s42
	s_or_b32 exec_lo, exec_lo, s41
	s_and_saveexec_b32 s41, s14
	s_cbranch_execnz .LBB4_1965
	s_branch .LBB4_1966
.LBB4_2213:                             ;   in Loop: Header=BB4_1543 Depth=2
	s_or_saveexec_b32 s41, s41
	v_mov_b32_e32 v11, 0x7f800001
	s_xor_b32 exec_lo, exec_lo, s41
	s_cbranch_execz .LBB4_1980
.LBB4_2214:                             ;   in Loop: Header=BB4_1543 Depth=2
	v_cmp_ne_u16_sdwa s42, v17, v52 src0_sel:BYTE_0 src1_sel:DWORD
	v_mov_b32_e32 v11, 0
	s_andn2_b32 s14, s14, exec_lo
	s_and_b32 s42, s42, exec_lo
	s_or_b32 s14, s14, s42
	s_or_b32 exec_lo, exec_lo, s41
	s_and_saveexec_b32 s41, s14
	s_cbranch_execnz .LBB4_1981
	s_branch .LBB4_1982
.LBB4_2215:                             ;   in Loop: Header=BB4_1543 Depth=2
	s_or_saveexec_b32 s41, s41
	v_mov_b32_e32 v12, 0x7f800001
	s_xor_b32 exec_lo, exec_lo, s41
	s_cbranch_execz .LBB4_1986
.LBB4_2216:                             ;   in Loop: Header=BB4_1543 Depth=2
	v_cmp_ne_u16_sdwa s42, v13, v52 src0_sel:BYTE_0 src1_sel:DWORD
	v_mov_b32_e32 v12, 0
	s_andn2_b32 s14, s14, exec_lo
	s_and_b32 s42, s42, exec_lo
	s_or_b32 s14, s14, s42
	s_or_b32 exec_lo, exec_lo, s41
	s_and_saveexec_b32 s41, s14
	s_cbranch_execnz .LBB4_1987
	s_branch .LBB4_1988
.LBB4_2217:                             ;   in Loop: Header=BB4_1543 Depth=2
	s_or_saveexec_b32 s41, s41
	v_mov_b32_e32 v11, 0x7f800001
	s_xor_b32 exec_lo, exec_lo, s41
	s_cbranch_execz .LBB4_1994
.LBB4_2218:                             ;   in Loop: Header=BB4_1543 Depth=2
	v_cmp_ne_u16_sdwa s42, v17, v52 src0_sel:BYTE_0 src1_sel:DWORD
	v_mov_b32_e32 v11, 0
	s_andn2_b32 s14, s14, exec_lo
	s_and_b32 s42, s42, exec_lo
	s_or_b32 s14, s14, s42
	s_or_b32 exec_lo, exec_lo, s41
	s_and_saveexec_b32 s41, s14
	s_cbranch_execnz .LBB4_1995
	s_branch .LBB4_1996
.LBB4_2219:                             ;   in Loop: Header=BB4_1543 Depth=2
	s_or_saveexec_b32 s41, s41
	v_mov_b32_e32 v12, 0x7f800001
	s_xor_b32 exec_lo, exec_lo, s41
	s_cbranch_execz .LBB4_2000
.LBB4_2220:                             ;   in Loop: Header=BB4_1543 Depth=2
	v_cmp_ne_u16_sdwa s42, v13, v52 src0_sel:BYTE_0 src1_sel:DWORD
	v_mov_b32_e32 v12, 0
	s_andn2_b32 s14, s14, exec_lo
	s_and_b32 s42, s42, exec_lo
	s_or_b32 s14, s14, s42
	s_or_b32 exec_lo, exec_lo, s41
	s_and_saveexec_b32 s41, s14
	s_cbranch_execnz .LBB4_2001
	s_branch .LBB4_2002
.LBB4_2221:                             ;   in Loop: Header=BB4_1543 Depth=2
	s_or_saveexec_b32 s41, s41
	v_mov_b32_e32 v11, 0x7f800001
	s_xor_b32 exec_lo, exec_lo, s41
	s_cbranch_execz .LBB4_2016
.LBB4_2222:                             ;   in Loop: Header=BB4_1543 Depth=2
	v_cmp_ne_u16_sdwa s42, v17, v52 src0_sel:BYTE_1 src1_sel:DWORD
	v_mov_b32_e32 v11, 0
	s_andn2_b32 s14, s14, exec_lo
	s_and_b32 s42, s42, exec_lo
	s_or_b32 s14, s14, s42
	s_or_b32 exec_lo, exec_lo, s41
	s_and_saveexec_b32 s41, s14
	s_cbranch_execnz .LBB4_2017
	s_branch .LBB4_2018
.LBB4_2223:                             ;   in Loop: Header=BB4_1543 Depth=2
	s_or_saveexec_b32 s41, s41
	v_mov_b32_e32 v12, 0x7f800001
	s_xor_b32 exec_lo, exec_lo, s41
	s_cbranch_execz .LBB4_2022
.LBB4_2224:                             ;   in Loop: Header=BB4_1543 Depth=2
	v_cmp_ne_u16_sdwa s42, v13, v52 src0_sel:BYTE_1 src1_sel:DWORD
	v_mov_b32_e32 v12, 0
	s_andn2_b32 s14, s14, exec_lo
	s_and_b32 s42, s42, exec_lo
	s_or_b32 s14, s14, s42
	s_or_b32 exec_lo, exec_lo, s41
	s_and_saveexec_b32 s41, s14
	s_cbranch_execnz .LBB4_2023
	s_branch .LBB4_2024
.LBB4_2225:                             ;   in Loop: Header=BB4_1543 Depth=2
	s_or_saveexec_b32 s41, s41
	v_mov_b32_e32 v11, 0x7f800001
	s_xor_b32 exec_lo, exec_lo, s41
	s_cbranch_execz .LBB4_2030
.LBB4_2226:                             ;   in Loop: Header=BB4_1543 Depth=2
	v_cmp_ne_u16_sdwa s42, v17, v52 src0_sel:BYTE_1 src1_sel:DWORD
	v_mov_b32_e32 v11, 0
	s_andn2_b32 s14, s14, exec_lo
	s_and_b32 s42, s42, exec_lo
	s_or_b32 s14, s14, s42
	s_or_b32 exec_lo, exec_lo, s41
	s_and_saveexec_b32 s41, s14
	s_cbranch_execnz .LBB4_2031
	s_branch .LBB4_2032
.LBB4_2227:                             ;   in Loop: Header=BB4_1543 Depth=2
	s_or_saveexec_b32 s41, s41
	v_mov_b32_e32 v12, 0x7f800001
	s_xor_b32 exec_lo, exec_lo, s41
	s_cbranch_execz .LBB4_2036
.LBB4_2228:                             ;   in Loop: Header=BB4_1543 Depth=2
	v_cmp_ne_u16_sdwa s42, v13, v52 src0_sel:BYTE_1 src1_sel:DWORD
	v_mov_b32_e32 v12, 0
	s_andn2_b32 s14, s14, exec_lo
	s_and_b32 s42, s42, exec_lo
	s_or_b32 s14, s14, s42
	s_or_b32 exec_lo, exec_lo, s41
	s_and_saveexec_b32 s41, s14
	s_cbranch_execnz .LBB4_2037
	s_branch .LBB4_2038
.LBB4_2229:                             ;   in Loop: Header=BB4_1543 Depth=2
	s_or_saveexec_b32 s14, s14
	v_mov_b32_e32 v12, 0x7f800001
	s_xor_b32 exec_lo, exec_lo, s14
	s_cbranch_execz .LBB4_2052
.LBB4_2230:                             ;   in Loop: Header=BB4_1543 Depth=2
	v_cmp_ne_u16_e32 vcc_lo, 0, v11
	v_mov_b32_e32 v12, 0
	s_andn2_b32 s41, s41, exec_lo
	s_and_b32 s42, vcc_lo, exec_lo
	s_or_b32 s41, s41, s42
	s_or_b32 exec_lo, exec_lo, s14
	s_and_saveexec_b32 s14, s41
	s_cbranch_execnz .LBB4_2053
	s_branch .LBB4_2054
.LBB4_2231:                             ;   in Loop: Header=BB4_1543 Depth=2
	s_or_saveexec_b32 s41, s41
	v_mov_b32_e32 v44, 0x7f800001
	s_xor_b32 exec_lo, exec_lo, s41
	s_cbranch_execz .LBB4_2058
.LBB4_2232:                             ;   in Loop: Header=BB4_1543 Depth=2
	v_cmp_ne_u16_e32 vcc_lo, 0, v45
	v_mov_b32_e32 v44, 0
	s_andn2_b32 s14, s14, exec_lo
	s_and_b32 s42, vcc_lo, exec_lo
	s_or_b32 s14, s14, s42
	s_or_b32 exec_lo, exec_lo, s41
	s_and_saveexec_b32 s41, s14
	s_cbranch_execnz .LBB4_2059
	s_branch .LBB4_2060
.LBB4_2233:                             ;   in Loop: Header=BB4_1543 Depth=2
	s_or_saveexec_b32 s41, s41
	v_mov_b32_e32 v12, 0x7f800001
	s_xor_b32 exec_lo, exec_lo, s41
	s_cbranch_execz .LBB4_2066
.LBB4_2234:                             ;   in Loop: Header=BB4_1543 Depth=2
	v_cmp_ne_u16_e32 vcc_lo, 0, v11
	v_mov_b32_e32 v12, 0
	s_andn2_b32 s14, s14, exec_lo
	s_and_b32 s42, vcc_lo, exec_lo
	s_or_b32 s14, s14, s42
	s_or_b32 exec_lo, exec_lo, s41
	s_and_saveexec_b32 s41, s14
	s_cbranch_execnz .LBB4_2067
	s_branch .LBB4_2068
.LBB4_2235:                             ;   in Loop: Header=BB4_1543 Depth=2
	s_or_saveexec_b32 s41, s41
	v_mov_b32_e32 v11, 0x7f800001
	s_xor_b32 exec_lo, exec_lo, s41
	s_cbranch_execz .LBB4_2072
.LBB4_2236:                             ;   in Loop: Header=BB4_1543 Depth=2
	v_cmp_ne_u16_e32 vcc_lo, 0, v44
	v_mov_b32_e32 v11, 0
	s_andn2_b32 s14, s14, exec_lo
	s_and_b32 s42, vcc_lo, exec_lo
	s_or_b32 s14, s14, s42
	s_or_b32 exec_lo, exec_lo, s41
	s_and_saveexec_b32 s41, s14
	s_cbranch_execnz .LBB4_2073
	s_branch .LBB4_2074
.LBB4_2237:                             ;   in Loop: Header=BB4_1543 Depth=2
	s_or_saveexec_b32 s41, s41
	v_mov_b32_e32 v10, 0x7f800001
	s_xor_b32 exec_lo, exec_lo, s41
	s_cbranch_execz .LBB4_2088
.LBB4_2238:                             ;   in Loop: Header=BB4_1543 Depth=2
	v_cmp_ne_u16_sdwa s42, v17, v52 src0_sel:BYTE_3 src1_sel:DWORD
	v_mov_b32_e32 v10, 0
	s_andn2_b32 s14, s14, exec_lo
	s_and_b32 s42, s42, exec_lo
	s_or_b32 s14, s14, s42
	s_or_b32 exec_lo, exec_lo, s41
	s_and_saveexec_b32 s41, s14
	s_cbranch_execnz .LBB4_2089
	s_branch .LBB4_2090
.LBB4_2239:                             ;   in Loop: Header=BB4_1543 Depth=2
	s_or_saveexec_b32 s41, s41
	v_mov_b32_e32 v11, 0x7f800001
	s_xor_b32 exec_lo, exec_lo, s41
	s_cbranch_execz .LBB4_2094
.LBB4_2240:                             ;   in Loop: Header=BB4_1543 Depth=2
	v_cmp_ne_u16_sdwa s42, v13, v52 src0_sel:BYTE_3 src1_sel:DWORD
	v_mov_b32_e32 v11, 0
	s_andn2_b32 s14, s14, exec_lo
	s_and_b32 s42, s42, exec_lo
	s_or_b32 s14, s14, s42
	s_or_b32 exec_lo, exec_lo, s41
	s_and_saveexec_b32 s41, s14
	s_cbranch_execnz .LBB4_2095
	s_branch .LBB4_2096
.LBB4_2241:                             ;   in Loop: Header=BB4_1543 Depth=2
	s_or_saveexec_b32 s41, s41
	v_mov_b32_e32 v46, 0x7f800001
	s_xor_b32 exec_lo, exec_lo, s41
	s_cbranch_execz .LBB4_2102
.LBB4_2242:                             ;   in Loop: Header=BB4_1543 Depth=2
	v_cmp_ne_u16_sdwa s42, v17, v52 src0_sel:BYTE_3 src1_sel:DWORD
	v_mov_b32_e32 v46, 0
	s_andn2_b32 s14, s14, exec_lo
	s_and_b32 s42, s42, exec_lo
	s_or_b32 s14, s14, s42
	s_or_b32 exec_lo, exec_lo, s41
	s_and_saveexec_b32 s41, s14
	s_cbranch_execnz .LBB4_2103
	s_branch .LBB4_2104
.LBB4_2243:                             ;   in Loop: Header=BB4_1543 Depth=2
	s_or_saveexec_b32 s41, s41
	v_mov_b32_e32 v10, 0x7f800001
	s_xor_b32 exec_lo, exec_lo, s41
	s_cbranch_execz .LBB4_2108
.LBB4_2244:                             ;   in Loop: Header=BB4_1543 Depth=2
	v_cmp_ne_u16_sdwa s42, v13, v52 src0_sel:BYTE_3 src1_sel:DWORD
	v_mov_b32_e32 v10, 0
	s_andn2_b32 s14, s14, exec_lo
	s_and_b32 s42, s42, exec_lo
	s_or_b32 s14, s14, s42
	s_or_b32 exec_lo, exec_lo, s41
	s_and_saveexec_b32 s41, s14
	s_cbranch_execnz .LBB4_2109
	s_branch .LBB4_2110
.LBB4_2245:                             ;   in Loop: Header=BB4_49 Depth=1
	s_or_b32 exec_lo, exec_lo, s29
.LBB4_2246:                             ;   in Loop: Header=BB4_49 Depth=1
	s_or_b32 exec_lo, exec_lo, s28
	v_cmp_lt_i32_e32 vcc_lo, 0, v70
	v_and_b32_e32 v10, 15, v53
	v_and_b32_e32 v11, 0x1f0, v53
	v_cndmask_b32_e32 v12, 0, v97, vcc_lo
	v_cndmask_b32_e64 v17, v25, v10, s13
	v_cndmask_b32_e64 v10, 0, v11, s13
	v_sub_nc_u32_e32 v11, v12, v70
	v_cmp_ne_u32_e32 vcc_lo, 0, v17
	v_and_or_b32 v16, 0x3ffffe00, v53, v10
	v_lshl_add_u32 v18, v11, 5, v24
	s_and_b32 s13, vcc_lo, exec_lo
.LBB4_2247:                             ;   in Loop: Header=BB4_49 Depth=1
	s_or_b32 exec_lo, exec_lo, s27
	s_and_saveexec_b32 s14, s13
	s_cbranch_execz .LBB4_3004
.LBB4_2248:                             ;   in Loop: Header=BB4_49 Depth=1
	v_ashrrev_i32_e32 v10, 31, v18
	v_lshrrev_b32_e32 v11, 9, v17
	s_mov_b32 s27, exec_lo
	v_lshrrev_b32_e32 v10, 27, v10
	v_add_nc_u32_e32 v10, v18, v10
	v_ashrrev_i32_e32 v19, 5, v10
	v_sub_nc_u32_e32 v20, v11, v19
	v_cmpx_lt_i32_e32 0, v20
	s_cbranch_execz .LBB4_2956
; %bb.2249:                             ;   in Loop: Header=BB4_49 Depth=1
	v_and_b32_e32 v10, 0xffffffe0, v10
	s_trap 2
	ds_read_b64 v[12:13], v0
	v_lshlrev_b32_e32 v11, 9, v19
	v_add_co_u32 v21, vcc_lo, 0x1e0, v68
	v_sub_nc_u32_e32 v10, v18, v10
	v_add_co_ci_u32_e64 v22, null, 0, v69, vcc_lo
	s_bitcmp1_b32 s26, 0
	s_mov_b32 s29, 0
	v_add3_u32 v14, v16, v10, v11
	s_cselect_b32 s28, -1, 0
	v_ashrrev_i32_e32 v15, 31, v14
	v_add_co_u32 v10, vcc_lo, v14, v66
	v_add_co_ci_u32_e64 v11, null, v15, v67, vcc_lo
	s_waitcnt lgkmcnt(0)
	v_add_co_u32 v12, vcc_lo, v12, v14
	v_add_co_ci_u32_e64 v13, null, v13, v15, vcc_lo
	v_add_co_u32 v14, vcc_lo, v21, v14
	v_add_co_ci_u32_e64 v15, null, v22, v15, vcc_lo
	s_branch .LBB4_2253
.LBB4_2250:                             ;   in Loop: Header=BB4_2253 Depth=2
	s_or_b32 exec_lo, exec_lo, s13
	v_lshrrev_b32_e32 v22, 21, v22
	v_cmp_gt_i32_e32 vcc_lo, 32, v21
	v_min_i32_e32 v68, 31, v21
	v_and_b32_sdwa v25, v25, v113 dst_sel:DWORD dst_unused:UNUSED_PAD src0_sel:BYTE_3 src1_sel:DWORD
	v_cndmask_b32_e32 v22, 3, v22, vcc_lo
	v_lshlrev_b32_e32 v68, 2, v68
	v_and_b32_e32 v71, 3, v22
	v_or_b32_e32 v21, v21, v22
	v_or3_b32 v22, v68, v25, v71
	v_cmp_ne_u32_e32 vcc_lo, 0, v21
	v_cndmask_b32_e32 v21, 0, v22, vcc_lo
.LBB4_2251:                             ;   in Loop: Header=BB4_2253 Depth=2
	s_or_b32 exec_lo, exec_lo, s41
.LBB4_2252:                             ;   in Loop: Header=BB4_2253 Depth=2
	s_or_b32 exec_lo, exec_lo, s40
	v_add_co_u32 v46, vcc_lo, 0xfffffe20, v14
	v_add_co_ci_u32_e64 v47, null, -1, v15, vcc_lo
	v_add_co_u32 v56, vcc_lo, 0xfffffe40, v14
	v_add_co_ci_u32_e64 v57, null, -1, v15, vcc_lo
	;; [unrolled: 2-line block ×5, first 2 shown]
	v_add_co_u32 v22, vcc_lo, 0xfffffec0, v14
	flat_store_byte v[46:47], v23 glc slc
	flat_store_byte v[56:57], v66 glc slc
	;; [unrolled: 1-line block ×5, first 2 shown]
	v_add_co_ci_u32_e64 v23, null, -1, v15, vcc_lo
	v_add_co_u32 v68, vcc_lo, 0xfffffee0, v14
	v_add_co_ci_u32_e64 v69, null, -1, v15, vcc_lo
	v_add_co_u32 v82, vcc_lo, 0xffffff00, v14
	;; [unrolled: 2-line block ×4, first 2 shown]
	v_add_co_ci_u32_e64 v57, null, -1, v15, vcc_lo
	flat_store_byte v[22:23], v119 glc slc
	flat_store_byte v[68:69], v42 glc slc
	;; [unrolled: 1-line block ×5, first 2 shown]
	v_add_co_u32 v22, vcc_lo, 0xffffff60, v14
	v_add_co_ci_u32_e64 v23, null, -1, v15, vcc_lo
	v_add_co_u32 v68, vcc_lo, 0xffffff80, v14
	v_add_co_ci_u32_e64 v69, null, -1, v15, vcc_lo
	;; [unrolled: 2-line block ×4, first 2 shown]
	v_add_co_u32 v40, vcc_lo, 0xffffffe0, v14
	v_sub_nc_u32_e32 v20, v20, v97
	v_add_co_ci_u32_e64 v41, null, -1, v15, vcc_lo
	v_add_co_u32 v10, vcc_lo, v10, v100
	v_add_co_ci_u32_e64 v11, null, 0, v11, vcc_lo
	v_add_co_u32 v12, vcc_lo, v12, v100
	flat_store_byte v[22:23], v117 glc slc
	flat_store_byte v[68:69], v81 glc slc
	;; [unrolled: 1-line block ×6, first 2 shown]
	v_add_co_ci_u32_e64 v13, null, 0, v13, vcc_lo
	v_cmp_gt_i32_e32 vcc_lo, 1, v20
	v_add_co_u32 v14, s13, v14, v100
	v_add_co_ci_u32_e64 v15, null, 0, v15, s13
	s_or_b32 s29, vcc_lo, s29
	s_andn2_b32 exec_lo, exec_lo, s29
	s_cbranch_execz .LBB4_2955
.LBB4_2253:                             ;   Parent Loop BB4_49 Depth=1
                                        ; =>  This Inner Loop Header: Depth=2
	s_clause 0xf
	flat_load_ubyte v61, v[10:11] slc
	flat_load_ubyte v60, v[10:11] offset:32 slc
	flat_load_ubyte v59, v[10:11] offset:64 slc
	;; [unrolled: 1-line block ×15, first 2 shown]
	s_clause 0xf
	flat_load_ubyte v23, v[12:13] slc
	flat_load_ubyte v66, v[12:13] offset:32 slc
	flat_load_ubyte v69, v[12:13] offset:64 slc
	;; [unrolled: 1-line block ×15, first 2 shown]
	s_and_b32 vcc_lo, exec_lo, s28
	s_mov_b32 s13, -1
                                        ; implicit-def: $vgpr62
	s_waitcnt vmcnt(31) lgkmcnt(31)
	v_cmp_gt_i16_sdwa s40, v61, v112 src0_sel:BYTE_0 src1_sel:DWORD
	s_cbranch_vccz .LBB4_2267
; %bb.2254:                             ;   in Loop: Header=BB4_2253 Depth=2
	s_mov_b32 s13, 0
	s_and_saveexec_b32 s41, s40
	s_xor_b32 s40, exec_lo, s41
	s_cbranch_execz .LBB4_2827
; %bb.2255:                             ;   in Loop: Header=BB4_2253 Depth=2
	v_cmp_eq_u16_sdwa s42, v61, v113 src0_sel:BYTE_0 src1_sel:DWORD
	s_mov_b32 s13, -1
	s_and_saveexec_b32 s41, s42
; %bb.2256:                             ;   in Loop: Header=BB4_2253 Depth=2
	s_xor_b32 s13, exec_lo, -1
; %bb.2257:                             ;   in Loop: Header=BB4_2253 Depth=2
	s_or_b32 exec_lo, exec_lo, s41
	s_and_b32 s13, s13, exec_lo
	s_or_saveexec_b32 s40, s40
	v_mov_b32_e32 v62, 0x7f800001
	s_xor_b32 exec_lo, exec_lo, s40
	s_cbranch_execnz .LBB4_2828
.LBB4_2258:                             ;   in Loop: Header=BB4_2253 Depth=2
	s_or_b32 exec_lo, exec_lo, s40
	s_and_saveexec_b32 s40, s13
	s_cbranch_execz .LBB4_2260
.LBB4_2259:                             ;   in Loop: Header=BB4_2253 Depth=2
	v_and_b32_e32 v62, 3, v61
	v_lshrrev_b16 v72, 2, v61
	v_lshlrev_b32_e32 v74, 24, v61
	v_ffbh_u32_e32 v63, v62
	v_and_b32_e32 v72, 31, v72
	v_min_u32_e32 v63, 32, v63
	v_cmp_eq_u32_e32 vcc_lo, 0, v72
	v_subrev_nc_u32_e32 v73, 29, v63
	v_sub_nc_u32_e32 v63, 30, v63
	v_lshlrev_b32_e32 v73, v73, v61
	v_cndmask_b32_e32 v63, v72, v63, vcc_lo
	v_and_b32_e32 v72, 0x80000000, v74
	v_and_b32_e32 v73, 3, v73
	v_lshl_add_u32 v63, v63, 23, 0x37800000
	v_cndmask_b32_e32 v62, v62, v73, vcc_lo
	v_lshlrev_b32_e32 v62, 21, v62
	v_or3_b32 v62, v72, v63, v62
.LBB4_2260:                             ;   in Loop: Header=BB4_2253 Depth=2
	s_or_b32 exec_lo, exec_lo, s40
	s_waitcnt vmcnt(15) lgkmcnt(15)
	v_cmp_gt_i16_sdwa s40, v23, v112 src0_sel:BYTE_0 src1_sel:DWORD
	s_mov_b32 s13, 0
	s_and_saveexec_b32 s41, s40
	s_xor_b32 s40, exec_lo, s41
	s_cbranch_execz .LBB4_2829
; %bb.2261:                             ;   in Loop: Header=BB4_2253 Depth=2
	v_cmp_eq_u16_sdwa s42, v23, v113 src0_sel:BYTE_0 src1_sel:DWORD
	s_mov_b32 s13, -1
	s_and_saveexec_b32 s41, s42
; %bb.2262:                             ;   in Loop: Header=BB4_2253 Depth=2
	s_xor_b32 s13, exec_lo, -1
; %bb.2263:                             ;   in Loop: Header=BB4_2253 Depth=2
	s_or_b32 exec_lo, exec_lo, s41
	s_and_b32 s13, s13, exec_lo
	s_or_saveexec_b32 s40, s40
	v_mov_b32_e32 v63, 0x7f800001
	s_xor_b32 exec_lo, exec_lo, s40
	s_cbranch_execnz .LBB4_2830
.LBB4_2264:                             ;   in Loop: Header=BB4_2253 Depth=2
	s_or_b32 exec_lo, exec_lo, s40
	s_and_saveexec_b32 s40, s13
	s_cbranch_execz .LBB4_2266
.LBB4_2265:                             ;   in Loop: Header=BB4_2253 Depth=2
	v_and_b32_e32 v63, 3, v23
	v_lshrrev_b16 v73, 2, v23
	v_lshlrev_b32_e32 v75, 24, v23
	v_ffbh_u32_e32 v72, v63
	v_and_b32_e32 v73, 31, v73
	v_min_u32_e32 v72, 32, v72
	v_cmp_eq_u32_e32 vcc_lo, 0, v73
	v_subrev_nc_u32_e32 v74, 29, v72
	v_sub_nc_u32_e32 v72, 30, v72
	v_lshlrev_b32_e32 v74, v74, v23
	v_cndmask_b32_e32 v72, v73, v72, vcc_lo
	v_and_b32_e32 v73, 0x80000000, v75
	v_and_b32_e32 v74, 3, v74
	v_lshl_add_u32 v72, v72, 23, 0x37800000
	v_cndmask_b32_e32 v63, v63, v74, vcc_lo
	v_lshlrev_b32_e32 v63, 21, v63
	v_or3_b32 v63, v73, v72, v63
.LBB4_2266:                             ;   in Loop: Header=BB4_2253 Depth=2
	s_or_b32 exec_lo, exec_lo, s40
	v_max_f32_e32 v63, v63, v63
	v_max_f32_e32 v62, v62, v62
	s_mov_b32 s13, 0
	v_max_f32_e32 v62, v62, v63
.LBB4_2267:                             ;   in Loop: Header=BB4_2253 Depth=2
	s_and_b32 vcc_lo, exec_lo, s13
	s_cbranch_vccz .LBB4_2281
; %bb.2268:                             ;   in Loop: Header=BB4_2253 Depth=2
	v_cmp_gt_i16_sdwa s40, v61, v112 src0_sel:BYTE_0 src1_sel:DWORD
	s_mov_b32 s13, 0
	s_and_saveexec_b32 s41, s40
	s_xor_b32 s40, exec_lo, s41
	s_cbranch_execz .LBB4_2831
; %bb.2269:                             ;   in Loop: Header=BB4_2253 Depth=2
	v_cmp_eq_u16_sdwa s42, v61, v113 src0_sel:BYTE_0 src1_sel:DWORD
	s_mov_b32 s13, -1
	s_and_saveexec_b32 s41, s42
; %bb.2270:                             ;   in Loop: Header=BB4_2253 Depth=2
	s_xor_b32 s13, exec_lo, -1
; %bb.2271:                             ;   in Loop: Header=BB4_2253 Depth=2
	s_or_b32 exec_lo, exec_lo, s41
	s_and_b32 s13, s13, exec_lo
	s_or_saveexec_b32 s40, s40
	v_mov_b32_e32 v62, 0x7f800001
	s_xor_b32 exec_lo, exec_lo, s40
	s_cbranch_execnz .LBB4_2832
.LBB4_2272:                             ;   in Loop: Header=BB4_2253 Depth=2
	s_or_b32 exec_lo, exec_lo, s40
	s_and_saveexec_b32 s40, s13
	s_cbranch_execz .LBB4_2274
.LBB4_2273:                             ;   in Loop: Header=BB4_2253 Depth=2
	v_and_b32_e32 v62, 3, v61
	v_lshrrev_b16 v72, 2, v61
	v_ffbh_u32_e32 v63, v62
	v_and_b32_e32 v72, 31, v72
	v_min_u32_e32 v63, 32, v63
	v_cmp_eq_u32_e32 vcc_lo, 0, v72
	v_subrev_nc_u32_e32 v73, 29, v63
	v_sub_nc_u32_e32 v63, 30, v63
	v_lshlrev_b32_e32 v73, v73, v61
	v_lshlrev_b32_e32 v61, 24, v61
	v_cndmask_b32_e32 v63, v72, v63, vcc_lo
	v_and_b32_e32 v73, 3, v73
	v_and_b32_e32 v61, 0x80000000, v61
	v_lshl_add_u32 v63, v63, 23, 0x37800000
	v_cndmask_b32_e32 v62, v62, v73, vcc_lo
	v_lshlrev_b32_e32 v62, 21, v62
	v_or3_b32 v62, v61, v63, v62
.LBB4_2274:                             ;   in Loop: Header=BB4_2253 Depth=2
	s_or_b32 exec_lo, exec_lo, s40
	s_waitcnt vmcnt(15) lgkmcnt(15)
	v_cmp_gt_i16_sdwa s40, v23, v112 src0_sel:BYTE_0 src1_sel:DWORD
	s_mov_b32 s13, 0
	s_and_saveexec_b32 s41, s40
	s_xor_b32 s40, exec_lo, s41
	s_cbranch_execz .LBB4_2833
; %bb.2275:                             ;   in Loop: Header=BB4_2253 Depth=2
	v_cmp_eq_u16_sdwa s42, v23, v113 src0_sel:BYTE_0 src1_sel:DWORD
	s_mov_b32 s13, -1
	s_and_saveexec_b32 s41, s42
; %bb.2276:                             ;   in Loop: Header=BB4_2253 Depth=2
	s_xor_b32 s13, exec_lo, -1
; %bb.2277:                             ;   in Loop: Header=BB4_2253 Depth=2
	s_or_b32 exec_lo, exec_lo, s41
	s_and_b32 s13, s13, exec_lo
	s_or_saveexec_b32 s40, s40
	v_mov_b32_e32 v61, 0x7f800001
	s_xor_b32 exec_lo, exec_lo, s40
	s_cbranch_execnz .LBB4_2834
.LBB4_2278:                             ;   in Loop: Header=BB4_2253 Depth=2
	s_or_b32 exec_lo, exec_lo, s40
	s_and_saveexec_b32 s40, s13
	s_cbranch_execz .LBB4_2280
.LBB4_2279:                             ;   in Loop: Header=BB4_2253 Depth=2
	v_and_b32_e32 v61, 3, v23
	v_lshrrev_b16 v72, 2, v23
	v_ffbh_u32_e32 v63, v61
	v_and_b32_e32 v72, 31, v72
	v_min_u32_e32 v63, 32, v63
	v_cmp_eq_u32_e32 vcc_lo, 0, v72
	v_subrev_nc_u32_e32 v73, 29, v63
	v_sub_nc_u32_e32 v63, 30, v63
	v_lshlrev_b32_e32 v73, v73, v23
	v_lshlrev_b32_e32 v23, 24, v23
	v_cndmask_b32_e32 v63, v72, v63, vcc_lo
	v_and_b32_e32 v73, 3, v73
	v_and_b32_e32 v23, 0x80000000, v23
	v_lshl_add_u32 v63, v63, 23, 0x37800000
	v_cndmask_b32_e32 v61, v61, v73, vcc_lo
	v_lshlrev_b32_e32 v61, 21, v61
	v_or3_b32 v61, v23, v63, v61
.LBB4_2280:                             ;   in Loop: Header=BB4_2253 Depth=2
	s_or_b32 exec_lo, exec_lo, s40
	v_max_f32_e32 v23, v61, v61
	v_max_f32_e32 v61, v62, v62
	v_min_f32_e32 v62, v61, v23
.LBB4_2281:                             ;   in Loop: Header=BB4_2253 Depth=2
	s_waitcnt vmcnt(15) lgkmcnt(15)
	v_and_b32_e32 v23, 0x7f800000, v62
	v_cmp_ne_u32_e32 vcc_lo, 0x7f800000, v23
	v_mov_b32_e32 v23, 0x80
	s_and_saveexec_b32 s40, vcc_lo
	s_cbranch_execz .LBB4_2289
; %bb.2282:                             ;   in Loop: Header=BB4_2253 Depth=2
	v_mov_b32_e32 v23, 0
	s_mov_b32 s41, exec_lo
	v_cmpx_ne_u32_e32 0, v62
	s_cbranch_execz .LBB4_2288
; %bb.2283:                             ;   in Loop: Header=BB4_2253 Depth=2
	v_bfe_u32 v23, v62, 23, 8
	v_and_b32_e32 v61, 0x7fffff, v62
	v_sub_nc_u32_e32 v63, 0x70, v23
	v_cmp_gt_u32_e32 vcc_lo, 0x71, v23
	v_or_b32_e32 v72, 0x800000, v61
	v_cndmask_b32_e32 v63, 0, v63, vcc_lo
	v_cmp_eq_u32_e32 vcc_lo, 0, v23
	v_add_nc_u32_e32 v23, 0xffffff91, v23
	v_cndmask_b32_e64 v63, v63, 0x6f, vcc_lo
	v_cndmask_b32_e32 v61, v72, v61, vcc_lo
	v_cndmask_b32_e64 v23, v23, 0xffffff92, vcc_lo
	v_lshl_add_u32 v72, 0x200000, v63, -1
	v_lshrrev_b32_e32 v73, v63, v61
	v_lshlrev_b32_e64 v75, v63, 0x100000
	v_add_nc_u32_e32 v63, v63, v23
	v_and_b32_e32 v61, v72, v61
	v_bfe_u32 v74, v73, 21, 1
	v_cmp_eq_u32_e64 s13, v61, v75
	v_add_nc_u32_e32 v72, -1, v74
	v_cndmask_b32_e64 v61, 0, v72, s13
	v_lshrrev_b32_e32 v72, 23, v73
	s_mov_b32 s13, exec_lo
	v_add_nc_u32_e32 v61, v61, v73
	v_xor_b32_e32 v72, 1, v72
	v_and_b32_e32 v23, 0x1fffff, v61
	v_add_nc_u32_e32 v61, v23, v73
                                        ; implicit-def: $vgpr23
	v_cmpx_ne_u32_e64 v63, v72
	s_xor_b32 s13, exec_lo, s13
; %bb.2284:                             ;   in Loop: Header=BB4_2253 Depth=2
	v_cmp_lt_u32_e32 vcc_lo, 0xffffff, v61
	v_sub_nc_u32_e32 v23, v63, v72
	v_cndmask_b32_e64 v63, 0, 1, vcc_lo
	v_add_co_ci_u32_e64 v23, null, 0, v23, vcc_lo
	v_lshrrev_b32_e32 v61, v63, v61
; %bb.2285:                             ;   in Loop: Header=BB4_2253 Depth=2
	s_andn2_saveexec_b32 s13, s13
; %bb.2286:                             ;   in Loop: Header=BB4_2253 Depth=2
	v_bfe_u32 v23, v61, 23, 1
; %bb.2287:                             ;   in Loop: Header=BB4_2253 Depth=2
	s_or_b32 exec_lo, exec_lo, s13
	v_lshrrev_b32_e32 v61, 21, v61
	v_cmp_gt_i32_e32 vcc_lo, 32, v23
	v_min_i32_e32 v63, 31, v23
	v_and_b32_sdwa v62, v62, v113 dst_sel:DWORD dst_unused:UNUSED_PAD src0_sel:BYTE_3 src1_sel:DWORD
	v_cndmask_b32_e32 v61, 3, v61, vcc_lo
	v_lshlrev_b32_e32 v63, 2, v63
	v_and_b32_e32 v72, 3, v61
	v_or_b32_e32 v23, v23, v61
	v_or3_b32 v61, v63, v62, v72
	v_cmp_ne_u32_e32 vcc_lo, 0, v23
	v_cndmask_b32_e32 v23, 0, v61, vcc_lo
.LBB4_2288:                             ;   in Loop: Header=BB4_2253 Depth=2
	s_or_b32 exec_lo, exec_lo, s41
.LBB4_2289:                             ;   in Loop: Header=BB4_2253 Depth=2
	s_or_b32 exec_lo, exec_lo, s40
	v_cmp_gt_i16_sdwa s40, v60, v112 src0_sel:BYTE_0 src1_sel:DWORD
	s_andn2_b32 vcc_lo, exec_lo, s28
	s_mov_b32 s13, -1
                                        ; implicit-def: $vgpr61
	s_cbranch_vccnz .LBB4_2303
; %bb.2290:                             ;   in Loop: Header=BB4_2253 Depth=2
	s_mov_b32 s13, 0
	s_and_saveexec_b32 s41, s40
	s_xor_b32 s40, exec_lo, s41
	s_cbranch_execz .LBB4_2835
; %bb.2291:                             ;   in Loop: Header=BB4_2253 Depth=2
	v_cmp_eq_u16_sdwa s42, v60, v113 src0_sel:BYTE_0 src1_sel:DWORD
	s_mov_b32 s13, -1
	s_and_saveexec_b32 s41, s42
; %bb.2292:                             ;   in Loop: Header=BB4_2253 Depth=2
	s_xor_b32 s13, exec_lo, -1
; %bb.2293:                             ;   in Loop: Header=BB4_2253 Depth=2
	s_or_b32 exec_lo, exec_lo, s41
	s_and_b32 s13, s13, exec_lo
	s_or_saveexec_b32 s40, s40
	v_mov_b32_e32 v61, 0x7f800001
	s_xor_b32 exec_lo, exec_lo, s40
	s_cbranch_execnz .LBB4_2836
.LBB4_2294:                             ;   in Loop: Header=BB4_2253 Depth=2
	s_or_b32 exec_lo, exec_lo, s40
	s_and_saveexec_b32 s40, s13
	s_cbranch_execz .LBB4_2296
.LBB4_2295:                             ;   in Loop: Header=BB4_2253 Depth=2
	v_and_b32_e32 v61, 3, v60
	v_lshrrev_b16 v63, 2, v60
	v_lshlrev_b32_e32 v73, 24, v60
	v_ffbh_u32_e32 v62, v61
	v_and_b32_e32 v63, 31, v63
	v_min_u32_e32 v62, 32, v62
	v_cmp_eq_u32_e32 vcc_lo, 0, v63
	v_subrev_nc_u32_e32 v72, 29, v62
	v_sub_nc_u32_e32 v62, 30, v62
	v_lshlrev_b32_e32 v72, v72, v60
	v_cndmask_b32_e32 v62, v63, v62, vcc_lo
	v_and_b32_e32 v63, 0x80000000, v73
	v_and_b32_e32 v72, 3, v72
	v_lshl_add_u32 v62, v62, 23, 0x37800000
	v_cndmask_b32_e32 v61, v61, v72, vcc_lo
	v_lshlrev_b32_e32 v61, 21, v61
	v_or3_b32 v61, v63, v62, v61
.LBB4_2296:                             ;   in Loop: Header=BB4_2253 Depth=2
	s_or_b32 exec_lo, exec_lo, s40
	s_waitcnt vmcnt(14) lgkmcnt(14)
	v_cmp_gt_i16_sdwa s40, v66, v112 src0_sel:BYTE_0 src1_sel:DWORD
	s_mov_b32 s13, 0
	s_and_saveexec_b32 s41, s40
	s_xor_b32 s40, exec_lo, s41
	s_cbranch_execz .LBB4_2837
; %bb.2297:                             ;   in Loop: Header=BB4_2253 Depth=2
	v_cmp_eq_u16_sdwa s42, v66, v113 src0_sel:BYTE_0 src1_sel:DWORD
	s_mov_b32 s13, -1
	s_and_saveexec_b32 s41, s42
; %bb.2298:                             ;   in Loop: Header=BB4_2253 Depth=2
	s_xor_b32 s13, exec_lo, -1
; %bb.2299:                             ;   in Loop: Header=BB4_2253 Depth=2
	s_or_b32 exec_lo, exec_lo, s41
	s_and_b32 s13, s13, exec_lo
	s_or_saveexec_b32 s40, s40
	v_mov_b32_e32 v62, 0x7f800001
	s_xor_b32 exec_lo, exec_lo, s40
	s_cbranch_execnz .LBB4_2838
.LBB4_2300:                             ;   in Loop: Header=BB4_2253 Depth=2
	s_or_b32 exec_lo, exec_lo, s40
	s_and_saveexec_b32 s40, s13
	s_cbranch_execz .LBB4_2302
.LBB4_2301:                             ;   in Loop: Header=BB4_2253 Depth=2
	v_and_b32_e32 v62, 3, v66
	v_lshrrev_b16 v72, 2, v66
	v_lshlrev_b32_e32 v74, 24, v66
	v_ffbh_u32_e32 v63, v62
	v_and_b32_e32 v72, 31, v72
	v_min_u32_e32 v63, 32, v63
	v_cmp_eq_u32_e32 vcc_lo, 0, v72
	v_subrev_nc_u32_e32 v73, 29, v63
	v_sub_nc_u32_e32 v63, 30, v63
	v_lshlrev_b32_e32 v73, v73, v66
	v_cndmask_b32_e32 v63, v72, v63, vcc_lo
	v_and_b32_e32 v72, 0x80000000, v74
	v_and_b32_e32 v73, 3, v73
	v_lshl_add_u32 v63, v63, 23, 0x37800000
	v_cndmask_b32_e32 v62, v62, v73, vcc_lo
	v_lshlrev_b32_e32 v62, 21, v62
	v_or3_b32 v62, v72, v63, v62
.LBB4_2302:                             ;   in Loop: Header=BB4_2253 Depth=2
	s_or_b32 exec_lo, exec_lo, s40
	v_max_f32_e32 v62, v62, v62
	v_max_f32_e32 v61, v61, v61
	s_mov_b32 s13, 0
	v_max_f32_e32 v61, v61, v62
.LBB4_2303:                             ;   in Loop: Header=BB4_2253 Depth=2
	s_and_b32 vcc_lo, exec_lo, s13
	s_cbranch_vccz .LBB4_2317
; %bb.2304:                             ;   in Loop: Header=BB4_2253 Depth=2
	v_cmp_gt_i16_sdwa s40, v60, v112 src0_sel:BYTE_0 src1_sel:DWORD
	s_mov_b32 s13, 0
	s_and_saveexec_b32 s41, s40
	s_xor_b32 s40, exec_lo, s41
	s_cbranch_execz .LBB4_2839
; %bb.2305:                             ;   in Loop: Header=BB4_2253 Depth=2
	v_cmp_eq_u16_sdwa s42, v60, v113 src0_sel:BYTE_0 src1_sel:DWORD
	s_mov_b32 s13, -1
	s_and_saveexec_b32 s41, s42
; %bb.2306:                             ;   in Loop: Header=BB4_2253 Depth=2
	s_xor_b32 s13, exec_lo, -1
; %bb.2307:                             ;   in Loop: Header=BB4_2253 Depth=2
	s_or_b32 exec_lo, exec_lo, s41
	s_and_b32 s13, s13, exec_lo
	s_or_saveexec_b32 s40, s40
	v_mov_b32_e32 v61, 0x7f800001
	s_xor_b32 exec_lo, exec_lo, s40
	s_cbranch_execnz .LBB4_2840
.LBB4_2308:                             ;   in Loop: Header=BB4_2253 Depth=2
	s_or_b32 exec_lo, exec_lo, s40
	s_and_saveexec_b32 s40, s13
	s_cbranch_execz .LBB4_2310
.LBB4_2309:                             ;   in Loop: Header=BB4_2253 Depth=2
	v_and_b32_e32 v61, 3, v60
	v_lshrrev_b16 v63, 2, v60
	v_ffbh_u32_e32 v62, v61
	v_and_b32_e32 v63, 31, v63
	v_min_u32_e32 v62, 32, v62
	v_cmp_eq_u32_e32 vcc_lo, 0, v63
	v_subrev_nc_u32_e32 v72, 29, v62
	v_sub_nc_u32_e32 v62, 30, v62
	v_lshlrev_b32_e32 v72, v72, v60
	v_lshlrev_b32_e32 v60, 24, v60
	v_cndmask_b32_e32 v62, v63, v62, vcc_lo
	v_and_b32_e32 v72, 3, v72
	v_and_b32_e32 v60, 0x80000000, v60
	v_lshl_add_u32 v62, v62, 23, 0x37800000
	v_cndmask_b32_e32 v61, v61, v72, vcc_lo
	v_lshlrev_b32_e32 v61, 21, v61
	v_or3_b32 v61, v60, v62, v61
.LBB4_2310:                             ;   in Loop: Header=BB4_2253 Depth=2
	s_or_b32 exec_lo, exec_lo, s40
	s_waitcnt vmcnt(14) lgkmcnt(14)
	v_cmp_gt_i16_sdwa s40, v66, v112 src0_sel:BYTE_0 src1_sel:DWORD
	s_mov_b32 s13, 0
	s_and_saveexec_b32 s41, s40
	s_xor_b32 s40, exec_lo, s41
	s_cbranch_execz .LBB4_2841
; %bb.2311:                             ;   in Loop: Header=BB4_2253 Depth=2
	v_cmp_eq_u16_sdwa s42, v66, v113 src0_sel:BYTE_0 src1_sel:DWORD
	s_mov_b32 s13, -1
	s_and_saveexec_b32 s41, s42
; %bb.2312:                             ;   in Loop: Header=BB4_2253 Depth=2
	s_xor_b32 s13, exec_lo, -1
; %bb.2313:                             ;   in Loop: Header=BB4_2253 Depth=2
	s_or_b32 exec_lo, exec_lo, s41
	s_and_b32 s13, s13, exec_lo
	s_or_saveexec_b32 s40, s40
	v_mov_b32_e32 v60, 0x7f800001
	s_xor_b32 exec_lo, exec_lo, s40
	s_cbranch_execnz .LBB4_2842
.LBB4_2314:                             ;   in Loop: Header=BB4_2253 Depth=2
	s_or_b32 exec_lo, exec_lo, s40
	s_and_saveexec_b32 s40, s13
	s_cbranch_execz .LBB4_2316
.LBB4_2315:                             ;   in Loop: Header=BB4_2253 Depth=2
	v_and_b32_e32 v60, 3, v66
	v_lshrrev_b16 v63, 2, v66
	v_ffbh_u32_e32 v62, v60
	v_and_b32_e32 v63, 31, v63
	v_min_u32_e32 v62, 32, v62
	v_cmp_eq_u32_e32 vcc_lo, 0, v63
	v_subrev_nc_u32_e32 v72, 29, v62
	v_sub_nc_u32_e32 v62, 30, v62
	v_lshlrev_b32_e32 v72, v72, v66
	v_lshlrev_b32_e32 v66, 24, v66
	v_cndmask_b32_e32 v62, v63, v62, vcc_lo
	v_and_b32_e32 v72, 3, v72
	v_and_b32_e32 v66, 0x80000000, v66
	v_lshl_add_u32 v62, v62, 23, 0x37800000
	v_cndmask_b32_e32 v60, v60, v72, vcc_lo
	v_lshlrev_b32_e32 v60, 21, v60
	v_or3_b32 v60, v66, v62, v60
.LBB4_2316:                             ;   in Loop: Header=BB4_2253 Depth=2
	s_or_b32 exec_lo, exec_lo, s40
	v_max_f32_e32 v66, v60, v60
	v_max_f32_e32 v60, v61, v61
	v_min_f32_e32 v61, v60, v66
.LBB4_2317:                             ;   in Loop: Header=BB4_2253 Depth=2
	s_waitcnt vmcnt(14) lgkmcnt(14)
	v_and_b32_e32 v66, 0x7f800000, v61
	v_cmp_ne_u32_e32 vcc_lo, 0x7f800000, v66
	v_mov_b32_e32 v66, 0x80
	s_and_saveexec_b32 s40, vcc_lo
	s_cbranch_execz .LBB4_2325
; %bb.2318:                             ;   in Loop: Header=BB4_2253 Depth=2
	v_mov_b32_e32 v66, 0
	s_mov_b32 s41, exec_lo
	v_cmpx_ne_u32_e32 0, v61
	s_cbranch_execz .LBB4_2324
; %bb.2319:                             ;   in Loop: Header=BB4_2253 Depth=2
	v_bfe_u32 v66, v61, 23, 8
	v_and_b32_e32 v60, 0x7fffff, v61
	v_sub_nc_u32_e32 v62, 0x70, v66
	v_cmp_gt_u32_e32 vcc_lo, 0x71, v66
	v_or_b32_e32 v63, 0x800000, v60
	v_cndmask_b32_e32 v62, 0, v62, vcc_lo
	v_cmp_eq_u32_e32 vcc_lo, 0, v66
	v_add_nc_u32_e32 v66, 0xffffff91, v66
	v_cndmask_b32_e64 v62, v62, 0x6f, vcc_lo
	v_cndmask_b32_e32 v60, v63, v60, vcc_lo
	v_cndmask_b32_e64 v66, v66, 0xffffff92, vcc_lo
	v_lshl_add_u32 v63, 0x200000, v62, -1
	v_lshrrev_b32_e32 v72, v62, v60
	v_lshlrev_b32_e64 v74, v62, 0x100000
	v_add_nc_u32_e32 v62, v62, v66
	v_and_b32_e32 v60, v63, v60
	v_bfe_u32 v73, v72, 21, 1
	v_cmp_eq_u32_e64 s13, v60, v74
	v_add_nc_u32_e32 v63, -1, v73
	v_cndmask_b32_e64 v60, 0, v63, s13
	v_lshrrev_b32_e32 v63, 23, v72
	s_mov_b32 s13, exec_lo
	v_add_nc_u32_e32 v60, v60, v72
	v_xor_b32_e32 v63, 1, v63
	v_and_b32_e32 v66, 0x1fffff, v60
	v_add_nc_u32_e32 v60, v66, v72
                                        ; implicit-def: $vgpr66
	v_cmpx_ne_u32_e64 v62, v63
	s_xor_b32 s13, exec_lo, s13
; %bb.2320:                             ;   in Loop: Header=BB4_2253 Depth=2
	v_cmp_lt_u32_e32 vcc_lo, 0xffffff, v60
	v_sub_nc_u32_e32 v66, v62, v63
	v_cndmask_b32_e64 v62, 0, 1, vcc_lo
	v_add_co_ci_u32_e64 v66, null, 0, v66, vcc_lo
	v_lshrrev_b32_e32 v60, v62, v60
; %bb.2321:                             ;   in Loop: Header=BB4_2253 Depth=2
	s_andn2_saveexec_b32 s13, s13
; %bb.2322:                             ;   in Loop: Header=BB4_2253 Depth=2
	v_bfe_u32 v66, v60, 23, 1
; %bb.2323:                             ;   in Loop: Header=BB4_2253 Depth=2
	s_or_b32 exec_lo, exec_lo, s13
	v_lshrrev_b32_e32 v60, 21, v60
	v_cmp_gt_i32_e32 vcc_lo, 32, v66
	v_min_i32_e32 v62, 31, v66
	v_and_b32_sdwa v61, v61, v113 dst_sel:DWORD dst_unused:UNUSED_PAD src0_sel:BYTE_3 src1_sel:DWORD
	v_cndmask_b32_e32 v60, 3, v60, vcc_lo
	v_lshlrev_b32_e32 v62, 2, v62
	v_and_b32_e32 v63, 3, v60
	v_or_b32_e32 v66, v66, v60
	v_or3_b32 v60, v62, v61, v63
	v_cmp_ne_u32_e32 vcc_lo, 0, v66
	v_cndmask_b32_e32 v66, 0, v60, vcc_lo
.LBB4_2324:                             ;   in Loop: Header=BB4_2253 Depth=2
	s_or_b32 exec_lo, exec_lo, s41
.LBB4_2325:                             ;   in Loop: Header=BB4_2253 Depth=2
	s_or_b32 exec_lo, exec_lo, s40
	v_cmp_gt_i16_sdwa s40, v59, v112 src0_sel:BYTE_0 src1_sel:DWORD
	s_andn2_b32 vcc_lo, exec_lo, s28
	s_mov_b32 s13, -1
                                        ; implicit-def: $vgpr60
	s_cbranch_vccnz .LBB4_2339
; %bb.2326:                             ;   in Loop: Header=BB4_2253 Depth=2
	s_mov_b32 s13, 0
	s_and_saveexec_b32 s41, s40
	s_xor_b32 s40, exec_lo, s41
	s_cbranch_execz .LBB4_2843
; %bb.2327:                             ;   in Loop: Header=BB4_2253 Depth=2
	v_cmp_eq_u16_sdwa s42, v59, v113 src0_sel:BYTE_0 src1_sel:DWORD
	s_mov_b32 s13, -1
	s_and_saveexec_b32 s41, s42
; %bb.2328:                             ;   in Loop: Header=BB4_2253 Depth=2
	s_xor_b32 s13, exec_lo, -1
; %bb.2329:                             ;   in Loop: Header=BB4_2253 Depth=2
	s_or_b32 exec_lo, exec_lo, s41
	s_and_b32 s13, s13, exec_lo
	s_or_saveexec_b32 s40, s40
	v_mov_b32_e32 v60, 0x7f800001
	s_xor_b32 exec_lo, exec_lo, s40
	s_cbranch_execnz .LBB4_2844
.LBB4_2330:                             ;   in Loop: Header=BB4_2253 Depth=2
	s_or_b32 exec_lo, exec_lo, s40
	s_and_saveexec_b32 s40, s13
	s_cbranch_execz .LBB4_2332
.LBB4_2331:                             ;   in Loop: Header=BB4_2253 Depth=2
	v_and_b32_e32 v60, 3, v59
	v_lshrrev_b16 v62, 2, v59
	v_lshlrev_b32_e32 v72, 24, v59
	v_ffbh_u32_e32 v61, v60
	v_and_b32_e32 v62, 31, v62
	v_min_u32_e32 v61, 32, v61
	v_cmp_eq_u32_e32 vcc_lo, 0, v62
	v_subrev_nc_u32_e32 v63, 29, v61
	v_sub_nc_u32_e32 v61, 30, v61
	v_lshlrev_b32_e32 v63, v63, v59
	v_cndmask_b32_e32 v61, v62, v61, vcc_lo
	v_and_b32_e32 v62, 0x80000000, v72
	v_and_b32_e32 v63, 3, v63
	v_lshl_add_u32 v61, v61, 23, 0x37800000
	v_cndmask_b32_e32 v60, v60, v63, vcc_lo
	v_lshlrev_b32_e32 v60, 21, v60
	v_or3_b32 v60, v62, v61, v60
.LBB4_2332:                             ;   in Loop: Header=BB4_2253 Depth=2
	s_or_b32 exec_lo, exec_lo, s40
	s_waitcnt vmcnt(13) lgkmcnt(13)
	v_cmp_gt_i16_sdwa s40, v69, v112 src0_sel:BYTE_0 src1_sel:DWORD
	s_mov_b32 s13, 0
	s_and_saveexec_b32 s41, s40
	s_xor_b32 s40, exec_lo, s41
	s_cbranch_execz .LBB4_2845
; %bb.2333:                             ;   in Loop: Header=BB4_2253 Depth=2
	v_cmp_eq_u16_sdwa s42, v69, v113 src0_sel:BYTE_0 src1_sel:DWORD
	s_mov_b32 s13, -1
	s_and_saveexec_b32 s41, s42
; %bb.2334:                             ;   in Loop: Header=BB4_2253 Depth=2
	s_xor_b32 s13, exec_lo, -1
; %bb.2335:                             ;   in Loop: Header=BB4_2253 Depth=2
	s_or_b32 exec_lo, exec_lo, s41
	s_and_b32 s13, s13, exec_lo
	s_or_saveexec_b32 s40, s40
	v_mov_b32_e32 v61, 0x7f800001
	s_xor_b32 exec_lo, exec_lo, s40
	s_cbranch_execnz .LBB4_2846
.LBB4_2336:                             ;   in Loop: Header=BB4_2253 Depth=2
	s_or_b32 exec_lo, exec_lo, s40
	s_and_saveexec_b32 s40, s13
	s_cbranch_execz .LBB4_2338
.LBB4_2337:                             ;   in Loop: Header=BB4_2253 Depth=2
	v_and_b32_e32 v61, 3, v69
	v_lshrrev_b16 v63, 2, v69
	v_lshlrev_b32_e32 v73, 24, v69
	v_ffbh_u32_e32 v62, v61
	v_and_b32_e32 v63, 31, v63
	v_min_u32_e32 v62, 32, v62
	v_cmp_eq_u32_e32 vcc_lo, 0, v63
	v_subrev_nc_u32_e32 v72, 29, v62
	v_sub_nc_u32_e32 v62, 30, v62
	v_lshlrev_b32_e32 v72, v72, v69
	v_cndmask_b32_e32 v62, v63, v62, vcc_lo
	v_and_b32_e32 v63, 0x80000000, v73
	v_and_b32_e32 v72, 3, v72
	v_lshl_add_u32 v62, v62, 23, 0x37800000
	v_cndmask_b32_e32 v61, v61, v72, vcc_lo
	v_lshlrev_b32_e32 v61, 21, v61
	v_or3_b32 v61, v63, v62, v61
.LBB4_2338:                             ;   in Loop: Header=BB4_2253 Depth=2
	s_or_b32 exec_lo, exec_lo, s40
	v_max_f32_e32 v61, v61, v61
	v_max_f32_e32 v60, v60, v60
	s_mov_b32 s13, 0
	v_max_f32_e32 v60, v60, v61
.LBB4_2339:                             ;   in Loop: Header=BB4_2253 Depth=2
	s_and_b32 vcc_lo, exec_lo, s13
	s_cbranch_vccz .LBB4_2353
; %bb.2340:                             ;   in Loop: Header=BB4_2253 Depth=2
	v_cmp_gt_i16_sdwa s40, v59, v112 src0_sel:BYTE_0 src1_sel:DWORD
	s_mov_b32 s13, 0
	s_and_saveexec_b32 s41, s40
	s_xor_b32 s40, exec_lo, s41
	s_cbranch_execz .LBB4_2847
; %bb.2341:                             ;   in Loop: Header=BB4_2253 Depth=2
	v_cmp_eq_u16_sdwa s42, v59, v113 src0_sel:BYTE_0 src1_sel:DWORD
	s_mov_b32 s13, -1
	s_and_saveexec_b32 s41, s42
; %bb.2342:                             ;   in Loop: Header=BB4_2253 Depth=2
	s_xor_b32 s13, exec_lo, -1
; %bb.2343:                             ;   in Loop: Header=BB4_2253 Depth=2
	s_or_b32 exec_lo, exec_lo, s41
	s_and_b32 s13, s13, exec_lo
	s_or_saveexec_b32 s40, s40
	v_mov_b32_e32 v60, 0x7f800001
	s_xor_b32 exec_lo, exec_lo, s40
	s_cbranch_execnz .LBB4_2848
.LBB4_2344:                             ;   in Loop: Header=BB4_2253 Depth=2
	s_or_b32 exec_lo, exec_lo, s40
	s_and_saveexec_b32 s40, s13
	s_cbranch_execz .LBB4_2346
.LBB4_2345:                             ;   in Loop: Header=BB4_2253 Depth=2
	v_and_b32_e32 v60, 3, v59
	v_lshrrev_b16 v62, 2, v59
	v_ffbh_u32_e32 v61, v60
	v_and_b32_e32 v62, 31, v62
	v_min_u32_e32 v61, 32, v61
	v_cmp_eq_u32_e32 vcc_lo, 0, v62
	v_subrev_nc_u32_e32 v63, 29, v61
	v_sub_nc_u32_e32 v61, 30, v61
	v_lshlrev_b32_e32 v63, v63, v59
	v_lshlrev_b32_e32 v59, 24, v59
	v_cndmask_b32_e32 v61, v62, v61, vcc_lo
	v_and_b32_e32 v63, 3, v63
	v_and_b32_e32 v59, 0x80000000, v59
	v_lshl_add_u32 v61, v61, 23, 0x37800000
	v_cndmask_b32_e32 v60, v60, v63, vcc_lo
	v_lshlrev_b32_e32 v60, 21, v60
	v_or3_b32 v60, v59, v61, v60
.LBB4_2346:                             ;   in Loop: Header=BB4_2253 Depth=2
	s_or_b32 exec_lo, exec_lo, s40
	s_waitcnt vmcnt(13) lgkmcnt(13)
	v_cmp_gt_i16_sdwa s40, v69, v112 src0_sel:BYTE_0 src1_sel:DWORD
	s_mov_b32 s13, 0
	s_and_saveexec_b32 s41, s40
	s_xor_b32 s40, exec_lo, s41
	s_cbranch_execz .LBB4_2849
; %bb.2347:                             ;   in Loop: Header=BB4_2253 Depth=2
	v_cmp_eq_u16_sdwa s42, v69, v113 src0_sel:BYTE_0 src1_sel:DWORD
	s_mov_b32 s13, -1
	s_and_saveexec_b32 s41, s42
; %bb.2348:                             ;   in Loop: Header=BB4_2253 Depth=2
	s_xor_b32 s13, exec_lo, -1
; %bb.2349:                             ;   in Loop: Header=BB4_2253 Depth=2
	s_or_b32 exec_lo, exec_lo, s41
	s_and_b32 s13, s13, exec_lo
	s_or_saveexec_b32 s40, s40
	v_mov_b32_e32 v59, 0x7f800001
	s_xor_b32 exec_lo, exec_lo, s40
	s_cbranch_execnz .LBB4_2850
.LBB4_2350:                             ;   in Loop: Header=BB4_2253 Depth=2
	s_or_b32 exec_lo, exec_lo, s40
	s_and_saveexec_b32 s40, s13
	s_cbranch_execz .LBB4_2352
.LBB4_2351:                             ;   in Loop: Header=BB4_2253 Depth=2
	v_and_b32_e32 v59, 3, v69
	v_lshrrev_b16 v62, 2, v69
	v_ffbh_u32_e32 v61, v59
	v_and_b32_e32 v62, 31, v62
	v_min_u32_e32 v61, 32, v61
	v_cmp_eq_u32_e32 vcc_lo, 0, v62
	v_subrev_nc_u32_e32 v63, 29, v61
	v_sub_nc_u32_e32 v61, 30, v61
	v_lshlrev_b32_e32 v63, v63, v69
	v_lshlrev_b32_e32 v69, 24, v69
	v_cndmask_b32_e32 v61, v62, v61, vcc_lo
	v_and_b32_e32 v63, 3, v63
	v_and_b32_e32 v69, 0x80000000, v69
	v_lshl_add_u32 v61, v61, 23, 0x37800000
	v_cndmask_b32_e32 v59, v59, v63, vcc_lo
	v_lshlrev_b32_e32 v59, 21, v59
	v_or3_b32 v59, v69, v61, v59
.LBB4_2352:                             ;   in Loop: Header=BB4_2253 Depth=2
	s_or_b32 exec_lo, exec_lo, s40
	v_max_f32_e32 v69, v59, v59
	v_max_f32_e32 v59, v60, v60
	v_min_f32_e32 v60, v59, v69
.LBB4_2353:                             ;   in Loop: Header=BB4_2253 Depth=2
	s_waitcnt vmcnt(13) lgkmcnt(13)
	v_and_b32_e32 v69, 0x7f800000, v60
	v_cmp_ne_u32_e32 vcc_lo, 0x7f800000, v69
	v_mov_b32_e32 v69, 0x80
	s_and_saveexec_b32 s40, vcc_lo
	s_cbranch_execz .LBB4_2361
; %bb.2354:                             ;   in Loop: Header=BB4_2253 Depth=2
	v_mov_b32_e32 v69, 0
	s_mov_b32 s41, exec_lo
	v_cmpx_ne_u32_e32 0, v60
	s_cbranch_execz .LBB4_2360
; %bb.2355:                             ;   in Loop: Header=BB4_2253 Depth=2
	v_bfe_u32 v69, v60, 23, 8
	v_and_b32_e32 v59, 0x7fffff, v60
	v_sub_nc_u32_e32 v61, 0x70, v69
	v_cmp_gt_u32_e32 vcc_lo, 0x71, v69
	v_or_b32_e32 v62, 0x800000, v59
	v_cndmask_b32_e32 v61, 0, v61, vcc_lo
	v_cmp_eq_u32_e32 vcc_lo, 0, v69
	v_add_nc_u32_e32 v69, 0xffffff91, v69
	v_cndmask_b32_e64 v61, v61, 0x6f, vcc_lo
	v_cndmask_b32_e32 v59, v62, v59, vcc_lo
	v_cndmask_b32_e64 v69, v69, 0xffffff92, vcc_lo
	v_lshl_add_u32 v62, 0x200000, v61, -1
	v_lshrrev_b32_e32 v63, v61, v59
	v_lshlrev_b32_e64 v73, v61, 0x100000
	v_add_nc_u32_e32 v61, v61, v69
	v_and_b32_e32 v59, v62, v59
	v_bfe_u32 v72, v63, 21, 1
	v_cmp_eq_u32_e64 s13, v59, v73
	v_add_nc_u32_e32 v62, -1, v72
	v_cndmask_b32_e64 v59, 0, v62, s13
	v_lshrrev_b32_e32 v62, 23, v63
	s_mov_b32 s13, exec_lo
	v_add_nc_u32_e32 v59, v59, v63
	v_xor_b32_e32 v62, 1, v62
	v_and_b32_e32 v69, 0x1fffff, v59
	v_add_nc_u32_e32 v59, v69, v63
                                        ; implicit-def: $vgpr69
	v_cmpx_ne_u32_e64 v61, v62
	s_xor_b32 s13, exec_lo, s13
; %bb.2356:                             ;   in Loop: Header=BB4_2253 Depth=2
	v_cmp_lt_u32_e32 vcc_lo, 0xffffff, v59
	v_sub_nc_u32_e32 v69, v61, v62
	v_cndmask_b32_e64 v61, 0, 1, vcc_lo
	v_add_co_ci_u32_e64 v69, null, 0, v69, vcc_lo
	v_lshrrev_b32_e32 v59, v61, v59
; %bb.2357:                             ;   in Loop: Header=BB4_2253 Depth=2
	s_andn2_saveexec_b32 s13, s13
; %bb.2358:                             ;   in Loop: Header=BB4_2253 Depth=2
	v_bfe_u32 v69, v59, 23, 1
; %bb.2359:                             ;   in Loop: Header=BB4_2253 Depth=2
	s_or_b32 exec_lo, exec_lo, s13
	v_lshrrev_b32_e32 v59, 21, v59
	v_cmp_gt_i32_e32 vcc_lo, 32, v69
	v_min_i32_e32 v61, 31, v69
	v_and_b32_sdwa v60, v60, v113 dst_sel:DWORD dst_unused:UNUSED_PAD src0_sel:BYTE_3 src1_sel:DWORD
	v_cndmask_b32_e32 v59, 3, v59, vcc_lo
	v_lshlrev_b32_e32 v61, 2, v61
	v_and_b32_e32 v62, 3, v59
	v_or_b32_e32 v69, v69, v59
	v_or3_b32 v59, v61, v60, v62
	v_cmp_ne_u32_e32 vcc_lo, 0, v69
	v_cndmask_b32_e32 v69, 0, v59, vcc_lo
.LBB4_2360:                             ;   in Loop: Header=BB4_2253 Depth=2
	s_or_b32 exec_lo, exec_lo, s41
.LBB4_2361:                             ;   in Loop: Header=BB4_2253 Depth=2
	s_or_b32 exec_lo, exec_lo, s40
	v_cmp_gt_i16_sdwa s40, v58, v112 src0_sel:BYTE_0 src1_sel:DWORD
	s_andn2_b32 vcc_lo, exec_lo, s28
	s_mov_b32 s13, -1
                                        ; implicit-def: $vgpr59
	s_cbranch_vccnz .LBB4_2375
; %bb.2362:                             ;   in Loop: Header=BB4_2253 Depth=2
	s_mov_b32 s13, 0
	s_and_saveexec_b32 s41, s40
	s_xor_b32 s40, exec_lo, s41
	s_cbranch_execz .LBB4_2851
; %bb.2363:                             ;   in Loop: Header=BB4_2253 Depth=2
	v_cmp_eq_u16_sdwa s42, v58, v113 src0_sel:BYTE_0 src1_sel:DWORD
	s_mov_b32 s13, -1
	s_and_saveexec_b32 s41, s42
; %bb.2364:                             ;   in Loop: Header=BB4_2253 Depth=2
	s_xor_b32 s13, exec_lo, -1
; %bb.2365:                             ;   in Loop: Header=BB4_2253 Depth=2
	s_or_b32 exec_lo, exec_lo, s41
	s_and_b32 s13, s13, exec_lo
	s_or_saveexec_b32 s40, s40
	v_mov_b32_e32 v59, 0x7f800001
	s_xor_b32 exec_lo, exec_lo, s40
	s_cbranch_execnz .LBB4_2852
.LBB4_2366:                             ;   in Loop: Header=BB4_2253 Depth=2
	s_or_b32 exec_lo, exec_lo, s40
	s_and_saveexec_b32 s40, s13
	s_cbranch_execz .LBB4_2368
.LBB4_2367:                             ;   in Loop: Header=BB4_2253 Depth=2
	v_and_b32_e32 v59, 3, v58
	v_lshrrev_b16 v61, 2, v58
	v_lshlrev_b32_e32 v63, 24, v58
	v_ffbh_u32_e32 v60, v59
	v_and_b32_e32 v61, 31, v61
	v_min_u32_e32 v60, 32, v60
	v_cmp_eq_u32_e32 vcc_lo, 0, v61
	v_subrev_nc_u32_e32 v62, 29, v60
	v_sub_nc_u32_e32 v60, 30, v60
	v_lshlrev_b32_e32 v62, v62, v58
	v_cndmask_b32_e32 v60, v61, v60, vcc_lo
	v_and_b32_e32 v61, 0x80000000, v63
	v_and_b32_e32 v62, 3, v62
	v_lshl_add_u32 v60, v60, 23, 0x37800000
	v_cndmask_b32_e32 v59, v59, v62, vcc_lo
	v_lshlrev_b32_e32 v59, 21, v59
	v_or3_b32 v59, v61, v60, v59
.LBB4_2368:                             ;   in Loop: Header=BB4_2253 Depth=2
	s_or_b32 exec_lo, exec_lo, s40
	s_waitcnt vmcnt(12) lgkmcnt(12)
	v_cmp_gt_i16_sdwa s40, v80, v112 src0_sel:BYTE_0 src1_sel:DWORD
	s_mov_b32 s13, 0
	s_and_saveexec_b32 s41, s40
	s_xor_b32 s40, exec_lo, s41
	s_cbranch_execz .LBB4_2853
; %bb.2369:                             ;   in Loop: Header=BB4_2253 Depth=2
	v_cmp_eq_u16_sdwa s42, v80, v113 src0_sel:BYTE_0 src1_sel:DWORD
	s_mov_b32 s13, -1
	s_and_saveexec_b32 s41, s42
; %bb.2370:                             ;   in Loop: Header=BB4_2253 Depth=2
	s_xor_b32 s13, exec_lo, -1
; %bb.2371:                             ;   in Loop: Header=BB4_2253 Depth=2
	s_or_b32 exec_lo, exec_lo, s41
	s_and_b32 s13, s13, exec_lo
	s_or_saveexec_b32 s40, s40
	v_mov_b32_e32 v60, 0x7f800001
	s_xor_b32 exec_lo, exec_lo, s40
	s_cbranch_execnz .LBB4_2854
.LBB4_2372:                             ;   in Loop: Header=BB4_2253 Depth=2
	s_or_b32 exec_lo, exec_lo, s40
	s_and_saveexec_b32 s40, s13
	s_cbranch_execz .LBB4_2374
.LBB4_2373:                             ;   in Loop: Header=BB4_2253 Depth=2
	v_and_b32_e32 v60, 3, v80
	v_lshrrev_b16 v62, 2, v80
	v_lshlrev_b32_e32 v72, 24, v80
	v_ffbh_u32_e32 v61, v60
	v_and_b32_e32 v62, 31, v62
	v_min_u32_e32 v61, 32, v61
	v_cmp_eq_u32_e32 vcc_lo, 0, v62
	v_subrev_nc_u32_e32 v63, 29, v61
	v_sub_nc_u32_e32 v61, 30, v61
	v_lshlrev_b32_e32 v63, v63, v80
	v_cndmask_b32_e32 v61, v62, v61, vcc_lo
	v_and_b32_e32 v62, 0x80000000, v72
	v_and_b32_e32 v63, 3, v63
	v_lshl_add_u32 v61, v61, 23, 0x37800000
	v_cndmask_b32_e32 v60, v60, v63, vcc_lo
	v_lshlrev_b32_e32 v60, 21, v60
	v_or3_b32 v60, v62, v61, v60
.LBB4_2374:                             ;   in Loop: Header=BB4_2253 Depth=2
	s_or_b32 exec_lo, exec_lo, s40
	v_max_f32_e32 v60, v60, v60
	v_max_f32_e32 v59, v59, v59
	s_mov_b32 s13, 0
	v_max_f32_e32 v59, v59, v60
.LBB4_2375:                             ;   in Loop: Header=BB4_2253 Depth=2
	s_and_b32 vcc_lo, exec_lo, s13
	s_cbranch_vccz .LBB4_2389
; %bb.2376:                             ;   in Loop: Header=BB4_2253 Depth=2
	v_cmp_gt_i16_sdwa s40, v58, v112 src0_sel:BYTE_0 src1_sel:DWORD
	s_mov_b32 s13, 0
	s_and_saveexec_b32 s41, s40
	s_xor_b32 s40, exec_lo, s41
	s_cbranch_execz .LBB4_2855
; %bb.2377:                             ;   in Loop: Header=BB4_2253 Depth=2
	v_cmp_eq_u16_sdwa s42, v58, v113 src0_sel:BYTE_0 src1_sel:DWORD
	s_mov_b32 s13, -1
	s_and_saveexec_b32 s41, s42
; %bb.2378:                             ;   in Loop: Header=BB4_2253 Depth=2
	s_xor_b32 s13, exec_lo, -1
; %bb.2379:                             ;   in Loop: Header=BB4_2253 Depth=2
	s_or_b32 exec_lo, exec_lo, s41
	s_and_b32 s13, s13, exec_lo
	s_or_saveexec_b32 s40, s40
	v_mov_b32_e32 v59, 0x7f800001
	s_xor_b32 exec_lo, exec_lo, s40
	s_cbranch_execnz .LBB4_2856
.LBB4_2380:                             ;   in Loop: Header=BB4_2253 Depth=2
	s_or_b32 exec_lo, exec_lo, s40
	s_and_saveexec_b32 s40, s13
	s_cbranch_execz .LBB4_2382
.LBB4_2381:                             ;   in Loop: Header=BB4_2253 Depth=2
	v_and_b32_e32 v59, 3, v58
	v_lshrrev_b16 v61, 2, v58
	v_ffbh_u32_e32 v60, v59
	v_and_b32_e32 v61, 31, v61
	v_min_u32_e32 v60, 32, v60
	v_cmp_eq_u32_e32 vcc_lo, 0, v61
	v_subrev_nc_u32_e32 v62, 29, v60
	v_sub_nc_u32_e32 v60, 30, v60
	v_lshlrev_b32_e32 v62, v62, v58
	v_lshlrev_b32_e32 v58, 24, v58
	v_cndmask_b32_e32 v60, v61, v60, vcc_lo
	v_and_b32_e32 v62, 3, v62
	v_and_b32_e32 v58, 0x80000000, v58
	v_lshl_add_u32 v60, v60, 23, 0x37800000
	v_cndmask_b32_e32 v59, v59, v62, vcc_lo
	v_lshlrev_b32_e32 v59, 21, v59
	v_or3_b32 v59, v58, v60, v59
.LBB4_2382:                             ;   in Loop: Header=BB4_2253 Depth=2
	s_or_b32 exec_lo, exec_lo, s40
	s_waitcnt vmcnt(12) lgkmcnt(12)
	v_cmp_gt_i16_sdwa s40, v80, v112 src0_sel:BYTE_0 src1_sel:DWORD
	s_mov_b32 s13, 0
	s_and_saveexec_b32 s41, s40
	s_xor_b32 s40, exec_lo, s41
	s_cbranch_execz .LBB4_2857
; %bb.2383:                             ;   in Loop: Header=BB4_2253 Depth=2
	v_cmp_eq_u16_sdwa s42, v80, v113 src0_sel:BYTE_0 src1_sel:DWORD
	s_mov_b32 s13, -1
	s_and_saveexec_b32 s41, s42
; %bb.2384:                             ;   in Loop: Header=BB4_2253 Depth=2
	s_xor_b32 s13, exec_lo, -1
; %bb.2385:                             ;   in Loop: Header=BB4_2253 Depth=2
	s_or_b32 exec_lo, exec_lo, s41
	s_and_b32 s13, s13, exec_lo
	s_or_saveexec_b32 s40, s40
	v_mov_b32_e32 v58, 0x7f800001
	s_xor_b32 exec_lo, exec_lo, s40
	s_cbranch_execnz .LBB4_2858
.LBB4_2386:                             ;   in Loop: Header=BB4_2253 Depth=2
	s_or_b32 exec_lo, exec_lo, s40
	s_and_saveexec_b32 s40, s13
	s_cbranch_execz .LBB4_2388
.LBB4_2387:                             ;   in Loop: Header=BB4_2253 Depth=2
	v_and_b32_e32 v58, 3, v80
	v_lshrrev_b16 v61, 2, v80
	v_ffbh_u32_e32 v60, v58
	v_and_b32_e32 v61, 31, v61
	v_min_u32_e32 v60, 32, v60
	v_cmp_eq_u32_e32 vcc_lo, 0, v61
	v_subrev_nc_u32_e32 v62, 29, v60
	v_sub_nc_u32_e32 v60, 30, v60
	v_lshlrev_b32_e32 v62, v62, v80
	v_lshlrev_b32_e32 v80, 24, v80
	v_cndmask_b32_e32 v60, v61, v60, vcc_lo
	v_and_b32_e32 v62, 3, v62
	v_and_b32_e32 v80, 0x80000000, v80
	v_lshl_add_u32 v60, v60, 23, 0x37800000
	v_cndmask_b32_e32 v58, v58, v62, vcc_lo
	v_lshlrev_b32_e32 v58, 21, v58
	v_or3_b32 v58, v80, v60, v58
.LBB4_2388:                             ;   in Loop: Header=BB4_2253 Depth=2
	s_or_b32 exec_lo, exec_lo, s40
	v_max_f32_e32 v80, v58, v58
	v_max_f32_e32 v58, v59, v59
	v_min_f32_e32 v59, v58, v80
.LBB4_2389:                             ;   in Loop: Header=BB4_2253 Depth=2
	s_waitcnt vmcnt(12) lgkmcnt(12)
	v_and_b32_e32 v80, 0x7f800000, v59
	v_cmp_ne_u32_e32 vcc_lo, 0x7f800000, v80
	v_mov_b32_e32 v80, 0x80
	s_and_saveexec_b32 s40, vcc_lo
	s_cbranch_execz .LBB4_2397
; %bb.2390:                             ;   in Loop: Header=BB4_2253 Depth=2
	v_mov_b32_e32 v80, 0
	s_mov_b32 s41, exec_lo
	v_cmpx_ne_u32_e32 0, v59
	s_cbranch_execz .LBB4_2396
; %bb.2391:                             ;   in Loop: Header=BB4_2253 Depth=2
	v_bfe_u32 v80, v59, 23, 8
	v_and_b32_e32 v58, 0x7fffff, v59
	v_sub_nc_u32_e32 v60, 0x70, v80
	v_cmp_gt_u32_e32 vcc_lo, 0x71, v80
	v_or_b32_e32 v61, 0x800000, v58
	v_cndmask_b32_e32 v60, 0, v60, vcc_lo
	v_cmp_eq_u32_e32 vcc_lo, 0, v80
	v_add_nc_u32_e32 v80, 0xffffff91, v80
	v_cndmask_b32_e64 v60, v60, 0x6f, vcc_lo
	v_cndmask_b32_e32 v58, v61, v58, vcc_lo
	v_cndmask_b32_e64 v80, v80, 0xffffff92, vcc_lo
	v_lshl_add_u32 v61, 0x200000, v60, -1
	v_lshrrev_b32_e32 v62, v60, v58
	v_lshlrev_b32_e64 v72, v60, 0x100000
	v_add_nc_u32_e32 v60, v60, v80
	v_and_b32_e32 v58, v61, v58
	v_bfe_u32 v63, v62, 21, 1
	v_cmp_eq_u32_e64 s13, v58, v72
	v_add_nc_u32_e32 v61, -1, v63
	v_cndmask_b32_e64 v58, 0, v61, s13
	v_lshrrev_b32_e32 v61, 23, v62
	s_mov_b32 s13, exec_lo
	v_add_nc_u32_e32 v58, v58, v62
	v_xor_b32_e32 v61, 1, v61
	v_and_b32_e32 v80, 0x1fffff, v58
	v_add_nc_u32_e32 v58, v80, v62
                                        ; implicit-def: $vgpr80
	v_cmpx_ne_u32_e64 v60, v61
	s_xor_b32 s13, exec_lo, s13
; %bb.2392:                             ;   in Loop: Header=BB4_2253 Depth=2
	v_cmp_lt_u32_e32 vcc_lo, 0xffffff, v58
	v_sub_nc_u32_e32 v80, v60, v61
	v_cndmask_b32_e64 v60, 0, 1, vcc_lo
	v_add_co_ci_u32_e64 v80, null, 0, v80, vcc_lo
	v_lshrrev_b32_e32 v58, v60, v58
; %bb.2393:                             ;   in Loop: Header=BB4_2253 Depth=2
	s_andn2_saveexec_b32 s13, s13
; %bb.2394:                             ;   in Loop: Header=BB4_2253 Depth=2
	v_bfe_u32 v80, v58, 23, 1
; %bb.2395:                             ;   in Loop: Header=BB4_2253 Depth=2
	s_or_b32 exec_lo, exec_lo, s13
	v_lshrrev_b32_e32 v58, 21, v58
	v_cmp_gt_i32_e32 vcc_lo, 32, v80
	v_min_i32_e32 v60, 31, v80
	v_and_b32_sdwa v59, v59, v113 dst_sel:DWORD dst_unused:UNUSED_PAD src0_sel:BYTE_3 src1_sel:DWORD
	v_cndmask_b32_e32 v58, 3, v58, vcc_lo
	v_lshlrev_b32_e32 v60, 2, v60
	v_and_b32_e32 v61, 3, v58
	v_or_b32_e32 v80, v80, v58
	v_or3_b32 v58, v60, v59, v61
	v_cmp_ne_u32_e32 vcc_lo, 0, v80
	v_cndmask_b32_e32 v80, 0, v58, vcc_lo
.LBB4_2396:                             ;   in Loop: Header=BB4_2253 Depth=2
	s_or_b32 exec_lo, exec_lo, s41
.LBB4_2397:                             ;   in Loop: Header=BB4_2253 Depth=2
	s_or_b32 exec_lo, exec_lo, s40
	v_cmp_gt_i16_sdwa s40, v57, v112 src0_sel:BYTE_0 src1_sel:DWORD
	s_andn2_b32 vcc_lo, exec_lo, s28
	s_mov_b32 s13, -1
                                        ; implicit-def: $vgpr58
	s_cbranch_vccnz .LBB4_2411
; %bb.2398:                             ;   in Loop: Header=BB4_2253 Depth=2
	s_mov_b32 s13, 0
	s_and_saveexec_b32 s41, s40
	s_xor_b32 s40, exec_lo, s41
	s_cbranch_execz .LBB4_2859
; %bb.2399:                             ;   in Loop: Header=BB4_2253 Depth=2
	v_cmp_eq_u16_sdwa s42, v57, v113 src0_sel:BYTE_0 src1_sel:DWORD
	s_mov_b32 s13, -1
	s_and_saveexec_b32 s41, s42
; %bb.2400:                             ;   in Loop: Header=BB4_2253 Depth=2
	s_xor_b32 s13, exec_lo, -1
; %bb.2401:                             ;   in Loop: Header=BB4_2253 Depth=2
	s_or_b32 exec_lo, exec_lo, s41
	s_and_b32 s13, s13, exec_lo
	s_or_saveexec_b32 s40, s40
	v_mov_b32_e32 v58, 0x7f800001
	s_xor_b32 exec_lo, exec_lo, s40
	s_cbranch_execnz .LBB4_2860
.LBB4_2402:                             ;   in Loop: Header=BB4_2253 Depth=2
	s_or_b32 exec_lo, exec_lo, s40
	s_and_saveexec_b32 s40, s13
	s_cbranch_execz .LBB4_2404
.LBB4_2403:                             ;   in Loop: Header=BB4_2253 Depth=2
	v_and_b32_e32 v58, 3, v57
	v_lshrrev_b16 v60, 2, v57
	v_lshlrev_b32_e32 v62, 24, v57
	v_ffbh_u32_e32 v59, v58
	v_and_b32_e32 v60, 31, v60
	v_min_u32_e32 v59, 32, v59
	v_cmp_eq_u32_e32 vcc_lo, 0, v60
	v_subrev_nc_u32_e32 v61, 29, v59
	v_sub_nc_u32_e32 v59, 30, v59
	v_lshlrev_b32_e32 v61, v61, v57
	v_cndmask_b32_e32 v59, v60, v59, vcc_lo
	v_and_b32_e32 v60, 0x80000000, v62
	v_and_b32_e32 v61, 3, v61
	v_lshl_add_u32 v59, v59, 23, 0x37800000
	v_cndmask_b32_e32 v58, v58, v61, vcc_lo
	v_lshlrev_b32_e32 v58, 21, v58
	v_or3_b32 v58, v60, v59, v58
.LBB4_2404:                             ;   in Loop: Header=BB4_2253 Depth=2
	s_or_b32 exec_lo, exec_lo, s40
	s_waitcnt vmcnt(11) lgkmcnt(11)
	v_cmp_gt_i16_sdwa s40, v83, v112 src0_sel:BYTE_0 src1_sel:DWORD
	s_mov_b32 s13, 0
	s_and_saveexec_b32 s41, s40
	s_xor_b32 s40, exec_lo, s41
	s_cbranch_execz .LBB4_2861
; %bb.2405:                             ;   in Loop: Header=BB4_2253 Depth=2
	v_cmp_eq_u16_sdwa s42, v83, v113 src0_sel:BYTE_0 src1_sel:DWORD
	s_mov_b32 s13, -1
	s_and_saveexec_b32 s41, s42
; %bb.2406:                             ;   in Loop: Header=BB4_2253 Depth=2
	s_xor_b32 s13, exec_lo, -1
; %bb.2407:                             ;   in Loop: Header=BB4_2253 Depth=2
	s_or_b32 exec_lo, exec_lo, s41
	s_and_b32 s13, s13, exec_lo
	s_or_saveexec_b32 s40, s40
	v_mov_b32_e32 v59, 0x7f800001
	s_xor_b32 exec_lo, exec_lo, s40
	s_cbranch_execnz .LBB4_2862
.LBB4_2408:                             ;   in Loop: Header=BB4_2253 Depth=2
	s_or_b32 exec_lo, exec_lo, s40
	s_and_saveexec_b32 s40, s13
	s_cbranch_execz .LBB4_2410
.LBB4_2409:                             ;   in Loop: Header=BB4_2253 Depth=2
	v_and_b32_e32 v59, 3, v83
	v_lshrrev_b16 v61, 2, v83
	v_lshlrev_b32_e32 v63, 24, v83
	v_ffbh_u32_e32 v60, v59
	v_and_b32_e32 v61, 31, v61
	v_min_u32_e32 v60, 32, v60
	v_cmp_eq_u32_e32 vcc_lo, 0, v61
	v_subrev_nc_u32_e32 v62, 29, v60
	v_sub_nc_u32_e32 v60, 30, v60
	v_lshlrev_b32_e32 v62, v62, v83
	v_cndmask_b32_e32 v60, v61, v60, vcc_lo
	v_and_b32_e32 v61, 0x80000000, v63
	v_and_b32_e32 v62, 3, v62
	v_lshl_add_u32 v60, v60, 23, 0x37800000
	v_cndmask_b32_e32 v59, v59, v62, vcc_lo
	v_lshlrev_b32_e32 v59, 21, v59
	v_or3_b32 v59, v61, v60, v59
.LBB4_2410:                             ;   in Loop: Header=BB4_2253 Depth=2
	s_or_b32 exec_lo, exec_lo, s40
	v_max_f32_e32 v59, v59, v59
	v_max_f32_e32 v58, v58, v58
	s_mov_b32 s13, 0
	v_max_f32_e32 v58, v58, v59
.LBB4_2411:                             ;   in Loop: Header=BB4_2253 Depth=2
	s_and_b32 vcc_lo, exec_lo, s13
	s_cbranch_vccz .LBB4_2425
; %bb.2412:                             ;   in Loop: Header=BB4_2253 Depth=2
	v_cmp_gt_i16_sdwa s40, v57, v112 src0_sel:BYTE_0 src1_sel:DWORD
	s_mov_b32 s13, 0
	s_and_saveexec_b32 s41, s40
	s_xor_b32 s40, exec_lo, s41
	s_cbranch_execz .LBB4_2863
; %bb.2413:                             ;   in Loop: Header=BB4_2253 Depth=2
	v_cmp_eq_u16_sdwa s42, v57, v113 src0_sel:BYTE_0 src1_sel:DWORD
	s_mov_b32 s13, -1
	s_and_saveexec_b32 s41, s42
; %bb.2414:                             ;   in Loop: Header=BB4_2253 Depth=2
	s_xor_b32 s13, exec_lo, -1
; %bb.2415:                             ;   in Loop: Header=BB4_2253 Depth=2
	s_or_b32 exec_lo, exec_lo, s41
	s_and_b32 s13, s13, exec_lo
	s_or_saveexec_b32 s40, s40
	v_mov_b32_e32 v58, 0x7f800001
	s_xor_b32 exec_lo, exec_lo, s40
	s_cbranch_execnz .LBB4_2864
.LBB4_2416:                             ;   in Loop: Header=BB4_2253 Depth=2
	s_or_b32 exec_lo, exec_lo, s40
	s_and_saveexec_b32 s40, s13
	s_cbranch_execz .LBB4_2418
.LBB4_2417:                             ;   in Loop: Header=BB4_2253 Depth=2
	v_and_b32_e32 v58, 3, v57
	v_lshrrev_b16 v60, 2, v57
	v_ffbh_u32_e32 v59, v58
	v_and_b32_e32 v60, 31, v60
	v_min_u32_e32 v59, 32, v59
	v_cmp_eq_u32_e32 vcc_lo, 0, v60
	v_subrev_nc_u32_e32 v61, 29, v59
	v_sub_nc_u32_e32 v59, 30, v59
	v_lshlrev_b32_e32 v61, v61, v57
	v_lshlrev_b32_e32 v57, 24, v57
	v_cndmask_b32_e32 v59, v60, v59, vcc_lo
	v_and_b32_e32 v61, 3, v61
	v_and_b32_e32 v57, 0x80000000, v57
	v_lshl_add_u32 v59, v59, 23, 0x37800000
	v_cndmask_b32_e32 v58, v58, v61, vcc_lo
	v_lshlrev_b32_e32 v58, 21, v58
	v_or3_b32 v58, v57, v59, v58
.LBB4_2418:                             ;   in Loop: Header=BB4_2253 Depth=2
	s_or_b32 exec_lo, exec_lo, s40
	s_waitcnt vmcnt(11) lgkmcnt(11)
	v_cmp_gt_i16_sdwa s40, v83, v112 src0_sel:BYTE_0 src1_sel:DWORD
	s_mov_b32 s13, 0
	s_and_saveexec_b32 s41, s40
	s_xor_b32 s40, exec_lo, s41
	s_cbranch_execz .LBB4_2865
; %bb.2419:                             ;   in Loop: Header=BB4_2253 Depth=2
	v_cmp_eq_u16_sdwa s42, v83, v113 src0_sel:BYTE_0 src1_sel:DWORD
	s_mov_b32 s13, -1
	s_and_saveexec_b32 s41, s42
; %bb.2420:                             ;   in Loop: Header=BB4_2253 Depth=2
	s_xor_b32 s13, exec_lo, -1
; %bb.2421:                             ;   in Loop: Header=BB4_2253 Depth=2
	s_or_b32 exec_lo, exec_lo, s41
	s_and_b32 s13, s13, exec_lo
	s_or_saveexec_b32 s40, s40
	v_mov_b32_e32 v57, 0x7f800001
	s_xor_b32 exec_lo, exec_lo, s40
	s_cbranch_execnz .LBB4_2866
.LBB4_2422:                             ;   in Loop: Header=BB4_2253 Depth=2
	s_or_b32 exec_lo, exec_lo, s40
	s_and_saveexec_b32 s40, s13
	s_cbranch_execz .LBB4_2424
.LBB4_2423:                             ;   in Loop: Header=BB4_2253 Depth=2
	v_and_b32_e32 v57, 3, v83
	v_lshrrev_b16 v60, 2, v83
	v_ffbh_u32_e32 v59, v57
	v_and_b32_e32 v60, 31, v60
	v_min_u32_e32 v59, 32, v59
	v_cmp_eq_u32_e32 vcc_lo, 0, v60
	v_subrev_nc_u32_e32 v61, 29, v59
	v_sub_nc_u32_e32 v59, 30, v59
	v_lshlrev_b32_e32 v61, v61, v83
	v_lshlrev_b32_e32 v83, 24, v83
	v_cndmask_b32_e32 v59, v60, v59, vcc_lo
	v_and_b32_e32 v61, 3, v61
	v_and_b32_e32 v83, 0x80000000, v83
	v_lshl_add_u32 v59, v59, 23, 0x37800000
	v_cndmask_b32_e32 v57, v57, v61, vcc_lo
	v_lshlrev_b32_e32 v57, 21, v57
	v_or3_b32 v57, v83, v59, v57
.LBB4_2424:                             ;   in Loop: Header=BB4_2253 Depth=2
	s_or_b32 exec_lo, exec_lo, s40
	v_max_f32_e32 v83, v57, v57
	v_max_f32_e32 v57, v58, v58
	v_min_f32_e32 v58, v57, v83
.LBB4_2425:                             ;   in Loop: Header=BB4_2253 Depth=2
	s_waitcnt vmcnt(11) lgkmcnt(11)
	v_and_b32_e32 v83, 0x7f800000, v58
	v_cmp_ne_u32_e32 vcc_lo, 0x7f800000, v83
	v_mov_b32_e32 v83, 0x80
	s_and_saveexec_b32 s40, vcc_lo
	s_cbranch_execz .LBB4_2433
; %bb.2426:                             ;   in Loop: Header=BB4_2253 Depth=2
	v_mov_b32_e32 v83, 0
	s_mov_b32 s41, exec_lo
	v_cmpx_ne_u32_e32 0, v58
	s_cbranch_execz .LBB4_2432
; %bb.2427:                             ;   in Loop: Header=BB4_2253 Depth=2
	v_bfe_u32 v83, v58, 23, 8
	v_and_b32_e32 v57, 0x7fffff, v58
	v_sub_nc_u32_e32 v59, 0x70, v83
	v_cmp_gt_u32_e32 vcc_lo, 0x71, v83
	v_or_b32_e32 v60, 0x800000, v57
	v_cndmask_b32_e32 v59, 0, v59, vcc_lo
	v_cmp_eq_u32_e32 vcc_lo, 0, v83
	v_add_nc_u32_e32 v83, 0xffffff91, v83
	v_cndmask_b32_e64 v59, v59, 0x6f, vcc_lo
	v_cndmask_b32_e32 v57, v60, v57, vcc_lo
	v_cndmask_b32_e64 v83, v83, 0xffffff92, vcc_lo
	v_lshl_add_u32 v60, 0x200000, v59, -1
	v_lshrrev_b32_e32 v61, v59, v57
	v_lshlrev_b32_e64 v63, v59, 0x100000
	v_add_nc_u32_e32 v59, v59, v83
	v_and_b32_e32 v57, v60, v57
	v_bfe_u32 v62, v61, 21, 1
	v_cmp_eq_u32_e64 s13, v57, v63
	v_add_nc_u32_e32 v60, -1, v62
	v_cndmask_b32_e64 v57, 0, v60, s13
	v_lshrrev_b32_e32 v60, 23, v61
	s_mov_b32 s13, exec_lo
	v_add_nc_u32_e32 v57, v57, v61
	v_xor_b32_e32 v60, 1, v60
	v_and_b32_e32 v83, 0x1fffff, v57
	v_add_nc_u32_e32 v57, v83, v61
                                        ; implicit-def: $vgpr83
	v_cmpx_ne_u32_e64 v59, v60
	s_xor_b32 s13, exec_lo, s13
; %bb.2428:                             ;   in Loop: Header=BB4_2253 Depth=2
	v_cmp_lt_u32_e32 vcc_lo, 0xffffff, v57
	v_sub_nc_u32_e32 v83, v59, v60
	v_cndmask_b32_e64 v59, 0, 1, vcc_lo
	v_add_co_ci_u32_e64 v83, null, 0, v83, vcc_lo
	v_lshrrev_b32_e32 v57, v59, v57
; %bb.2429:                             ;   in Loop: Header=BB4_2253 Depth=2
	s_andn2_saveexec_b32 s13, s13
; %bb.2430:                             ;   in Loop: Header=BB4_2253 Depth=2
	v_bfe_u32 v83, v57, 23, 1
; %bb.2431:                             ;   in Loop: Header=BB4_2253 Depth=2
	s_or_b32 exec_lo, exec_lo, s13
	v_lshrrev_b32_e32 v57, 21, v57
	v_cmp_gt_i32_e32 vcc_lo, 32, v83
	v_min_i32_e32 v59, 31, v83
	v_and_b32_sdwa v58, v58, v113 dst_sel:DWORD dst_unused:UNUSED_PAD src0_sel:BYTE_3 src1_sel:DWORD
	v_cndmask_b32_e32 v57, 3, v57, vcc_lo
	v_lshlrev_b32_e32 v59, 2, v59
	v_and_b32_e32 v60, 3, v57
	v_or_b32_e32 v83, v83, v57
	v_or3_b32 v57, v59, v58, v60
	v_cmp_ne_u32_e32 vcc_lo, 0, v83
	v_cndmask_b32_e32 v83, 0, v57, vcc_lo
.LBB4_2432:                             ;   in Loop: Header=BB4_2253 Depth=2
	s_or_b32 exec_lo, exec_lo, s41
.LBB4_2433:                             ;   in Loop: Header=BB4_2253 Depth=2
	s_or_b32 exec_lo, exec_lo, s40
	v_cmp_gt_i16_sdwa s40, v56, v112 src0_sel:BYTE_0 src1_sel:DWORD
	s_andn2_b32 vcc_lo, exec_lo, s28
	s_mov_b32 s13, -1
                                        ; implicit-def: $vgpr57
	s_cbranch_vccnz .LBB4_2447
; %bb.2434:                             ;   in Loop: Header=BB4_2253 Depth=2
	s_mov_b32 s13, 0
	s_and_saveexec_b32 s41, s40
	s_xor_b32 s40, exec_lo, s41
	s_cbranch_execz .LBB4_2867
; %bb.2435:                             ;   in Loop: Header=BB4_2253 Depth=2
	v_cmp_eq_u16_sdwa s42, v56, v113 src0_sel:BYTE_0 src1_sel:DWORD
	s_mov_b32 s13, -1
	s_and_saveexec_b32 s41, s42
; %bb.2436:                             ;   in Loop: Header=BB4_2253 Depth=2
	s_xor_b32 s13, exec_lo, -1
; %bb.2437:                             ;   in Loop: Header=BB4_2253 Depth=2
	s_or_b32 exec_lo, exec_lo, s41
	s_and_b32 s13, s13, exec_lo
	s_or_saveexec_b32 s40, s40
	v_mov_b32_e32 v57, 0x7f800001
	s_xor_b32 exec_lo, exec_lo, s40
	s_cbranch_execnz .LBB4_2868
.LBB4_2438:                             ;   in Loop: Header=BB4_2253 Depth=2
	s_or_b32 exec_lo, exec_lo, s40
	s_and_saveexec_b32 s40, s13
	s_cbranch_execz .LBB4_2440
.LBB4_2439:                             ;   in Loop: Header=BB4_2253 Depth=2
	v_and_b32_e32 v57, 3, v56
	v_lshrrev_b16 v59, 2, v56
	v_lshlrev_b32_e32 v61, 24, v56
	v_ffbh_u32_e32 v58, v57
	v_and_b32_e32 v59, 31, v59
	v_min_u32_e32 v58, 32, v58
	v_cmp_eq_u32_e32 vcc_lo, 0, v59
	v_subrev_nc_u32_e32 v60, 29, v58
	v_sub_nc_u32_e32 v58, 30, v58
	v_lshlrev_b32_e32 v60, v60, v56
	v_cndmask_b32_e32 v58, v59, v58, vcc_lo
	v_and_b32_e32 v59, 0x80000000, v61
	v_and_b32_e32 v60, 3, v60
	v_lshl_add_u32 v58, v58, 23, 0x37800000
	v_cndmask_b32_e32 v57, v57, v60, vcc_lo
	v_lshlrev_b32_e32 v57, 21, v57
	v_or3_b32 v57, v59, v58, v57
.LBB4_2440:                             ;   in Loop: Header=BB4_2253 Depth=2
	s_or_b32 exec_lo, exec_lo, s40
	s_waitcnt vmcnt(10) lgkmcnt(10)
	v_cmp_gt_i16_sdwa s40, v119, v112 src0_sel:BYTE_0 src1_sel:DWORD
	s_mov_b32 s13, 0
	s_and_saveexec_b32 s41, s40
	s_xor_b32 s40, exec_lo, s41
	s_cbranch_execz .LBB4_2869
; %bb.2441:                             ;   in Loop: Header=BB4_2253 Depth=2
	v_cmp_eq_u16_sdwa s42, v119, v113 src0_sel:BYTE_0 src1_sel:DWORD
	s_mov_b32 s13, -1
	s_and_saveexec_b32 s41, s42
; %bb.2442:                             ;   in Loop: Header=BB4_2253 Depth=2
	s_xor_b32 s13, exec_lo, -1
; %bb.2443:                             ;   in Loop: Header=BB4_2253 Depth=2
	s_or_b32 exec_lo, exec_lo, s41
	s_and_b32 s13, s13, exec_lo
	s_or_saveexec_b32 s40, s40
	v_mov_b32_e32 v58, 0x7f800001
	s_xor_b32 exec_lo, exec_lo, s40
	s_cbranch_execnz .LBB4_2870
.LBB4_2444:                             ;   in Loop: Header=BB4_2253 Depth=2
	s_or_b32 exec_lo, exec_lo, s40
	s_and_saveexec_b32 s40, s13
	s_cbranch_execz .LBB4_2446
.LBB4_2445:                             ;   in Loop: Header=BB4_2253 Depth=2
	v_and_b32_e32 v58, 3, v119
	v_lshrrev_b16 v60, 2, v119
	v_lshlrev_b32_e32 v62, 24, v119
	v_ffbh_u32_e32 v59, v58
	v_and_b32_e32 v60, 31, v60
	v_min_u32_e32 v59, 32, v59
	v_cmp_eq_u32_e32 vcc_lo, 0, v60
	v_subrev_nc_u32_e32 v61, 29, v59
	v_sub_nc_u32_e32 v59, 30, v59
	v_lshlrev_b32_e32 v61, v61, v119
	v_cndmask_b32_e32 v59, v60, v59, vcc_lo
	v_and_b32_e32 v60, 0x80000000, v62
	v_and_b32_e32 v61, 3, v61
	v_lshl_add_u32 v59, v59, 23, 0x37800000
	v_cndmask_b32_e32 v58, v58, v61, vcc_lo
	v_lshlrev_b32_e32 v58, 21, v58
	v_or3_b32 v58, v60, v59, v58
.LBB4_2446:                             ;   in Loop: Header=BB4_2253 Depth=2
	s_or_b32 exec_lo, exec_lo, s40
	v_max_f32_e32 v58, v58, v58
	v_max_f32_e32 v57, v57, v57
	s_mov_b32 s13, 0
	v_max_f32_e32 v57, v57, v58
.LBB4_2447:                             ;   in Loop: Header=BB4_2253 Depth=2
	s_and_b32 vcc_lo, exec_lo, s13
	s_cbranch_vccz .LBB4_2461
; %bb.2448:                             ;   in Loop: Header=BB4_2253 Depth=2
	v_cmp_gt_i16_sdwa s40, v56, v112 src0_sel:BYTE_0 src1_sel:DWORD
	s_mov_b32 s13, 0
	s_and_saveexec_b32 s41, s40
	s_xor_b32 s40, exec_lo, s41
	s_cbranch_execz .LBB4_2871
; %bb.2449:                             ;   in Loop: Header=BB4_2253 Depth=2
	v_cmp_eq_u16_sdwa s42, v56, v113 src0_sel:BYTE_0 src1_sel:DWORD
	s_mov_b32 s13, -1
	s_and_saveexec_b32 s41, s42
; %bb.2450:                             ;   in Loop: Header=BB4_2253 Depth=2
	s_xor_b32 s13, exec_lo, -1
; %bb.2451:                             ;   in Loop: Header=BB4_2253 Depth=2
	s_or_b32 exec_lo, exec_lo, s41
	s_and_b32 s13, s13, exec_lo
	s_or_saveexec_b32 s40, s40
	v_mov_b32_e32 v57, 0x7f800001
	s_xor_b32 exec_lo, exec_lo, s40
	s_cbranch_execnz .LBB4_2872
.LBB4_2452:                             ;   in Loop: Header=BB4_2253 Depth=2
	s_or_b32 exec_lo, exec_lo, s40
	s_and_saveexec_b32 s40, s13
	s_cbranch_execz .LBB4_2454
.LBB4_2453:                             ;   in Loop: Header=BB4_2253 Depth=2
	v_and_b32_e32 v57, 3, v56
	v_lshrrev_b16 v59, 2, v56
	v_ffbh_u32_e32 v58, v57
	v_and_b32_e32 v59, 31, v59
	v_min_u32_e32 v58, 32, v58
	v_cmp_eq_u32_e32 vcc_lo, 0, v59
	v_subrev_nc_u32_e32 v60, 29, v58
	v_sub_nc_u32_e32 v58, 30, v58
	v_lshlrev_b32_e32 v60, v60, v56
	v_lshlrev_b32_e32 v56, 24, v56
	v_cndmask_b32_e32 v58, v59, v58, vcc_lo
	v_and_b32_e32 v60, 3, v60
	v_and_b32_e32 v56, 0x80000000, v56
	v_lshl_add_u32 v58, v58, 23, 0x37800000
	v_cndmask_b32_e32 v57, v57, v60, vcc_lo
	v_lshlrev_b32_e32 v57, 21, v57
	v_or3_b32 v57, v56, v58, v57
.LBB4_2454:                             ;   in Loop: Header=BB4_2253 Depth=2
	s_or_b32 exec_lo, exec_lo, s40
	s_waitcnt vmcnt(10) lgkmcnt(10)
	v_cmp_gt_i16_sdwa s40, v119, v112 src0_sel:BYTE_0 src1_sel:DWORD
	s_mov_b32 s13, 0
	s_and_saveexec_b32 s41, s40
	s_xor_b32 s40, exec_lo, s41
	s_cbranch_execz .LBB4_2873
; %bb.2455:                             ;   in Loop: Header=BB4_2253 Depth=2
	v_cmp_eq_u16_sdwa s42, v119, v113 src0_sel:BYTE_0 src1_sel:DWORD
	s_mov_b32 s13, -1
	s_and_saveexec_b32 s41, s42
; %bb.2456:                             ;   in Loop: Header=BB4_2253 Depth=2
	s_xor_b32 s13, exec_lo, -1
; %bb.2457:                             ;   in Loop: Header=BB4_2253 Depth=2
	s_or_b32 exec_lo, exec_lo, s41
	s_and_b32 s13, s13, exec_lo
	s_or_saveexec_b32 s40, s40
	v_mov_b32_e32 v56, 0x7f800001
	s_xor_b32 exec_lo, exec_lo, s40
	s_cbranch_execnz .LBB4_2874
.LBB4_2458:                             ;   in Loop: Header=BB4_2253 Depth=2
	s_or_b32 exec_lo, exec_lo, s40
	s_and_saveexec_b32 s40, s13
	s_cbranch_execz .LBB4_2460
.LBB4_2459:                             ;   in Loop: Header=BB4_2253 Depth=2
	v_and_b32_e32 v56, 3, v119
	v_lshrrev_b16 v59, 2, v119
	v_ffbh_u32_e32 v58, v56
	v_and_b32_e32 v59, 31, v59
	v_min_u32_e32 v58, 32, v58
	v_cmp_eq_u32_e32 vcc_lo, 0, v59
	v_subrev_nc_u32_e32 v60, 29, v58
	v_sub_nc_u32_e32 v58, 30, v58
	v_lshlrev_b32_e32 v60, v60, v119
	v_lshlrev_b32_e32 v119, 24, v119
	v_cndmask_b32_e32 v58, v59, v58, vcc_lo
	v_and_b32_e32 v60, 3, v60
	v_and_b32_e32 v119, 0x80000000, v119
	v_lshl_add_u32 v58, v58, 23, 0x37800000
	v_cndmask_b32_e32 v56, v56, v60, vcc_lo
	v_lshlrev_b32_e32 v56, 21, v56
	v_or3_b32 v56, v119, v58, v56
.LBB4_2460:                             ;   in Loop: Header=BB4_2253 Depth=2
	s_or_b32 exec_lo, exec_lo, s40
	v_max_f32_e32 v119, v56, v56
	v_max_f32_e32 v56, v57, v57
	v_min_f32_e32 v57, v56, v119
.LBB4_2461:                             ;   in Loop: Header=BB4_2253 Depth=2
	s_waitcnt vmcnt(10) lgkmcnt(10)
	v_and_b32_e32 v119, 0x7f800000, v57
	v_cmp_ne_u32_e32 vcc_lo, 0x7f800000, v119
	v_mov_b32_e32 v119, 0x80
	s_and_saveexec_b32 s40, vcc_lo
	s_cbranch_execz .LBB4_2469
; %bb.2462:                             ;   in Loop: Header=BB4_2253 Depth=2
	v_mov_b32_e32 v119, 0
	s_mov_b32 s41, exec_lo
	v_cmpx_ne_u32_e32 0, v57
	s_cbranch_execz .LBB4_2468
; %bb.2463:                             ;   in Loop: Header=BB4_2253 Depth=2
	v_bfe_u32 v119, v57, 23, 8
	v_and_b32_e32 v56, 0x7fffff, v57
	v_sub_nc_u32_e32 v58, 0x70, v119
	v_cmp_gt_u32_e32 vcc_lo, 0x71, v119
	v_or_b32_e32 v59, 0x800000, v56
	v_cndmask_b32_e32 v58, 0, v58, vcc_lo
	v_cmp_eq_u32_e32 vcc_lo, 0, v119
	v_add_nc_u32_e32 v119, 0xffffff91, v119
	v_cndmask_b32_e64 v58, v58, 0x6f, vcc_lo
	v_cndmask_b32_e32 v56, v59, v56, vcc_lo
	v_cndmask_b32_e64 v119, v119, 0xffffff92, vcc_lo
	v_lshl_add_u32 v59, 0x200000, v58, -1
	v_lshrrev_b32_e32 v60, v58, v56
	v_lshlrev_b32_e64 v62, v58, 0x100000
	v_add_nc_u32_e32 v58, v58, v119
	v_and_b32_e32 v56, v59, v56
	v_bfe_u32 v61, v60, 21, 1
	v_cmp_eq_u32_e64 s13, v56, v62
	v_add_nc_u32_e32 v59, -1, v61
	v_cndmask_b32_e64 v56, 0, v59, s13
	v_lshrrev_b32_e32 v59, 23, v60
	s_mov_b32 s13, exec_lo
	v_add_nc_u32_e32 v56, v56, v60
	v_xor_b32_e32 v59, 1, v59
	v_and_b32_e32 v119, 0x1fffff, v56
	v_add_nc_u32_e32 v56, v119, v60
                                        ; implicit-def: $vgpr119
	v_cmpx_ne_u32_e64 v58, v59
	s_xor_b32 s13, exec_lo, s13
; %bb.2464:                             ;   in Loop: Header=BB4_2253 Depth=2
	v_cmp_lt_u32_e32 vcc_lo, 0xffffff, v56
	v_sub_nc_u32_e32 v119, v58, v59
	v_cndmask_b32_e64 v58, 0, 1, vcc_lo
	v_add_co_ci_u32_e64 v119, null, 0, v119, vcc_lo
	v_lshrrev_b32_e32 v56, v58, v56
; %bb.2465:                             ;   in Loop: Header=BB4_2253 Depth=2
	s_andn2_saveexec_b32 s13, s13
; %bb.2466:                             ;   in Loop: Header=BB4_2253 Depth=2
	v_bfe_u32 v119, v56, 23, 1
; %bb.2467:                             ;   in Loop: Header=BB4_2253 Depth=2
	s_or_b32 exec_lo, exec_lo, s13
	v_lshrrev_b32_e32 v56, 21, v56
	v_cmp_gt_i32_e32 vcc_lo, 32, v119
	v_min_i32_e32 v58, 31, v119
	v_and_b32_sdwa v57, v57, v113 dst_sel:DWORD dst_unused:UNUSED_PAD src0_sel:BYTE_3 src1_sel:DWORD
	v_cndmask_b32_e32 v56, 3, v56, vcc_lo
	v_lshlrev_b32_e32 v58, 2, v58
	v_and_b32_e32 v59, 3, v56
	v_or_b32_e32 v119, v119, v56
	v_or3_b32 v56, v58, v57, v59
	v_cmp_ne_u32_e32 vcc_lo, 0, v119
	v_cndmask_b32_e32 v119, 0, v56, vcc_lo
.LBB4_2468:                             ;   in Loop: Header=BB4_2253 Depth=2
	s_or_b32 exec_lo, exec_lo, s41
.LBB4_2469:                             ;   in Loop: Header=BB4_2253 Depth=2
	s_or_b32 exec_lo, exec_lo, s40
	v_cmp_gt_i16_sdwa s40, v47, v112 src0_sel:BYTE_0 src1_sel:DWORD
	s_andn2_b32 vcc_lo, exec_lo, s28
	s_mov_b32 s13, -1
                                        ; implicit-def: $vgpr56
	s_cbranch_vccnz .LBB4_2483
; %bb.2470:                             ;   in Loop: Header=BB4_2253 Depth=2
	s_mov_b32 s13, 0
	s_and_saveexec_b32 s41, s40
	s_xor_b32 s40, exec_lo, s41
	s_cbranch_execz .LBB4_2875
; %bb.2471:                             ;   in Loop: Header=BB4_2253 Depth=2
	v_cmp_eq_u16_sdwa s42, v47, v113 src0_sel:BYTE_0 src1_sel:DWORD
	s_mov_b32 s13, -1
	s_and_saveexec_b32 s41, s42
; %bb.2472:                             ;   in Loop: Header=BB4_2253 Depth=2
	s_xor_b32 s13, exec_lo, -1
; %bb.2473:                             ;   in Loop: Header=BB4_2253 Depth=2
	s_or_b32 exec_lo, exec_lo, s41
	s_and_b32 s13, s13, exec_lo
	s_or_saveexec_b32 s40, s40
	v_mov_b32_e32 v56, 0x7f800001
	s_xor_b32 exec_lo, exec_lo, s40
	s_cbranch_execnz .LBB4_2876
.LBB4_2474:                             ;   in Loop: Header=BB4_2253 Depth=2
	s_or_b32 exec_lo, exec_lo, s40
	s_and_saveexec_b32 s40, s13
	s_cbranch_execz .LBB4_2476
.LBB4_2475:                             ;   in Loop: Header=BB4_2253 Depth=2
	v_and_b32_e32 v56, 3, v47
	v_lshrrev_b16 v58, 2, v47
	v_lshlrev_b32_e32 v60, 24, v47
	v_ffbh_u32_e32 v57, v56
	v_and_b32_e32 v58, 31, v58
	v_min_u32_e32 v57, 32, v57
	v_cmp_eq_u32_e32 vcc_lo, 0, v58
	v_subrev_nc_u32_e32 v59, 29, v57
	v_sub_nc_u32_e32 v57, 30, v57
	v_lshlrev_b32_e32 v59, v59, v47
	v_cndmask_b32_e32 v57, v58, v57, vcc_lo
	v_and_b32_e32 v58, 0x80000000, v60
	v_and_b32_e32 v59, 3, v59
	v_lshl_add_u32 v57, v57, 23, 0x37800000
	v_cndmask_b32_e32 v56, v56, v59, vcc_lo
	v_lshlrev_b32_e32 v56, 21, v56
	v_or3_b32 v56, v58, v57, v56
.LBB4_2476:                             ;   in Loop: Header=BB4_2253 Depth=2
	s_or_b32 exec_lo, exec_lo, s40
	s_waitcnt vmcnt(9) lgkmcnt(9)
	v_cmp_gt_i16_sdwa s40, v42, v112 src0_sel:BYTE_0 src1_sel:DWORD
	s_mov_b32 s13, 0
	s_and_saveexec_b32 s41, s40
	s_xor_b32 s40, exec_lo, s41
	s_cbranch_execz .LBB4_2877
; %bb.2477:                             ;   in Loop: Header=BB4_2253 Depth=2
	v_cmp_eq_u16_sdwa s42, v42, v113 src0_sel:BYTE_0 src1_sel:DWORD
	s_mov_b32 s13, -1
	s_and_saveexec_b32 s41, s42
; %bb.2478:                             ;   in Loop: Header=BB4_2253 Depth=2
	s_xor_b32 s13, exec_lo, -1
; %bb.2479:                             ;   in Loop: Header=BB4_2253 Depth=2
	s_or_b32 exec_lo, exec_lo, s41
	s_and_b32 s13, s13, exec_lo
	s_or_saveexec_b32 s40, s40
	v_mov_b32_e32 v57, 0x7f800001
	s_xor_b32 exec_lo, exec_lo, s40
	s_cbranch_execnz .LBB4_2878
.LBB4_2480:                             ;   in Loop: Header=BB4_2253 Depth=2
	s_or_b32 exec_lo, exec_lo, s40
	s_and_saveexec_b32 s40, s13
	s_cbranch_execz .LBB4_2482
.LBB4_2481:                             ;   in Loop: Header=BB4_2253 Depth=2
	v_and_b32_e32 v57, 3, v42
	v_lshrrev_b16 v59, 2, v42
	v_lshlrev_b32_e32 v61, 24, v42
	v_ffbh_u32_e32 v58, v57
	v_and_b32_e32 v59, 31, v59
	v_min_u32_e32 v58, 32, v58
	v_cmp_eq_u32_e32 vcc_lo, 0, v59
	v_subrev_nc_u32_e32 v60, 29, v58
	v_sub_nc_u32_e32 v58, 30, v58
	v_lshlrev_b32_e32 v60, v60, v42
	v_cndmask_b32_e32 v58, v59, v58, vcc_lo
	v_and_b32_e32 v59, 0x80000000, v61
	v_and_b32_e32 v60, 3, v60
	v_lshl_add_u32 v58, v58, 23, 0x37800000
	v_cndmask_b32_e32 v57, v57, v60, vcc_lo
	v_lshlrev_b32_e32 v57, 21, v57
	v_or3_b32 v57, v59, v58, v57
.LBB4_2482:                             ;   in Loop: Header=BB4_2253 Depth=2
	s_or_b32 exec_lo, exec_lo, s40
	v_max_f32_e32 v57, v57, v57
	v_max_f32_e32 v56, v56, v56
	s_mov_b32 s13, 0
	v_max_f32_e32 v56, v56, v57
.LBB4_2483:                             ;   in Loop: Header=BB4_2253 Depth=2
	s_and_b32 vcc_lo, exec_lo, s13
	s_cbranch_vccz .LBB4_2497
; %bb.2484:                             ;   in Loop: Header=BB4_2253 Depth=2
	v_cmp_gt_i16_sdwa s40, v47, v112 src0_sel:BYTE_0 src1_sel:DWORD
	s_mov_b32 s13, 0
	s_and_saveexec_b32 s41, s40
	s_xor_b32 s40, exec_lo, s41
	s_cbranch_execz .LBB4_2879
; %bb.2485:                             ;   in Loop: Header=BB4_2253 Depth=2
	v_cmp_eq_u16_sdwa s42, v47, v113 src0_sel:BYTE_0 src1_sel:DWORD
	s_mov_b32 s13, -1
	s_and_saveexec_b32 s41, s42
; %bb.2486:                             ;   in Loop: Header=BB4_2253 Depth=2
	s_xor_b32 s13, exec_lo, -1
; %bb.2487:                             ;   in Loop: Header=BB4_2253 Depth=2
	s_or_b32 exec_lo, exec_lo, s41
	s_and_b32 s13, s13, exec_lo
	s_or_saveexec_b32 s40, s40
	v_mov_b32_e32 v56, 0x7f800001
	s_xor_b32 exec_lo, exec_lo, s40
	s_cbranch_execnz .LBB4_2880
.LBB4_2488:                             ;   in Loop: Header=BB4_2253 Depth=2
	s_or_b32 exec_lo, exec_lo, s40
	s_and_saveexec_b32 s40, s13
	s_cbranch_execz .LBB4_2490
.LBB4_2489:                             ;   in Loop: Header=BB4_2253 Depth=2
	v_and_b32_e32 v56, 3, v47
	v_lshrrev_b16 v58, 2, v47
	v_ffbh_u32_e32 v57, v56
	v_and_b32_e32 v58, 31, v58
	v_min_u32_e32 v57, 32, v57
	v_cmp_eq_u32_e32 vcc_lo, 0, v58
	v_subrev_nc_u32_e32 v59, 29, v57
	v_sub_nc_u32_e32 v57, 30, v57
	v_lshlrev_b32_e32 v59, v59, v47
	v_lshlrev_b32_e32 v47, 24, v47
	v_cndmask_b32_e32 v57, v58, v57, vcc_lo
	v_and_b32_e32 v59, 3, v59
	v_and_b32_e32 v47, 0x80000000, v47
	v_lshl_add_u32 v57, v57, 23, 0x37800000
	v_cndmask_b32_e32 v56, v56, v59, vcc_lo
	v_lshlrev_b32_e32 v56, 21, v56
	v_or3_b32 v56, v47, v57, v56
.LBB4_2490:                             ;   in Loop: Header=BB4_2253 Depth=2
	s_or_b32 exec_lo, exec_lo, s40
	s_waitcnt vmcnt(9) lgkmcnt(9)
	v_cmp_gt_i16_sdwa s40, v42, v112 src0_sel:BYTE_0 src1_sel:DWORD
	s_mov_b32 s13, 0
	s_and_saveexec_b32 s41, s40
	s_xor_b32 s40, exec_lo, s41
	s_cbranch_execz .LBB4_2881
; %bb.2491:                             ;   in Loop: Header=BB4_2253 Depth=2
	v_cmp_eq_u16_sdwa s42, v42, v113 src0_sel:BYTE_0 src1_sel:DWORD
	s_mov_b32 s13, -1
	s_and_saveexec_b32 s41, s42
; %bb.2492:                             ;   in Loop: Header=BB4_2253 Depth=2
	s_xor_b32 s13, exec_lo, -1
; %bb.2493:                             ;   in Loop: Header=BB4_2253 Depth=2
	s_or_b32 exec_lo, exec_lo, s41
	s_and_b32 s13, s13, exec_lo
	s_or_saveexec_b32 s40, s40
	v_mov_b32_e32 v47, 0x7f800001
	s_xor_b32 exec_lo, exec_lo, s40
	s_cbranch_execnz .LBB4_2882
.LBB4_2494:                             ;   in Loop: Header=BB4_2253 Depth=2
	s_or_b32 exec_lo, exec_lo, s40
	s_and_saveexec_b32 s40, s13
	s_cbranch_execz .LBB4_2496
.LBB4_2495:                             ;   in Loop: Header=BB4_2253 Depth=2
	v_and_b32_e32 v47, 3, v42
	v_lshrrev_b16 v58, 2, v42
	v_ffbh_u32_e32 v57, v47
	v_and_b32_e32 v58, 31, v58
	v_min_u32_e32 v57, 32, v57
	v_cmp_eq_u32_e32 vcc_lo, 0, v58
	v_subrev_nc_u32_e32 v59, 29, v57
	v_sub_nc_u32_e32 v57, 30, v57
	v_lshlrev_b32_e32 v59, v59, v42
	v_lshlrev_b32_e32 v42, 24, v42
	v_cndmask_b32_e32 v57, v58, v57, vcc_lo
	v_and_b32_e32 v59, 3, v59
	v_and_b32_e32 v42, 0x80000000, v42
	v_lshl_add_u32 v57, v57, 23, 0x37800000
	v_cndmask_b32_e32 v47, v47, v59, vcc_lo
	v_lshlrev_b32_e32 v47, 21, v47
	v_or3_b32 v47, v42, v57, v47
.LBB4_2496:                             ;   in Loop: Header=BB4_2253 Depth=2
	s_or_b32 exec_lo, exec_lo, s40
	v_max_f32_e32 v42, v47, v47
	v_max_f32_e32 v47, v56, v56
	v_min_f32_e32 v56, v47, v42
.LBB4_2497:                             ;   in Loop: Header=BB4_2253 Depth=2
	s_waitcnt vmcnt(9) lgkmcnt(9)
	v_and_b32_e32 v42, 0x7f800000, v56
	v_cmp_ne_u32_e32 vcc_lo, 0x7f800000, v42
	v_mov_b32_e32 v42, 0x80
	s_and_saveexec_b32 s40, vcc_lo
	s_cbranch_execz .LBB4_2505
; %bb.2498:                             ;   in Loop: Header=BB4_2253 Depth=2
	v_mov_b32_e32 v42, 0
	s_mov_b32 s41, exec_lo
	v_cmpx_ne_u32_e32 0, v56
	s_cbranch_execz .LBB4_2504
; %bb.2499:                             ;   in Loop: Header=BB4_2253 Depth=2
	v_bfe_u32 v42, v56, 23, 8
	v_and_b32_e32 v47, 0x7fffff, v56
	v_sub_nc_u32_e32 v57, 0x70, v42
	v_cmp_gt_u32_e32 vcc_lo, 0x71, v42
	v_or_b32_e32 v58, 0x800000, v47
	v_cndmask_b32_e32 v57, 0, v57, vcc_lo
	v_cmp_eq_u32_e32 vcc_lo, 0, v42
	v_add_nc_u32_e32 v42, 0xffffff91, v42
	v_cndmask_b32_e64 v57, v57, 0x6f, vcc_lo
	v_cndmask_b32_e32 v47, v58, v47, vcc_lo
	v_cndmask_b32_e64 v42, v42, 0xffffff92, vcc_lo
	v_lshl_add_u32 v58, 0x200000, v57, -1
	v_lshrrev_b32_e32 v59, v57, v47
	v_lshlrev_b32_e64 v61, v57, 0x100000
	v_add_nc_u32_e32 v57, v57, v42
	v_and_b32_e32 v47, v58, v47
	v_bfe_u32 v60, v59, 21, 1
	v_cmp_eq_u32_e64 s13, v47, v61
	v_add_nc_u32_e32 v58, -1, v60
	v_cndmask_b32_e64 v47, 0, v58, s13
	v_lshrrev_b32_e32 v58, 23, v59
	s_mov_b32 s13, exec_lo
	v_add_nc_u32_e32 v47, v47, v59
	v_xor_b32_e32 v58, 1, v58
	v_and_b32_e32 v42, 0x1fffff, v47
	v_add_nc_u32_e32 v47, v42, v59
                                        ; implicit-def: $vgpr42
	v_cmpx_ne_u32_e64 v57, v58
	s_xor_b32 s13, exec_lo, s13
; %bb.2500:                             ;   in Loop: Header=BB4_2253 Depth=2
	v_cmp_lt_u32_e32 vcc_lo, 0xffffff, v47
	v_sub_nc_u32_e32 v42, v57, v58
	v_cndmask_b32_e64 v57, 0, 1, vcc_lo
	v_add_co_ci_u32_e64 v42, null, 0, v42, vcc_lo
	v_lshrrev_b32_e32 v47, v57, v47
; %bb.2501:                             ;   in Loop: Header=BB4_2253 Depth=2
	s_andn2_saveexec_b32 s13, s13
; %bb.2502:                             ;   in Loop: Header=BB4_2253 Depth=2
	v_bfe_u32 v42, v47, 23, 1
; %bb.2503:                             ;   in Loop: Header=BB4_2253 Depth=2
	s_or_b32 exec_lo, exec_lo, s13
	v_lshrrev_b32_e32 v47, 21, v47
	v_cmp_gt_i32_e32 vcc_lo, 32, v42
	v_min_i32_e32 v57, 31, v42
	v_and_b32_sdwa v56, v56, v113 dst_sel:DWORD dst_unused:UNUSED_PAD src0_sel:BYTE_3 src1_sel:DWORD
	v_cndmask_b32_e32 v47, 3, v47, vcc_lo
	v_lshlrev_b32_e32 v57, 2, v57
	v_and_b32_e32 v58, 3, v47
	v_or_b32_e32 v42, v42, v47
	v_or3_b32 v47, v57, v56, v58
	v_cmp_ne_u32_e32 vcc_lo, 0, v42
	v_cndmask_b32_e32 v42, 0, v47, vcc_lo
.LBB4_2504:                             ;   in Loop: Header=BB4_2253 Depth=2
	s_or_b32 exec_lo, exec_lo, s41
.LBB4_2505:                             ;   in Loop: Header=BB4_2253 Depth=2
	s_or_b32 exec_lo, exec_lo, s40
	v_cmp_gt_i16_sdwa s40, v46, v112 src0_sel:BYTE_0 src1_sel:DWORD
	s_andn2_b32 vcc_lo, exec_lo, s28
	s_mov_b32 s13, -1
                                        ; implicit-def: $vgpr47
	s_cbranch_vccnz .LBB4_2519
; %bb.2506:                             ;   in Loop: Header=BB4_2253 Depth=2
	s_mov_b32 s13, 0
	s_and_saveexec_b32 s41, s40
	s_xor_b32 s40, exec_lo, s41
	s_cbranch_execz .LBB4_2883
; %bb.2507:                             ;   in Loop: Header=BB4_2253 Depth=2
	v_cmp_eq_u16_sdwa s42, v46, v113 src0_sel:BYTE_0 src1_sel:DWORD
	s_mov_b32 s13, -1
	s_and_saveexec_b32 s41, s42
; %bb.2508:                             ;   in Loop: Header=BB4_2253 Depth=2
	s_xor_b32 s13, exec_lo, -1
; %bb.2509:                             ;   in Loop: Header=BB4_2253 Depth=2
	s_or_b32 exec_lo, exec_lo, s41
	s_and_b32 s13, s13, exec_lo
	s_or_saveexec_b32 s40, s40
	v_mov_b32_e32 v47, 0x7f800001
	s_xor_b32 exec_lo, exec_lo, s40
	s_cbranch_execnz .LBB4_2884
.LBB4_2510:                             ;   in Loop: Header=BB4_2253 Depth=2
	s_or_b32 exec_lo, exec_lo, s40
	s_and_saveexec_b32 s40, s13
	s_cbranch_execz .LBB4_2512
.LBB4_2511:                             ;   in Loop: Header=BB4_2253 Depth=2
	v_and_b32_e32 v47, 3, v46
	v_lshrrev_b16 v57, 2, v46
	v_lshlrev_b32_e32 v59, 24, v46
	v_ffbh_u32_e32 v56, v47
	v_and_b32_e32 v57, 31, v57
	v_min_u32_e32 v56, 32, v56
	v_cmp_eq_u32_e32 vcc_lo, 0, v57
	v_subrev_nc_u32_e32 v58, 29, v56
	v_sub_nc_u32_e32 v56, 30, v56
	v_lshlrev_b32_e32 v58, v58, v46
	v_cndmask_b32_e32 v56, v57, v56, vcc_lo
	v_and_b32_e32 v57, 0x80000000, v59
	v_and_b32_e32 v58, 3, v58
	v_lshl_add_u32 v56, v56, 23, 0x37800000
	v_cndmask_b32_e32 v47, v47, v58, vcc_lo
	v_lshlrev_b32_e32 v47, 21, v47
	v_or3_b32 v47, v57, v56, v47
.LBB4_2512:                             ;   in Loop: Header=BB4_2253 Depth=2
	s_or_b32 exec_lo, exec_lo, s40
	s_waitcnt vmcnt(8) lgkmcnt(8)
	v_cmp_gt_i16_sdwa s40, v45, v112 src0_sel:BYTE_0 src1_sel:DWORD
	s_mov_b32 s13, 0
	s_and_saveexec_b32 s41, s40
	s_xor_b32 s40, exec_lo, s41
	s_cbranch_execz .LBB4_2885
; %bb.2513:                             ;   in Loop: Header=BB4_2253 Depth=2
	v_cmp_eq_u16_sdwa s42, v45, v113 src0_sel:BYTE_0 src1_sel:DWORD
	s_mov_b32 s13, -1
	s_and_saveexec_b32 s41, s42
; %bb.2514:                             ;   in Loop: Header=BB4_2253 Depth=2
	s_xor_b32 s13, exec_lo, -1
; %bb.2515:                             ;   in Loop: Header=BB4_2253 Depth=2
	s_or_b32 exec_lo, exec_lo, s41
	s_and_b32 s13, s13, exec_lo
	s_or_saveexec_b32 s40, s40
	v_mov_b32_e32 v56, 0x7f800001
	s_xor_b32 exec_lo, exec_lo, s40
	s_cbranch_execnz .LBB4_2886
.LBB4_2516:                             ;   in Loop: Header=BB4_2253 Depth=2
	s_or_b32 exec_lo, exec_lo, s40
	s_and_saveexec_b32 s40, s13
	s_cbranch_execz .LBB4_2518
.LBB4_2517:                             ;   in Loop: Header=BB4_2253 Depth=2
	v_and_b32_e32 v56, 3, v45
	v_lshrrev_b16 v58, 2, v45
	v_lshlrev_b32_e32 v60, 24, v45
	v_ffbh_u32_e32 v57, v56
	v_and_b32_e32 v58, 31, v58
	v_min_u32_e32 v57, 32, v57
	v_cmp_eq_u32_e32 vcc_lo, 0, v58
	v_subrev_nc_u32_e32 v59, 29, v57
	v_sub_nc_u32_e32 v57, 30, v57
	v_lshlrev_b32_e32 v59, v59, v45
	v_cndmask_b32_e32 v57, v58, v57, vcc_lo
	v_and_b32_e32 v58, 0x80000000, v60
	v_and_b32_e32 v59, 3, v59
	v_lshl_add_u32 v57, v57, 23, 0x37800000
	v_cndmask_b32_e32 v56, v56, v59, vcc_lo
	v_lshlrev_b32_e32 v56, 21, v56
	v_or3_b32 v56, v58, v57, v56
.LBB4_2518:                             ;   in Loop: Header=BB4_2253 Depth=2
	s_or_b32 exec_lo, exec_lo, s40
	v_max_f32_e32 v56, v56, v56
	v_max_f32_e32 v47, v47, v47
	s_mov_b32 s13, 0
	v_max_f32_e32 v47, v47, v56
.LBB4_2519:                             ;   in Loop: Header=BB4_2253 Depth=2
	s_and_b32 vcc_lo, exec_lo, s13
	s_cbranch_vccz .LBB4_2533
; %bb.2520:                             ;   in Loop: Header=BB4_2253 Depth=2
	v_cmp_gt_i16_sdwa s40, v46, v112 src0_sel:BYTE_0 src1_sel:DWORD
	s_mov_b32 s13, 0
	s_and_saveexec_b32 s41, s40
	s_xor_b32 s40, exec_lo, s41
	s_cbranch_execz .LBB4_2887
; %bb.2521:                             ;   in Loop: Header=BB4_2253 Depth=2
	v_cmp_eq_u16_sdwa s42, v46, v113 src0_sel:BYTE_0 src1_sel:DWORD
	s_mov_b32 s13, -1
	s_and_saveexec_b32 s41, s42
; %bb.2522:                             ;   in Loop: Header=BB4_2253 Depth=2
	s_xor_b32 s13, exec_lo, -1
; %bb.2523:                             ;   in Loop: Header=BB4_2253 Depth=2
	s_or_b32 exec_lo, exec_lo, s41
	s_and_b32 s13, s13, exec_lo
	s_or_saveexec_b32 s40, s40
	v_mov_b32_e32 v47, 0x7f800001
	s_xor_b32 exec_lo, exec_lo, s40
	s_cbranch_execnz .LBB4_2888
.LBB4_2524:                             ;   in Loop: Header=BB4_2253 Depth=2
	s_or_b32 exec_lo, exec_lo, s40
	s_and_saveexec_b32 s40, s13
	s_cbranch_execz .LBB4_2526
.LBB4_2525:                             ;   in Loop: Header=BB4_2253 Depth=2
	v_and_b32_e32 v47, 3, v46
	v_lshrrev_b16 v57, 2, v46
	v_ffbh_u32_e32 v56, v47
	v_and_b32_e32 v57, 31, v57
	v_min_u32_e32 v56, 32, v56
	v_cmp_eq_u32_e32 vcc_lo, 0, v57
	v_subrev_nc_u32_e32 v58, 29, v56
	v_sub_nc_u32_e32 v56, 30, v56
	v_lshlrev_b32_e32 v58, v58, v46
	v_lshlrev_b32_e32 v46, 24, v46
	v_cndmask_b32_e32 v56, v57, v56, vcc_lo
	v_and_b32_e32 v58, 3, v58
	v_and_b32_e32 v46, 0x80000000, v46
	v_lshl_add_u32 v56, v56, 23, 0x37800000
	v_cndmask_b32_e32 v47, v47, v58, vcc_lo
	v_lshlrev_b32_e32 v47, 21, v47
	v_or3_b32 v47, v46, v56, v47
.LBB4_2526:                             ;   in Loop: Header=BB4_2253 Depth=2
	s_or_b32 exec_lo, exec_lo, s40
	s_waitcnt vmcnt(8) lgkmcnt(8)
	v_cmp_gt_i16_sdwa s40, v45, v112 src0_sel:BYTE_0 src1_sel:DWORD
	s_mov_b32 s13, 0
	s_and_saveexec_b32 s41, s40
	s_xor_b32 s40, exec_lo, s41
	s_cbranch_execz .LBB4_2889
; %bb.2527:                             ;   in Loop: Header=BB4_2253 Depth=2
	v_cmp_eq_u16_sdwa s42, v45, v113 src0_sel:BYTE_0 src1_sel:DWORD
	s_mov_b32 s13, -1
	s_and_saveexec_b32 s41, s42
; %bb.2528:                             ;   in Loop: Header=BB4_2253 Depth=2
	s_xor_b32 s13, exec_lo, -1
; %bb.2529:                             ;   in Loop: Header=BB4_2253 Depth=2
	s_or_b32 exec_lo, exec_lo, s41
	s_and_b32 s13, s13, exec_lo
	s_or_saveexec_b32 s40, s40
	v_mov_b32_e32 v46, 0x7f800001
	s_xor_b32 exec_lo, exec_lo, s40
	s_cbranch_execnz .LBB4_2890
.LBB4_2530:                             ;   in Loop: Header=BB4_2253 Depth=2
	s_or_b32 exec_lo, exec_lo, s40
	s_and_saveexec_b32 s40, s13
	s_cbranch_execz .LBB4_2532
.LBB4_2531:                             ;   in Loop: Header=BB4_2253 Depth=2
	v_and_b32_e32 v46, 3, v45
	v_lshrrev_b16 v57, 2, v45
	v_ffbh_u32_e32 v56, v46
	v_and_b32_e32 v57, 31, v57
	v_min_u32_e32 v56, 32, v56
	v_cmp_eq_u32_e32 vcc_lo, 0, v57
	v_subrev_nc_u32_e32 v58, 29, v56
	v_sub_nc_u32_e32 v56, 30, v56
	v_lshlrev_b32_e32 v58, v58, v45
	v_lshlrev_b32_e32 v45, 24, v45
	v_cndmask_b32_e32 v56, v57, v56, vcc_lo
	v_and_b32_e32 v58, 3, v58
	v_and_b32_e32 v45, 0x80000000, v45
	v_lshl_add_u32 v56, v56, 23, 0x37800000
	v_cndmask_b32_e32 v46, v46, v58, vcc_lo
	v_lshlrev_b32_e32 v46, 21, v46
	v_or3_b32 v46, v45, v56, v46
.LBB4_2532:                             ;   in Loop: Header=BB4_2253 Depth=2
	s_or_b32 exec_lo, exec_lo, s40
	v_max_f32_e32 v45, v46, v46
	v_max_f32_e32 v46, v47, v47
	v_min_f32_e32 v47, v46, v45
.LBB4_2533:                             ;   in Loop: Header=BB4_2253 Depth=2
	s_waitcnt vmcnt(8) lgkmcnt(8)
	v_and_b32_e32 v45, 0x7f800000, v47
	v_cmp_ne_u32_e32 vcc_lo, 0x7f800000, v45
	v_mov_b32_e32 v45, 0x80
	s_and_saveexec_b32 s40, vcc_lo
	s_cbranch_execz .LBB4_2541
; %bb.2534:                             ;   in Loop: Header=BB4_2253 Depth=2
	v_mov_b32_e32 v45, 0
	s_mov_b32 s41, exec_lo
	v_cmpx_ne_u32_e32 0, v47
	s_cbranch_execz .LBB4_2540
; %bb.2535:                             ;   in Loop: Header=BB4_2253 Depth=2
	v_bfe_u32 v45, v47, 23, 8
	v_and_b32_e32 v46, 0x7fffff, v47
	v_sub_nc_u32_e32 v56, 0x70, v45
	v_cmp_gt_u32_e32 vcc_lo, 0x71, v45
	v_or_b32_e32 v57, 0x800000, v46
	v_cndmask_b32_e32 v56, 0, v56, vcc_lo
	v_cmp_eq_u32_e32 vcc_lo, 0, v45
	v_add_nc_u32_e32 v45, 0xffffff91, v45
	v_cndmask_b32_e64 v56, v56, 0x6f, vcc_lo
	v_cndmask_b32_e32 v46, v57, v46, vcc_lo
	v_cndmask_b32_e64 v45, v45, 0xffffff92, vcc_lo
	v_lshl_add_u32 v57, 0x200000, v56, -1
	v_lshrrev_b32_e32 v58, v56, v46
	v_lshlrev_b32_e64 v60, v56, 0x100000
	v_add_nc_u32_e32 v56, v56, v45
	v_and_b32_e32 v46, v57, v46
	v_bfe_u32 v59, v58, 21, 1
	v_cmp_eq_u32_e64 s13, v46, v60
	v_add_nc_u32_e32 v57, -1, v59
	v_cndmask_b32_e64 v46, 0, v57, s13
	v_lshrrev_b32_e32 v57, 23, v58
	s_mov_b32 s13, exec_lo
	v_add_nc_u32_e32 v46, v46, v58
	v_xor_b32_e32 v57, 1, v57
	v_and_b32_e32 v45, 0x1fffff, v46
	v_add_nc_u32_e32 v46, v45, v58
                                        ; implicit-def: $vgpr45
	v_cmpx_ne_u32_e64 v56, v57
	s_xor_b32 s13, exec_lo, s13
; %bb.2536:                             ;   in Loop: Header=BB4_2253 Depth=2
	v_cmp_lt_u32_e32 vcc_lo, 0xffffff, v46
	v_sub_nc_u32_e32 v45, v56, v57
	v_cndmask_b32_e64 v56, 0, 1, vcc_lo
	v_add_co_ci_u32_e64 v45, null, 0, v45, vcc_lo
	v_lshrrev_b32_e32 v46, v56, v46
; %bb.2537:                             ;   in Loop: Header=BB4_2253 Depth=2
	s_andn2_saveexec_b32 s13, s13
; %bb.2538:                             ;   in Loop: Header=BB4_2253 Depth=2
	v_bfe_u32 v45, v46, 23, 1
; %bb.2539:                             ;   in Loop: Header=BB4_2253 Depth=2
	s_or_b32 exec_lo, exec_lo, s13
	v_lshrrev_b32_e32 v46, 21, v46
	v_cmp_gt_i32_e32 vcc_lo, 32, v45
	v_min_i32_e32 v56, 31, v45
	v_and_b32_sdwa v47, v47, v113 dst_sel:DWORD dst_unused:UNUSED_PAD src0_sel:BYTE_3 src1_sel:DWORD
	v_cndmask_b32_e32 v46, 3, v46, vcc_lo
	v_lshlrev_b32_e32 v56, 2, v56
	v_and_b32_e32 v57, 3, v46
	v_or_b32_e32 v45, v45, v46
	v_or3_b32 v46, v56, v47, v57
	v_cmp_ne_u32_e32 vcc_lo, 0, v45
	v_cndmask_b32_e32 v45, 0, v46, vcc_lo
.LBB4_2540:                             ;   in Loop: Header=BB4_2253 Depth=2
	s_or_b32 exec_lo, exec_lo, s41
.LBB4_2541:                             ;   in Loop: Header=BB4_2253 Depth=2
	s_or_b32 exec_lo, exec_lo, s40
	v_cmp_gt_i16_sdwa s40, v44, v112 src0_sel:BYTE_0 src1_sel:DWORD
	s_andn2_b32 vcc_lo, exec_lo, s28
	s_mov_b32 s13, -1
                                        ; implicit-def: $vgpr46
	s_cbranch_vccnz .LBB4_2555
; %bb.2542:                             ;   in Loop: Header=BB4_2253 Depth=2
	s_mov_b32 s13, 0
	s_and_saveexec_b32 s41, s40
	s_xor_b32 s40, exec_lo, s41
	s_cbranch_execz .LBB4_2891
; %bb.2543:                             ;   in Loop: Header=BB4_2253 Depth=2
	v_cmp_eq_u16_sdwa s42, v44, v113 src0_sel:BYTE_0 src1_sel:DWORD
	s_mov_b32 s13, -1
	s_and_saveexec_b32 s41, s42
; %bb.2544:                             ;   in Loop: Header=BB4_2253 Depth=2
	s_xor_b32 s13, exec_lo, -1
; %bb.2545:                             ;   in Loop: Header=BB4_2253 Depth=2
	s_or_b32 exec_lo, exec_lo, s41
	s_and_b32 s13, s13, exec_lo
	s_or_saveexec_b32 s40, s40
	v_mov_b32_e32 v46, 0x7f800001
	s_xor_b32 exec_lo, exec_lo, s40
	s_cbranch_execnz .LBB4_2892
.LBB4_2546:                             ;   in Loop: Header=BB4_2253 Depth=2
	s_or_b32 exec_lo, exec_lo, s40
	s_and_saveexec_b32 s40, s13
	s_cbranch_execz .LBB4_2548
.LBB4_2547:                             ;   in Loop: Header=BB4_2253 Depth=2
	v_and_b32_e32 v46, 3, v44
	v_lshrrev_b16 v56, 2, v44
	v_lshlrev_b32_e32 v58, 24, v44
	v_ffbh_u32_e32 v47, v46
	v_and_b32_e32 v56, 31, v56
	v_min_u32_e32 v47, 32, v47
	v_cmp_eq_u32_e32 vcc_lo, 0, v56
	v_subrev_nc_u32_e32 v57, 29, v47
	v_sub_nc_u32_e32 v47, 30, v47
	v_lshlrev_b32_e32 v57, v57, v44
	v_cndmask_b32_e32 v47, v56, v47, vcc_lo
	v_and_b32_e32 v56, 0x80000000, v58
	v_and_b32_e32 v57, 3, v57
	v_lshl_add_u32 v47, v47, 23, 0x37800000
	v_cndmask_b32_e32 v46, v46, v57, vcc_lo
	v_lshlrev_b32_e32 v46, 21, v46
	v_or3_b32 v46, v56, v47, v46
.LBB4_2548:                             ;   in Loop: Header=BB4_2253 Depth=2
	s_or_b32 exec_lo, exec_lo, s40
	s_waitcnt vmcnt(7) lgkmcnt(7)
	v_cmp_gt_i16_sdwa s40, v43, v112 src0_sel:BYTE_0 src1_sel:DWORD
	s_mov_b32 s13, 0
	s_and_saveexec_b32 s41, s40
	s_xor_b32 s40, exec_lo, s41
	s_cbranch_execz .LBB4_2893
; %bb.2549:                             ;   in Loop: Header=BB4_2253 Depth=2
	v_cmp_eq_u16_sdwa s42, v43, v113 src0_sel:BYTE_0 src1_sel:DWORD
	s_mov_b32 s13, -1
	s_and_saveexec_b32 s41, s42
; %bb.2550:                             ;   in Loop: Header=BB4_2253 Depth=2
	s_xor_b32 s13, exec_lo, -1
; %bb.2551:                             ;   in Loop: Header=BB4_2253 Depth=2
	s_or_b32 exec_lo, exec_lo, s41
	s_and_b32 s13, s13, exec_lo
	s_or_saveexec_b32 s40, s40
	v_mov_b32_e32 v47, 0x7f800001
	s_xor_b32 exec_lo, exec_lo, s40
	s_cbranch_execnz .LBB4_2894
.LBB4_2552:                             ;   in Loop: Header=BB4_2253 Depth=2
	s_or_b32 exec_lo, exec_lo, s40
	s_and_saveexec_b32 s40, s13
	s_cbranch_execz .LBB4_2554
.LBB4_2553:                             ;   in Loop: Header=BB4_2253 Depth=2
	v_and_b32_e32 v47, 3, v43
	v_lshrrev_b16 v57, 2, v43
	v_lshlrev_b32_e32 v59, 24, v43
	v_ffbh_u32_e32 v56, v47
	v_and_b32_e32 v57, 31, v57
	v_min_u32_e32 v56, 32, v56
	v_cmp_eq_u32_e32 vcc_lo, 0, v57
	v_subrev_nc_u32_e32 v58, 29, v56
	v_sub_nc_u32_e32 v56, 30, v56
	v_lshlrev_b32_e32 v58, v58, v43
	v_cndmask_b32_e32 v56, v57, v56, vcc_lo
	v_and_b32_e32 v57, 0x80000000, v59
	v_and_b32_e32 v58, 3, v58
	v_lshl_add_u32 v56, v56, 23, 0x37800000
	v_cndmask_b32_e32 v47, v47, v58, vcc_lo
	v_lshlrev_b32_e32 v47, 21, v47
	v_or3_b32 v47, v57, v56, v47
.LBB4_2554:                             ;   in Loop: Header=BB4_2253 Depth=2
	s_or_b32 exec_lo, exec_lo, s40
	v_max_f32_e32 v47, v47, v47
	v_max_f32_e32 v46, v46, v46
	s_mov_b32 s13, 0
	v_max_f32_e32 v46, v46, v47
.LBB4_2555:                             ;   in Loop: Header=BB4_2253 Depth=2
	s_and_b32 vcc_lo, exec_lo, s13
	s_cbranch_vccz .LBB4_2569
; %bb.2556:                             ;   in Loop: Header=BB4_2253 Depth=2
	v_cmp_gt_i16_sdwa s40, v44, v112 src0_sel:BYTE_0 src1_sel:DWORD
	s_mov_b32 s13, 0
	s_and_saveexec_b32 s41, s40
	s_xor_b32 s40, exec_lo, s41
	s_cbranch_execz .LBB4_2895
; %bb.2557:                             ;   in Loop: Header=BB4_2253 Depth=2
	v_cmp_eq_u16_sdwa s42, v44, v113 src0_sel:BYTE_0 src1_sel:DWORD
	s_mov_b32 s13, -1
	s_and_saveexec_b32 s41, s42
; %bb.2558:                             ;   in Loop: Header=BB4_2253 Depth=2
	s_xor_b32 s13, exec_lo, -1
; %bb.2559:                             ;   in Loop: Header=BB4_2253 Depth=2
	s_or_b32 exec_lo, exec_lo, s41
	s_and_b32 s13, s13, exec_lo
	s_or_saveexec_b32 s40, s40
	v_mov_b32_e32 v46, 0x7f800001
	s_xor_b32 exec_lo, exec_lo, s40
	s_cbranch_execnz .LBB4_2896
.LBB4_2560:                             ;   in Loop: Header=BB4_2253 Depth=2
	s_or_b32 exec_lo, exec_lo, s40
	s_and_saveexec_b32 s40, s13
	s_cbranch_execz .LBB4_2562
.LBB4_2561:                             ;   in Loop: Header=BB4_2253 Depth=2
	v_and_b32_e32 v46, 3, v44
	v_lshrrev_b16 v56, 2, v44
	v_ffbh_u32_e32 v47, v46
	v_and_b32_e32 v56, 31, v56
	v_min_u32_e32 v47, 32, v47
	v_cmp_eq_u32_e32 vcc_lo, 0, v56
	v_subrev_nc_u32_e32 v57, 29, v47
	v_sub_nc_u32_e32 v47, 30, v47
	v_lshlrev_b32_e32 v57, v57, v44
	v_lshlrev_b32_e32 v44, 24, v44
	v_cndmask_b32_e32 v47, v56, v47, vcc_lo
	v_and_b32_e32 v57, 3, v57
	v_and_b32_e32 v44, 0x80000000, v44
	v_lshl_add_u32 v47, v47, 23, 0x37800000
	v_cndmask_b32_e32 v46, v46, v57, vcc_lo
	v_lshlrev_b32_e32 v46, 21, v46
	v_or3_b32 v46, v44, v47, v46
.LBB4_2562:                             ;   in Loop: Header=BB4_2253 Depth=2
	s_or_b32 exec_lo, exec_lo, s40
	s_waitcnt vmcnt(7) lgkmcnt(7)
	v_cmp_gt_i16_sdwa s40, v43, v112 src0_sel:BYTE_0 src1_sel:DWORD
	s_mov_b32 s13, 0
	s_and_saveexec_b32 s41, s40
	s_xor_b32 s40, exec_lo, s41
	s_cbranch_execz .LBB4_2897
; %bb.2563:                             ;   in Loop: Header=BB4_2253 Depth=2
	v_cmp_eq_u16_sdwa s42, v43, v113 src0_sel:BYTE_0 src1_sel:DWORD
	s_mov_b32 s13, -1
	s_and_saveexec_b32 s41, s42
; %bb.2564:                             ;   in Loop: Header=BB4_2253 Depth=2
	s_xor_b32 s13, exec_lo, -1
; %bb.2565:                             ;   in Loop: Header=BB4_2253 Depth=2
	s_or_b32 exec_lo, exec_lo, s41
	s_and_b32 s13, s13, exec_lo
	s_or_saveexec_b32 s40, s40
	v_mov_b32_e32 v44, 0x7f800001
	s_xor_b32 exec_lo, exec_lo, s40
	s_cbranch_execnz .LBB4_2898
.LBB4_2566:                             ;   in Loop: Header=BB4_2253 Depth=2
	s_or_b32 exec_lo, exec_lo, s40
	s_and_saveexec_b32 s40, s13
	s_cbranch_execz .LBB4_2568
.LBB4_2567:                             ;   in Loop: Header=BB4_2253 Depth=2
	v_and_b32_e32 v44, 3, v43
	v_lshrrev_b16 v56, 2, v43
	v_ffbh_u32_e32 v47, v44
	v_and_b32_e32 v56, 31, v56
	v_min_u32_e32 v47, 32, v47
	v_cmp_eq_u32_e32 vcc_lo, 0, v56
	v_subrev_nc_u32_e32 v57, 29, v47
	v_sub_nc_u32_e32 v47, 30, v47
	v_lshlrev_b32_e32 v57, v57, v43
	v_lshlrev_b32_e32 v43, 24, v43
	v_cndmask_b32_e32 v47, v56, v47, vcc_lo
	v_and_b32_e32 v57, 3, v57
	v_and_b32_e32 v43, 0x80000000, v43
	v_lshl_add_u32 v47, v47, 23, 0x37800000
	v_cndmask_b32_e32 v44, v44, v57, vcc_lo
	v_lshlrev_b32_e32 v44, 21, v44
	v_or3_b32 v44, v43, v47, v44
.LBB4_2568:                             ;   in Loop: Header=BB4_2253 Depth=2
	s_or_b32 exec_lo, exec_lo, s40
	v_max_f32_e32 v43, v44, v44
	v_max_f32_e32 v44, v46, v46
	v_min_f32_e32 v46, v44, v43
.LBB4_2569:                             ;   in Loop: Header=BB4_2253 Depth=2
	s_waitcnt vmcnt(7) lgkmcnt(7)
	v_and_b32_e32 v43, 0x7f800000, v46
	v_cmp_ne_u32_e32 vcc_lo, 0x7f800000, v43
	v_mov_b32_e32 v43, 0x80
	s_and_saveexec_b32 s40, vcc_lo
	s_cbranch_execz .LBB4_2577
; %bb.2570:                             ;   in Loop: Header=BB4_2253 Depth=2
	v_mov_b32_e32 v43, 0
	s_mov_b32 s41, exec_lo
	v_cmpx_ne_u32_e32 0, v46
	s_cbranch_execz .LBB4_2576
; %bb.2571:                             ;   in Loop: Header=BB4_2253 Depth=2
	v_bfe_u32 v43, v46, 23, 8
	v_and_b32_e32 v44, 0x7fffff, v46
	v_sub_nc_u32_e32 v47, 0x70, v43
	v_cmp_gt_u32_e32 vcc_lo, 0x71, v43
	v_or_b32_e32 v56, 0x800000, v44
	v_cndmask_b32_e32 v47, 0, v47, vcc_lo
	v_cmp_eq_u32_e32 vcc_lo, 0, v43
	v_add_nc_u32_e32 v43, 0xffffff91, v43
	v_cndmask_b32_e64 v47, v47, 0x6f, vcc_lo
	v_cndmask_b32_e32 v44, v56, v44, vcc_lo
	v_cndmask_b32_e64 v43, v43, 0xffffff92, vcc_lo
	v_lshl_add_u32 v56, 0x200000, v47, -1
	v_lshrrev_b32_e32 v57, v47, v44
	v_lshlrev_b32_e64 v59, v47, 0x100000
	v_add_nc_u32_e32 v47, v47, v43
	v_and_b32_e32 v44, v56, v44
	v_bfe_u32 v58, v57, 21, 1
	v_cmp_eq_u32_e64 s13, v44, v59
	v_add_nc_u32_e32 v56, -1, v58
	v_cndmask_b32_e64 v44, 0, v56, s13
	v_lshrrev_b32_e32 v56, 23, v57
	s_mov_b32 s13, exec_lo
	v_add_nc_u32_e32 v44, v44, v57
	v_xor_b32_e32 v56, 1, v56
	v_and_b32_e32 v43, 0x1fffff, v44
	v_add_nc_u32_e32 v44, v43, v57
                                        ; implicit-def: $vgpr43
	v_cmpx_ne_u32_e64 v47, v56
	s_xor_b32 s13, exec_lo, s13
; %bb.2572:                             ;   in Loop: Header=BB4_2253 Depth=2
	v_cmp_lt_u32_e32 vcc_lo, 0xffffff, v44
	v_sub_nc_u32_e32 v43, v47, v56
	v_cndmask_b32_e64 v47, 0, 1, vcc_lo
	v_add_co_ci_u32_e64 v43, null, 0, v43, vcc_lo
	v_lshrrev_b32_e32 v44, v47, v44
; %bb.2573:                             ;   in Loop: Header=BB4_2253 Depth=2
	s_andn2_saveexec_b32 s13, s13
; %bb.2574:                             ;   in Loop: Header=BB4_2253 Depth=2
	v_bfe_u32 v43, v44, 23, 1
; %bb.2575:                             ;   in Loop: Header=BB4_2253 Depth=2
	s_or_b32 exec_lo, exec_lo, s13
	v_lshrrev_b32_e32 v44, 21, v44
	v_cmp_gt_i32_e32 vcc_lo, 32, v43
	v_min_i32_e32 v47, 31, v43
	v_and_b32_sdwa v46, v46, v113 dst_sel:DWORD dst_unused:UNUSED_PAD src0_sel:BYTE_3 src1_sel:DWORD
	v_cndmask_b32_e32 v44, 3, v44, vcc_lo
	v_lshlrev_b32_e32 v47, 2, v47
	v_and_b32_e32 v56, 3, v44
	v_or_b32_e32 v43, v43, v44
	v_or3_b32 v44, v47, v46, v56
	v_cmp_ne_u32_e32 vcc_lo, 0, v43
	v_cndmask_b32_e32 v43, 0, v44, vcc_lo
.LBB4_2576:                             ;   in Loop: Header=BB4_2253 Depth=2
	s_or_b32 exec_lo, exec_lo, s41
.LBB4_2577:                             ;   in Loop: Header=BB4_2253 Depth=2
	s_or_b32 exec_lo, exec_lo, s40
	v_cmp_gt_i16_sdwa s40, v41, v112 src0_sel:BYTE_0 src1_sel:DWORD
	s_andn2_b32 vcc_lo, exec_lo, s28
	s_mov_b32 s13, -1
                                        ; implicit-def: $vgpr44
	s_cbranch_vccnz .LBB4_2591
; %bb.2578:                             ;   in Loop: Header=BB4_2253 Depth=2
	s_mov_b32 s13, 0
	s_and_saveexec_b32 s41, s40
	s_xor_b32 s40, exec_lo, s41
	s_cbranch_execz .LBB4_2899
; %bb.2579:                             ;   in Loop: Header=BB4_2253 Depth=2
	v_cmp_eq_u16_sdwa s42, v41, v113 src0_sel:BYTE_0 src1_sel:DWORD
	s_mov_b32 s13, -1
	s_and_saveexec_b32 s41, s42
; %bb.2580:                             ;   in Loop: Header=BB4_2253 Depth=2
	s_xor_b32 s13, exec_lo, -1
; %bb.2581:                             ;   in Loop: Header=BB4_2253 Depth=2
	s_or_b32 exec_lo, exec_lo, s41
	s_and_b32 s13, s13, exec_lo
	s_or_saveexec_b32 s40, s40
	v_mov_b32_e32 v44, 0x7f800001
	s_xor_b32 exec_lo, exec_lo, s40
	s_cbranch_execnz .LBB4_2900
.LBB4_2582:                             ;   in Loop: Header=BB4_2253 Depth=2
	s_or_b32 exec_lo, exec_lo, s40
	s_and_saveexec_b32 s40, s13
	s_cbranch_execz .LBB4_2584
.LBB4_2583:                             ;   in Loop: Header=BB4_2253 Depth=2
	v_and_b32_e32 v44, 3, v41
	v_lshrrev_b16 v47, 2, v41
	v_lshlrev_b32_e32 v57, 24, v41
	v_ffbh_u32_e32 v46, v44
	v_and_b32_e32 v47, 31, v47
	v_min_u32_e32 v46, 32, v46
	v_cmp_eq_u32_e32 vcc_lo, 0, v47
	v_subrev_nc_u32_e32 v56, 29, v46
	v_sub_nc_u32_e32 v46, 30, v46
	v_lshlrev_b32_e32 v56, v56, v41
	v_cndmask_b32_e32 v46, v47, v46, vcc_lo
	v_and_b32_e32 v47, 0x80000000, v57
	v_and_b32_e32 v56, 3, v56
	v_lshl_add_u32 v46, v46, 23, 0x37800000
	v_cndmask_b32_e32 v44, v44, v56, vcc_lo
	v_lshlrev_b32_e32 v44, 21, v44
	v_or3_b32 v44, v47, v46, v44
.LBB4_2584:                             ;   in Loop: Header=BB4_2253 Depth=2
	s_or_b32 exec_lo, exec_lo, s40
	s_waitcnt vmcnt(6) lgkmcnt(6)
	v_cmp_gt_i16_sdwa s40, v40, v112 src0_sel:BYTE_0 src1_sel:DWORD
	s_mov_b32 s13, 0
	s_and_saveexec_b32 s41, s40
	s_xor_b32 s40, exec_lo, s41
	s_cbranch_execz .LBB4_2901
; %bb.2585:                             ;   in Loop: Header=BB4_2253 Depth=2
	v_cmp_eq_u16_sdwa s42, v40, v113 src0_sel:BYTE_0 src1_sel:DWORD
	s_mov_b32 s13, -1
	s_and_saveexec_b32 s41, s42
; %bb.2586:                             ;   in Loop: Header=BB4_2253 Depth=2
	s_xor_b32 s13, exec_lo, -1
; %bb.2587:                             ;   in Loop: Header=BB4_2253 Depth=2
	s_or_b32 exec_lo, exec_lo, s41
	s_and_b32 s13, s13, exec_lo
	s_or_saveexec_b32 s40, s40
	v_mov_b32_e32 v46, 0x7f800001
	s_xor_b32 exec_lo, exec_lo, s40
	s_cbranch_execnz .LBB4_2902
.LBB4_2588:                             ;   in Loop: Header=BB4_2253 Depth=2
	s_or_b32 exec_lo, exec_lo, s40
	s_and_saveexec_b32 s40, s13
	s_cbranch_execz .LBB4_2590
.LBB4_2589:                             ;   in Loop: Header=BB4_2253 Depth=2
	v_and_b32_e32 v46, 3, v40
	v_lshrrev_b16 v56, 2, v40
	v_lshlrev_b32_e32 v58, 24, v40
	v_ffbh_u32_e32 v47, v46
	v_and_b32_e32 v56, 31, v56
	v_min_u32_e32 v47, 32, v47
	v_cmp_eq_u32_e32 vcc_lo, 0, v56
	v_subrev_nc_u32_e32 v57, 29, v47
	v_sub_nc_u32_e32 v47, 30, v47
	v_lshlrev_b32_e32 v57, v57, v40
	v_cndmask_b32_e32 v47, v56, v47, vcc_lo
	v_and_b32_e32 v56, 0x80000000, v58
	v_and_b32_e32 v57, 3, v57
	v_lshl_add_u32 v47, v47, 23, 0x37800000
	v_cndmask_b32_e32 v46, v46, v57, vcc_lo
	v_lshlrev_b32_e32 v46, 21, v46
	v_or3_b32 v46, v56, v47, v46
.LBB4_2590:                             ;   in Loop: Header=BB4_2253 Depth=2
	s_or_b32 exec_lo, exec_lo, s40
	v_max_f32_e32 v46, v46, v46
	v_max_f32_e32 v44, v44, v44
	s_mov_b32 s13, 0
	v_max_f32_e32 v44, v44, v46
.LBB4_2591:                             ;   in Loop: Header=BB4_2253 Depth=2
	s_and_b32 vcc_lo, exec_lo, s13
	s_cbranch_vccz .LBB4_2605
; %bb.2592:                             ;   in Loop: Header=BB4_2253 Depth=2
	v_cmp_gt_i16_sdwa s40, v41, v112 src0_sel:BYTE_0 src1_sel:DWORD
	s_mov_b32 s13, 0
	s_and_saveexec_b32 s41, s40
	s_xor_b32 s40, exec_lo, s41
	s_cbranch_execz .LBB4_2903
; %bb.2593:                             ;   in Loop: Header=BB4_2253 Depth=2
	v_cmp_eq_u16_sdwa s42, v41, v113 src0_sel:BYTE_0 src1_sel:DWORD
	s_mov_b32 s13, -1
	s_and_saveexec_b32 s41, s42
; %bb.2594:                             ;   in Loop: Header=BB4_2253 Depth=2
	s_xor_b32 s13, exec_lo, -1
; %bb.2595:                             ;   in Loop: Header=BB4_2253 Depth=2
	s_or_b32 exec_lo, exec_lo, s41
	s_and_b32 s13, s13, exec_lo
	s_or_saveexec_b32 s40, s40
	v_mov_b32_e32 v44, 0x7f800001
	s_xor_b32 exec_lo, exec_lo, s40
	s_cbranch_execnz .LBB4_2904
.LBB4_2596:                             ;   in Loop: Header=BB4_2253 Depth=2
	s_or_b32 exec_lo, exec_lo, s40
	s_and_saveexec_b32 s40, s13
	s_cbranch_execz .LBB4_2598
.LBB4_2597:                             ;   in Loop: Header=BB4_2253 Depth=2
	v_and_b32_e32 v44, 3, v41
	v_lshrrev_b16 v47, 2, v41
	v_ffbh_u32_e32 v46, v44
	v_and_b32_e32 v47, 31, v47
	v_min_u32_e32 v46, 32, v46
	v_cmp_eq_u32_e32 vcc_lo, 0, v47
	v_subrev_nc_u32_e32 v56, 29, v46
	v_sub_nc_u32_e32 v46, 30, v46
	v_lshlrev_b32_e32 v56, v56, v41
	v_lshlrev_b32_e32 v41, 24, v41
	v_cndmask_b32_e32 v46, v47, v46, vcc_lo
	v_and_b32_e32 v56, 3, v56
	v_and_b32_e32 v41, 0x80000000, v41
	v_lshl_add_u32 v46, v46, 23, 0x37800000
	v_cndmask_b32_e32 v44, v44, v56, vcc_lo
	v_lshlrev_b32_e32 v44, 21, v44
	v_or3_b32 v44, v41, v46, v44
.LBB4_2598:                             ;   in Loop: Header=BB4_2253 Depth=2
	s_or_b32 exec_lo, exec_lo, s40
	s_waitcnt vmcnt(6) lgkmcnt(6)
	v_cmp_gt_i16_sdwa s40, v40, v112 src0_sel:BYTE_0 src1_sel:DWORD
	s_mov_b32 s13, 0
	s_and_saveexec_b32 s41, s40
	s_xor_b32 s40, exec_lo, s41
	s_cbranch_execz .LBB4_2905
; %bb.2599:                             ;   in Loop: Header=BB4_2253 Depth=2
	v_cmp_eq_u16_sdwa s42, v40, v113 src0_sel:BYTE_0 src1_sel:DWORD
	s_mov_b32 s13, -1
	s_and_saveexec_b32 s41, s42
; %bb.2600:                             ;   in Loop: Header=BB4_2253 Depth=2
	s_xor_b32 s13, exec_lo, -1
; %bb.2601:                             ;   in Loop: Header=BB4_2253 Depth=2
	s_or_b32 exec_lo, exec_lo, s41
	s_and_b32 s13, s13, exec_lo
	s_or_saveexec_b32 s40, s40
	v_mov_b32_e32 v41, 0x7f800001
	s_xor_b32 exec_lo, exec_lo, s40
	s_cbranch_execnz .LBB4_2906
.LBB4_2602:                             ;   in Loop: Header=BB4_2253 Depth=2
	s_or_b32 exec_lo, exec_lo, s40
	s_and_saveexec_b32 s40, s13
	s_cbranch_execz .LBB4_2604
.LBB4_2603:                             ;   in Loop: Header=BB4_2253 Depth=2
	v_and_b32_e32 v41, 3, v40
	v_lshrrev_b16 v47, 2, v40
	v_ffbh_u32_e32 v46, v41
	v_and_b32_e32 v47, 31, v47
	v_min_u32_e32 v46, 32, v46
	v_cmp_eq_u32_e32 vcc_lo, 0, v47
	v_subrev_nc_u32_e32 v56, 29, v46
	v_sub_nc_u32_e32 v46, 30, v46
	v_lshlrev_b32_e32 v56, v56, v40
	v_lshlrev_b32_e32 v40, 24, v40
	v_cndmask_b32_e32 v46, v47, v46, vcc_lo
	v_and_b32_e32 v56, 3, v56
	v_and_b32_e32 v40, 0x80000000, v40
	v_lshl_add_u32 v46, v46, 23, 0x37800000
	v_cndmask_b32_e32 v41, v41, v56, vcc_lo
	v_lshlrev_b32_e32 v41, 21, v41
	v_or3_b32 v41, v40, v46, v41
.LBB4_2604:                             ;   in Loop: Header=BB4_2253 Depth=2
	s_or_b32 exec_lo, exec_lo, s40
	v_max_f32_e32 v40, v41, v41
	v_max_f32_e32 v41, v44, v44
	v_min_f32_e32 v44, v41, v40
.LBB4_2605:                             ;   in Loop: Header=BB4_2253 Depth=2
	s_waitcnt vmcnt(6) lgkmcnt(6)
	v_and_b32_e32 v40, 0x7f800000, v44
	v_cmp_ne_u32_e32 vcc_lo, 0x7f800000, v40
	v_mov_b32_e32 v40, 0x80
	s_and_saveexec_b32 s40, vcc_lo
	s_cbranch_execz .LBB4_2613
; %bb.2606:                             ;   in Loop: Header=BB4_2253 Depth=2
	v_mov_b32_e32 v40, 0
	s_mov_b32 s41, exec_lo
	v_cmpx_ne_u32_e32 0, v44
	s_cbranch_execz .LBB4_2612
; %bb.2607:                             ;   in Loop: Header=BB4_2253 Depth=2
	v_bfe_u32 v40, v44, 23, 8
	v_and_b32_e32 v41, 0x7fffff, v44
	v_sub_nc_u32_e32 v46, 0x70, v40
	v_cmp_gt_u32_e32 vcc_lo, 0x71, v40
	v_or_b32_e32 v47, 0x800000, v41
	v_cndmask_b32_e32 v46, 0, v46, vcc_lo
	v_cmp_eq_u32_e32 vcc_lo, 0, v40
	v_add_nc_u32_e32 v40, 0xffffff91, v40
	v_cndmask_b32_e64 v46, v46, 0x6f, vcc_lo
	v_cndmask_b32_e32 v41, v47, v41, vcc_lo
	v_cndmask_b32_e64 v40, v40, 0xffffff92, vcc_lo
	v_lshl_add_u32 v47, 0x200000, v46, -1
	v_lshrrev_b32_e32 v56, v46, v41
	v_lshlrev_b32_e64 v58, v46, 0x100000
	v_add_nc_u32_e32 v46, v46, v40
	v_and_b32_e32 v41, v47, v41
	v_bfe_u32 v57, v56, 21, 1
	v_cmp_eq_u32_e64 s13, v41, v58
	v_add_nc_u32_e32 v47, -1, v57
	v_cndmask_b32_e64 v41, 0, v47, s13
	v_lshrrev_b32_e32 v47, 23, v56
	s_mov_b32 s13, exec_lo
	v_add_nc_u32_e32 v41, v41, v56
	v_xor_b32_e32 v47, 1, v47
	v_and_b32_e32 v40, 0x1fffff, v41
	v_add_nc_u32_e32 v41, v40, v56
                                        ; implicit-def: $vgpr40
	v_cmpx_ne_u32_e64 v46, v47
	s_xor_b32 s13, exec_lo, s13
; %bb.2608:                             ;   in Loop: Header=BB4_2253 Depth=2
	v_cmp_lt_u32_e32 vcc_lo, 0xffffff, v41
	v_sub_nc_u32_e32 v40, v46, v47
	v_cndmask_b32_e64 v46, 0, 1, vcc_lo
	v_add_co_ci_u32_e64 v40, null, 0, v40, vcc_lo
	v_lshrrev_b32_e32 v41, v46, v41
; %bb.2609:                             ;   in Loop: Header=BB4_2253 Depth=2
	s_andn2_saveexec_b32 s13, s13
; %bb.2610:                             ;   in Loop: Header=BB4_2253 Depth=2
	v_bfe_u32 v40, v41, 23, 1
; %bb.2611:                             ;   in Loop: Header=BB4_2253 Depth=2
	s_or_b32 exec_lo, exec_lo, s13
	v_lshrrev_b32_e32 v41, 21, v41
	v_cmp_gt_i32_e32 vcc_lo, 32, v40
	v_min_i32_e32 v46, 31, v40
	v_and_b32_sdwa v44, v44, v113 dst_sel:DWORD dst_unused:UNUSED_PAD src0_sel:BYTE_3 src1_sel:DWORD
	v_cndmask_b32_e32 v41, 3, v41, vcc_lo
	v_lshlrev_b32_e32 v46, 2, v46
	v_and_b32_e32 v47, 3, v41
	v_or_b32_e32 v40, v40, v41
	v_or3_b32 v41, v46, v44, v47
	v_cmp_ne_u32_e32 vcc_lo, 0, v40
	v_cndmask_b32_e32 v40, 0, v41, vcc_lo
.LBB4_2612:                             ;   in Loop: Header=BB4_2253 Depth=2
	s_or_b32 exec_lo, exec_lo, s41
.LBB4_2613:                             ;   in Loop: Header=BB4_2253 Depth=2
	s_or_b32 exec_lo, exec_lo, s40
	v_cmp_gt_i16_sdwa s40, v118, v112 src0_sel:BYTE_0 src1_sel:DWORD
	s_andn2_b32 vcc_lo, exec_lo, s28
	s_mov_b32 s13, -1
                                        ; implicit-def: $vgpr41
	s_cbranch_vccnz .LBB4_2627
; %bb.2614:                             ;   in Loop: Header=BB4_2253 Depth=2
	s_mov_b32 s13, 0
	s_and_saveexec_b32 s41, s40
	s_xor_b32 s40, exec_lo, s41
	s_cbranch_execz .LBB4_2907
; %bb.2615:                             ;   in Loop: Header=BB4_2253 Depth=2
	v_cmp_eq_u16_sdwa s42, v118, v113 src0_sel:BYTE_0 src1_sel:DWORD
	s_mov_b32 s13, -1
	s_and_saveexec_b32 s41, s42
; %bb.2616:                             ;   in Loop: Header=BB4_2253 Depth=2
	s_xor_b32 s13, exec_lo, -1
; %bb.2617:                             ;   in Loop: Header=BB4_2253 Depth=2
	s_or_b32 exec_lo, exec_lo, s41
	s_and_b32 s13, s13, exec_lo
	s_or_saveexec_b32 s40, s40
	v_mov_b32_e32 v41, 0x7f800001
	s_xor_b32 exec_lo, exec_lo, s40
	s_cbranch_execnz .LBB4_2908
.LBB4_2618:                             ;   in Loop: Header=BB4_2253 Depth=2
	s_or_b32 exec_lo, exec_lo, s40
	s_and_saveexec_b32 s40, s13
	s_cbranch_execz .LBB4_2620
.LBB4_2619:                             ;   in Loop: Header=BB4_2253 Depth=2
	v_and_b32_e32 v41, 3, v118
	v_lshrrev_b16 v46, 2, v118
	v_lshlrev_b32_e32 v56, 24, v118
	v_ffbh_u32_e32 v44, v41
	v_and_b32_e32 v46, 31, v46
	v_min_u32_e32 v44, 32, v44
	v_cmp_eq_u32_e32 vcc_lo, 0, v46
	v_subrev_nc_u32_e32 v47, 29, v44
	v_sub_nc_u32_e32 v44, 30, v44
	v_lshlrev_b32_e32 v47, v47, v118
	v_cndmask_b32_e32 v44, v46, v44, vcc_lo
	v_and_b32_e32 v46, 0x80000000, v56
	v_and_b32_e32 v47, 3, v47
	v_lshl_add_u32 v44, v44, 23, 0x37800000
	v_cndmask_b32_e32 v41, v41, v47, vcc_lo
	v_lshlrev_b32_e32 v41, 21, v41
	v_or3_b32 v41, v46, v44, v41
.LBB4_2620:                             ;   in Loop: Header=BB4_2253 Depth=2
	s_or_b32 exec_lo, exec_lo, s40
	s_waitcnt vmcnt(5) lgkmcnt(5)
	v_cmp_gt_i16_sdwa s40, v117, v112 src0_sel:BYTE_0 src1_sel:DWORD
	s_mov_b32 s13, 0
	s_and_saveexec_b32 s41, s40
	s_xor_b32 s40, exec_lo, s41
	s_cbranch_execz .LBB4_2909
; %bb.2621:                             ;   in Loop: Header=BB4_2253 Depth=2
	v_cmp_eq_u16_sdwa s42, v117, v113 src0_sel:BYTE_0 src1_sel:DWORD
	s_mov_b32 s13, -1
	s_and_saveexec_b32 s41, s42
; %bb.2622:                             ;   in Loop: Header=BB4_2253 Depth=2
	s_xor_b32 s13, exec_lo, -1
; %bb.2623:                             ;   in Loop: Header=BB4_2253 Depth=2
	s_or_b32 exec_lo, exec_lo, s41
	s_and_b32 s13, s13, exec_lo
	s_or_saveexec_b32 s40, s40
	v_mov_b32_e32 v44, 0x7f800001
	s_xor_b32 exec_lo, exec_lo, s40
	s_cbranch_execnz .LBB4_2910
.LBB4_2624:                             ;   in Loop: Header=BB4_2253 Depth=2
	s_or_b32 exec_lo, exec_lo, s40
	s_and_saveexec_b32 s40, s13
	s_cbranch_execz .LBB4_2626
.LBB4_2625:                             ;   in Loop: Header=BB4_2253 Depth=2
	v_and_b32_e32 v44, 3, v117
	v_lshrrev_b16 v47, 2, v117
	v_lshlrev_b32_e32 v57, 24, v117
	v_ffbh_u32_e32 v46, v44
	v_and_b32_e32 v47, 31, v47
	v_min_u32_e32 v46, 32, v46
	v_cmp_eq_u32_e32 vcc_lo, 0, v47
	v_subrev_nc_u32_e32 v56, 29, v46
	v_sub_nc_u32_e32 v46, 30, v46
	v_lshlrev_b32_e32 v56, v56, v117
	v_cndmask_b32_e32 v46, v47, v46, vcc_lo
	v_and_b32_e32 v47, 0x80000000, v57
	v_and_b32_e32 v56, 3, v56
	v_lshl_add_u32 v46, v46, 23, 0x37800000
	v_cndmask_b32_e32 v44, v44, v56, vcc_lo
	v_lshlrev_b32_e32 v44, 21, v44
	v_or3_b32 v44, v47, v46, v44
.LBB4_2626:                             ;   in Loop: Header=BB4_2253 Depth=2
	s_or_b32 exec_lo, exec_lo, s40
	v_max_f32_e32 v44, v44, v44
	v_max_f32_e32 v41, v41, v41
	s_mov_b32 s13, 0
	v_max_f32_e32 v41, v41, v44
.LBB4_2627:                             ;   in Loop: Header=BB4_2253 Depth=2
	s_and_b32 vcc_lo, exec_lo, s13
	s_cbranch_vccz .LBB4_2641
; %bb.2628:                             ;   in Loop: Header=BB4_2253 Depth=2
	v_cmp_gt_i16_sdwa s40, v118, v112 src0_sel:BYTE_0 src1_sel:DWORD
	s_mov_b32 s13, 0
	s_and_saveexec_b32 s41, s40
	s_xor_b32 s40, exec_lo, s41
	s_cbranch_execz .LBB4_2911
; %bb.2629:                             ;   in Loop: Header=BB4_2253 Depth=2
	v_cmp_eq_u16_sdwa s42, v118, v113 src0_sel:BYTE_0 src1_sel:DWORD
	s_mov_b32 s13, -1
	s_and_saveexec_b32 s41, s42
; %bb.2630:                             ;   in Loop: Header=BB4_2253 Depth=2
	s_xor_b32 s13, exec_lo, -1
; %bb.2631:                             ;   in Loop: Header=BB4_2253 Depth=2
	s_or_b32 exec_lo, exec_lo, s41
	s_and_b32 s13, s13, exec_lo
	s_or_saveexec_b32 s40, s40
	v_mov_b32_e32 v41, 0x7f800001
	s_xor_b32 exec_lo, exec_lo, s40
	s_cbranch_execnz .LBB4_2912
.LBB4_2632:                             ;   in Loop: Header=BB4_2253 Depth=2
	s_or_b32 exec_lo, exec_lo, s40
	s_and_saveexec_b32 s40, s13
	s_cbranch_execz .LBB4_2634
.LBB4_2633:                             ;   in Loop: Header=BB4_2253 Depth=2
	v_and_b32_e32 v41, 3, v118
	v_lshrrev_b16 v46, 2, v118
	v_ffbh_u32_e32 v44, v41
	v_and_b32_e32 v46, 31, v46
	v_min_u32_e32 v44, 32, v44
	v_cmp_eq_u32_e32 vcc_lo, 0, v46
	v_subrev_nc_u32_e32 v47, 29, v44
	v_sub_nc_u32_e32 v44, 30, v44
	v_lshlrev_b32_e32 v47, v47, v118
	v_lshlrev_b32_e32 v118, 24, v118
	v_cndmask_b32_e32 v44, v46, v44, vcc_lo
	v_and_b32_e32 v47, 3, v47
	v_and_b32_e32 v118, 0x80000000, v118
	v_lshl_add_u32 v44, v44, 23, 0x37800000
	v_cndmask_b32_e32 v41, v41, v47, vcc_lo
	v_lshlrev_b32_e32 v41, 21, v41
	v_or3_b32 v41, v118, v44, v41
.LBB4_2634:                             ;   in Loop: Header=BB4_2253 Depth=2
	s_or_b32 exec_lo, exec_lo, s40
	s_waitcnt vmcnt(5) lgkmcnt(5)
	v_cmp_gt_i16_sdwa s40, v117, v112 src0_sel:BYTE_0 src1_sel:DWORD
	s_mov_b32 s13, 0
	s_and_saveexec_b32 s41, s40
	s_xor_b32 s40, exec_lo, s41
	s_cbranch_execz .LBB4_2913
; %bb.2635:                             ;   in Loop: Header=BB4_2253 Depth=2
	v_cmp_eq_u16_sdwa s42, v117, v113 src0_sel:BYTE_0 src1_sel:DWORD
	s_mov_b32 s13, -1
	s_and_saveexec_b32 s41, s42
; %bb.2636:                             ;   in Loop: Header=BB4_2253 Depth=2
	s_xor_b32 s13, exec_lo, -1
; %bb.2637:                             ;   in Loop: Header=BB4_2253 Depth=2
	s_or_b32 exec_lo, exec_lo, s41
	s_and_b32 s13, s13, exec_lo
	s_or_saveexec_b32 s40, s40
	v_mov_b32_e32 v118, 0x7f800001
	s_xor_b32 exec_lo, exec_lo, s40
	s_cbranch_execnz .LBB4_2914
.LBB4_2638:                             ;   in Loop: Header=BB4_2253 Depth=2
	s_or_b32 exec_lo, exec_lo, s40
	s_and_saveexec_b32 s40, s13
	s_cbranch_execz .LBB4_2640
.LBB4_2639:                             ;   in Loop: Header=BB4_2253 Depth=2
	v_and_b32_e32 v118, 3, v117
	v_lshrrev_b16 v46, 2, v117
	v_ffbh_u32_e32 v44, v118
	v_and_b32_e32 v46, 31, v46
	v_min_u32_e32 v44, 32, v44
	v_cmp_eq_u32_e32 vcc_lo, 0, v46
	v_subrev_nc_u32_e32 v47, 29, v44
	v_sub_nc_u32_e32 v44, 30, v44
	v_lshlrev_b32_e32 v47, v47, v117
	v_lshlrev_b32_e32 v117, 24, v117
	v_cndmask_b32_e32 v44, v46, v44, vcc_lo
	v_and_b32_e32 v47, 3, v47
	v_and_b32_e32 v117, 0x80000000, v117
	v_lshl_add_u32 v44, v44, 23, 0x37800000
	v_cndmask_b32_e32 v118, v118, v47, vcc_lo
	v_lshlrev_b32_e32 v118, 21, v118
	v_or3_b32 v118, v117, v44, v118
.LBB4_2640:                             ;   in Loop: Header=BB4_2253 Depth=2
	s_or_b32 exec_lo, exec_lo, s40
	v_max_f32_e32 v117, v118, v118
	v_max_f32_e32 v118, v41, v41
	v_min_f32_e32 v41, v118, v117
.LBB4_2641:                             ;   in Loop: Header=BB4_2253 Depth=2
	s_waitcnt vmcnt(5) lgkmcnt(5)
	v_and_b32_e32 v117, 0x7f800000, v41
	v_cmp_ne_u32_e32 vcc_lo, 0x7f800000, v117
	v_mov_b32_e32 v117, 0x80
	s_and_saveexec_b32 s40, vcc_lo
	s_cbranch_execz .LBB4_2649
; %bb.2642:                             ;   in Loop: Header=BB4_2253 Depth=2
	v_mov_b32_e32 v117, 0
	s_mov_b32 s41, exec_lo
	v_cmpx_ne_u32_e32 0, v41
	s_cbranch_execz .LBB4_2648
; %bb.2643:                             ;   in Loop: Header=BB4_2253 Depth=2
	v_bfe_u32 v117, v41, 23, 8
	v_and_b32_e32 v118, 0x7fffff, v41
	v_sub_nc_u32_e32 v44, 0x70, v117
	v_cmp_gt_u32_e32 vcc_lo, 0x71, v117
	v_or_b32_e32 v46, 0x800000, v118
	v_cndmask_b32_e32 v44, 0, v44, vcc_lo
	v_cmp_eq_u32_e32 vcc_lo, 0, v117
	v_add_nc_u32_e32 v117, 0xffffff91, v117
	v_cndmask_b32_e64 v44, v44, 0x6f, vcc_lo
	v_cndmask_b32_e32 v118, v46, v118, vcc_lo
	v_cndmask_b32_e64 v117, v117, 0xffffff92, vcc_lo
	v_lshl_add_u32 v46, 0x200000, v44, -1
	v_lshrrev_b32_e32 v47, v44, v118
	v_lshlrev_b32_e64 v57, v44, 0x100000
	v_add_nc_u32_e32 v44, v44, v117
	v_and_b32_e32 v118, v46, v118
	v_bfe_u32 v56, v47, 21, 1
	v_cmp_eq_u32_e64 s13, v118, v57
	v_add_nc_u32_e32 v46, -1, v56
	v_cndmask_b32_e64 v118, 0, v46, s13
	v_lshrrev_b32_e32 v46, 23, v47
	s_mov_b32 s13, exec_lo
	v_add_nc_u32_e32 v118, v118, v47
	v_xor_b32_e32 v46, 1, v46
	v_and_b32_e32 v117, 0x1fffff, v118
	v_add_nc_u32_e32 v118, v117, v47
                                        ; implicit-def: $vgpr117
	v_cmpx_ne_u32_e64 v44, v46
	s_xor_b32 s13, exec_lo, s13
; %bb.2644:                             ;   in Loop: Header=BB4_2253 Depth=2
	v_cmp_lt_u32_e32 vcc_lo, 0xffffff, v118
	v_sub_nc_u32_e32 v117, v44, v46
	v_cndmask_b32_e64 v44, 0, 1, vcc_lo
	v_add_co_ci_u32_e64 v117, null, 0, v117, vcc_lo
	v_lshrrev_b32_e32 v118, v44, v118
; %bb.2645:                             ;   in Loop: Header=BB4_2253 Depth=2
	s_andn2_saveexec_b32 s13, s13
; %bb.2646:                             ;   in Loop: Header=BB4_2253 Depth=2
	v_bfe_u32 v117, v118, 23, 1
; %bb.2647:                             ;   in Loop: Header=BB4_2253 Depth=2
	s_or_b32 exec_lo, exec_lo, s13
	v_lshrrev_b32_e32 v118, 21, v118
	v_cmp_gt_i32_e32 vcc_lo, 32, v117
	v_min_i32_e32 v44, 31, v117
	v_and_b32_sdwa v41, v41, v113 dst_sel:DWORD dst_unused:UNUSED_PAD src0_sel:BYTE_3 src1_sel:DWORD
	v_cndmask_b32_e32 v118, 3, v118, vcc_lo
	v_lshlrev_b32_e32 v44, 2, v44
	v_and_b32_e32 v46, 3, v118
	v_or_b32_e32 v117, v117, v118
	v_or3_b32 v118, v44, v41, v46
	v_cmp_ne_u32_e32 vcc_lo, 0, v117
	v_cndmask_b32_e32 v117, 0, v118, vcc_lo
.LBB4_2648:                             ;   in Loop: Header=BB4_2253 Depth=2
	s_or_b32 exec_lo, exec_lo, s41
.LBB4_2649:                             ;   in Loop: Header=BB4_2253 Depth=2
	s_or_b32 exec_lo, exec_lo, s40
	v_cmp_gt_i16_sdwa s40, v82, v112 src0_sel:BYTE_0 src1_sel:DWORD
	s_andn2_b32 vcc_lo, exec_lo, s28
	s_mov_b32 s13, -1
                                        ; implicit-def: $vgpr118
	s_cbranch_vccnz .LBB4_2663
; %bb.2650:                             ;   in Loop: Header=BB4_2253 Depth=2
	s_mov_b32 s13, 0
	s_and_saveexec_b32 s41, s40
	s_xor_b32 s40, exec_lo, s41
	s_cbranch_execz .LBB4_2915
; %bb.2651:                             ;   in Loop: Header=BB4_2253 Depth=2
	v_cmp_eq_u16_sdwa s42, v82, v113 src0_sel:BYTE_0 src1_sel:DWORD
	s_mov_b32 s13, -1
	s_and_saveexec_b32 s41, s42
; %bb.2652:                             ;   in Loop: Header=BB4_2253 Depth=2
	s_xor_b32 s13, exec_lo, -1
; %bb.2653:                             ;   in Loop: Header=BB4_2253 Depth=2
	s_or_b32 exec_lo, exec_lo, s41
	s_and_b32 s13, s13, exec_lo
	s_or_saveexec_b32 s40, s40
	v_mov_b32_e32 v118, 0x7f800001
	s_xor_b32 exec_lo, exec_lo, s40
	s_cbranch_execnz .LBB4_2916
.LBB4_2654:                             ;   in Loop: Header=BB4_2253 Depth=2
	s_or_b32 exec_lo, exec_lo, s40
	s_and_saveexec_b32 s40, s13
	s_cbranch_execz .LBB4_2656
.LBB4_2655:                             ;   in Loop: Header=BB4_2253 Depth=2
	v_and_b32_e32 v118, 3, v82
	v_lshrrev_b16 v44, 2, v82
	v_lshlrev_b32_e32 v47, 24, v82
	v_ffbh_u32_e32 v41, v118
	v_and_b32_e32 v44, 31, v44
	v_min_u32_e32 v41, 32, v41
	v_cmp_eq_u32_e32 vcc_lo, 0, v44
	v_subrev_nc_u32_e32 v46, 29, v41
	v_sub_nc_u32_e32 v41, 30, v41
	v_lshlrev_b32_e32 v46, v46, v82
	v_cndmask_b32_e32 v41, v44, v41, vcc_lo
	v_and_b32_e32 v44, 0x80000000, v47
	v_and_b32_e32 v46, 3, v46
	v_lshl_add_u32 v41, v41, 23, 0x37800000
	v_cndmask_b32_e32 v118, v118, v46, vcc_lo
	v_lshlrev_b32_e32 v118, 21, v118
	v_or3_b32 v118, v44, v41, v118
.LBB4_2656:                             ;   in Loop: Header=BB4_2253 Depth=2
	s_or_b32 exec_lo, exec_lo, s40
	s_waitcnt vmcnt(4) lgkmcnt(4)
	v_cmp_gt_i16_sdwa s40, v81, v112 src0_sel:BYTE_0 src1_sel:DWORD
	s_mov_b32 s13, 0
	s_and_saveexec_b32 s41, s40
	s_xor_b32 s40, exec_lo, s41
	s_cbranch_execz .LBB4_2917
; %bb.2657:                             ;   in Loop: Header=BB4_2253 Depth=2
	v_cmp_eq_u16_sdwa s42, v81, v113 src0_sel:BYTE_0 src1_sel:DWORD
	s_mov_b32 s13, -1
	s_and_saveexec_b32 s41, s42
; %bb.2658:                             ;   in Loop: Header=BB4_2253 Depth=2
	s_xor_b32 s13, exec_lo, -1
; %bb.2659:                             ;   in Loop: Header=BB4_2253 Depth=2
	s_or_b32 exec_lo, exec_lo, s41
	s_and_b32 s13, s13, exec_lo
	s_or_saveexec_b32 s40, s40
	v_mov_b32_e32 v41, 0x7f800001
	s_xor_b32 exec_lo, exec_lo, s40
	s_cbranch_execnz .LBB4_2918
.LBB4_2660:                             ;   in Loop: Header=BB4_2253 Depth=2
	s_or_b32 exec_lo, exec_lo, s40
	s_and_saveexec_b32 s40, s13
	s_cbranch_execz .LBB4_2662
.LBB4_2661:                             ;   in Loop: Header=BB4_2253 Depth=2
	v_and_b32_e32 v41, 3, v81
	v_lshrrev_b16 v46, 2, v81
	v_lshlrev_b32_e32 v56, 24, v81
	v_ffbh_u32_e32 v44, v41
	v_and_b32_e32 v46, 31, v46
	v_min_u32_e32 v44, 32, v44
	v_cmp_eq_u32_e32 vcc_lo, 0, v46
	v_subrev_nc_u32_e32 v47, 29, v44
	v_sub_nc_u32_e32 v44, 30, v44
	v_lshlrev_b32_e32 v47, v47, v81
	v_cndmask_b32_e32 v44, v46, v44, vcc_lo
	v_and_b32_e32 v46, 0x80000000, v56
	v_and_b32_e32 v47, 3, v47
	v_lshl_add_u32 v44, v44, 23, 0x37800000
	v_cndmask_b32_e32 v41, v41, v47, vcc_lo
	v_lshlrev_b32_e32 v41, 21, v41
	v_or3_b32 v41, v46, v44, v41
.LBB4_2662:                             ;   in Loop: Header=BB4_2253 Depth=2
	s_or_b32 exec_lo, exec_lo, s40
	v_max_f32_e32 v41, v41, v41
	v_max_f32_e32 v118, v118, v118
	s_mov_b32 s13, 0
	v_max_f32_e32 v118, v118, v41
.LBB4_2663:                             ;   in Loop: Header=BB4_2253 Depth=2
	s_and_b32 vcc_lo, exec_lo, s13
	s_cbranch_vccz .LBB4_2677
; %bb.2664:                             ;   in Loop: Header=BB4_2253 Depth=2
	v_cmp_gt_i16_sdwa s40, v82, v112 src0_sel:BYTE_0 src1_sel:DWORD
	s_mov_b32 s13, 0
	s_and_saveexec_b32 s41, s40
	s_xor_b32 s40, exec_lo, s41
	s_cbranch_execz .LBB4_2919
; %bb.2665:                             ;   in Loop: Header=BB4_2253 Depth=2
	v_cmp_eq_u16_sdwa s42, v82, v113 src0_sel:BYTE_0 src1_sel:DWORD
	s_mov_b32 s13, -1
	s_and_saveexec_b32 s41, s42
; %bb.2666:                             ;   in Loop: Header=BB4_2253 Depth=2
	s_xor_b32 s13, exec_lo, -1
; %bb.2667:                             ;   in Loop: Header=BB4_2253 Depth=2
	s_or_b32 exec_lo, exec_lo, s41
	s_and_b32 s13, s13, exec_lo
	s_or_saveexec_b32 s40, s40
	v_mov_b32_e32 v118, 0x7f800001
	s_xor_b32 exec_lo, exec_lo, s40
	s_cbranch_execnz .LBB4_2920
.LBB4_2668:                             ;   in Loop: Header=BB4_2253 Depth=2
	s_or_b32 exec_lo, exec_lo, s40
	s_and_saveexec_b32 s40, s13
	s_cbranch_execz .LBB4_2670
.LBB4_2669:                             ;   in Loop: Header=BB4_2253 Depth=2
	v_and_b32_e32 v118, 3, v82
	v_lshrrev_b16 v44, 2, v82
	v_ffbh_u32_e32 v41, v118
	v_and_b32_e32 v44, 31, v44
	v_min_u32_e32 v41, 32, v41
	v_cmp_eq_u32_e32 vcc_lo, 0, v44
	v_subrev_nc_u32_e32 v46, 29, v41
	v_sub_nc_u32_e32 v41, 30, v41
	v_lshlrev_b32_e32 v46, v46, v82
	v_lshlrev_b32_e32 v82, 24, v82
	v_cndmask_b32_e32 v41, v44, v41, vcc_lo
	v_and_b32_e32 v46, 3, v46
	v_and_b32_e32 v82, 0x80000000, v82
	v_lshl_add_u32 v41, v41, 23, 0x37800000
	v_cndmask_b32_e32 v118, v118, v46, vcc_lo
	v_lshlrev_b32_e32 v118, 21, v118
	v_or3_b32 v118, v82, v41, v118
.LBB4_2670:                             ;   in Loop: Header=BB4_2253 Depth=2
	s_or_b32 exec_lo, exec_lo, s40
	s_waitcnt vmcnt(4) lgkmcnt(4)
	v_cmp_gt_i16_sdwa s40, v81, v112 src0_sel:BYTE_0 src1_sel:DWORD
	s_mov_b32 s13, 0
	s_and_saveexec_b32 s41, s40
	s_xor_b32 s40, exec_lo, s41
	s_cbranch_execz .LBB4_2921
; %bb.2671:                             ;   in Loop: Header=BB4_2253 Depth=2
	v_cmp_eq_u16_sdwa s42, v81, v113 src0_sel:BYTE_0 src1_sel:DWORD
	s_mov_b32 s13, -1
	s_and_saveexec_b32 s41, s42
; %bb.2672:                             ;   in Loop: Header=BB4_2253 Depth=2
	s_xor_b32 s13, exec_lo, -1
; %bb.2673:                             ;   in Loop: Header=BB4_2253 Depth=2
	s_or_b32 exec_lo, exec_lo, s41
	s_and_b32 s13, s13, exec_lo
	s_or_saveexec_b32 s40, s40
	v_mov_b32_e32 v82, 0x7f800001
	s_xor_b32 exec_lo, exec_lo, s40
	s_cbranch_execnz .LBB4_2922
.LBB4_2674:                             ;   in Loop: Header=BB4_2253 Depth=2
	s_or_b32 exec_lo, exec_lo, s40
	s_and_saveexec_b32 s40, s13
	s_cbranch_execz .LBB4_2676
.LBB4_2675:                             ;   in Loop: Header=BB4_2253 Depth=2
	v_and_b32_e32 v82, 3, v81
	v_lshrrev_b16 v44, 2, v81
	v_ffbh_u32_e32 v41, v82
	v_and_b32_e32 v44, 31, v44
	v_min_u32_e32 v41, 32, v41
	v_cmp_eq_u32_e32 vcc_lo, 0, v44
	v_subrev_nc_u32_e32 v46, 29, v41
	v_sub_nc_u32_e32 v41, 30, v41
	v_lshlrev_b32_e32 v46, v46, v81
	v_lshlrev_b32_e32 v81, 24, v81
	v_cndmask_b32_e32 v41, v44, v41, vcc_lo
	v_and_b32_e32 v46, 3, v46
	v_and_b32_e32 v81, 0x80000000, v81
	v_lshl_add_u32 v41, v41, 23, 0x37800000
	v_cndmask_b32_e32 v82, v82, v46, vcc_lo
	v_lshlrev_b32_e32 v82, 21, v82
	v_or3_b32 v82, v81, v41, v82
.LBB4_2676:                             ;   in Loop: Header=BB4_2253 Depth=2
	s_or_b32 exec_lo, exec_lo, s40
	v_max_f32_e32 v81, v82, v82
	v_max_f32_e32 v82, v118, v118
	v_min_f32_e32 v118, v82, v81
.LBB4_2677:                             ;   in Loop: Header=BB4_2253 Depth=2
	s_waitcnt vmcnt(4) lgkmcnt(4)
	v_and_b32_e32 v81, 0x7f800000, v118
	v_cmp_ne_u32_e32 vcc_lo, 0x7f800000, v81
	v_mov_b32_e32 v81, 0x80
	s_and_saveexec_b32 s40, vcc_lo
	s_cbranch_execz .LBB4_2685
; %bb.2678:                             ;   in Loop: Header=BB4_2253 Depth=2
	v_mov_b32_e32 v81, 0
	s_mov_b32 s41, exec_lo
	v_cmpx_ne_u32_e32 0, v118
	s_cbranch_execz .LBB4_2684
; %bb.2679:                             ;   in Loop: Header=BB4_2253 Depth=2
	v_bfe_u32 v81, v118, 23, 8
	v_and_b32_e32 v82, 0x7fffff, v118
	v_sub_nc_u32_e32 v41, 0x70, v81
	v_cmp_gt_u32_e32 vcc_lo, 0x71, v81
	v_or_b32_e32 v44, 0x800000, v82
	v_cndmask_b32_e32 v41, 0, v41, vcc_lo
	v_cmp_eq_u32_e32 vcc_lo, 0, v81
	v_add_nc_u32_e32 v81, 0xffffff91, v81
	v_cndmask_b32_e64 v41, v41, 0x6f, vcc_lo
	v_cndmask_b32_e32 v82, v44, v82, vcc_lo
	v_cndmask_b32_e64 v81, v81, 0xffffff92, vcc_lo
	v_lshl_add_u32 v44, 0x200000, v41, -1
	v_lshrrev_b32_e32 v46, v41, v82
	v_lshlrev_b32_e64 v56, v41, 0x100000
	v_add_nc_u32_e32 v41, v41, v81
	v_and_b32_e32 v82, v44, v82
	v_bfe_u32 v47, v46, 21, 1
	v_cmp_eq_u32_e64 s13, v82, v56
	v_add_nc_u32_e32 v44, -1, v47
	v_cndmask_b32_e64 v82, 0, v44, s13
	v_lshrrev_b32_e32 v44, 23, v46
	s_mov_b32 s13, exec_lo
	v_add_nc_u32_e32 v82, v82, v46
	v_xor_b32_e32 v44, 1, v44
	v_and_b32_e32 v81, 0x1fffff, v82
	v_add_nc_u32_e32 v82, v81, v46
                                        ; implicit-def: $vgpr81
	v_cmpx_ne_u32_e64 v41, v44
	s_xor_b32 s13, exec_lo, s13
; %bb.2680:                             ;   in Loop: Header=BB4_2253 Depth=2
	v_cmp_lt_u32_e32 vcc_lo, 0xffffff, v82
	v_sub_nc_u32_e32 v81, v41, v44
	v_cndmask_b32_e64 v41, 0, 1, vcc_lo
	v_add_co_ci_u32_e64 v81, null, 0, v81, vcc_lo
	v_lshrrev_b32_e32 v82, v41, v82
; %bb.2681:                             ;   in Loop: Header=BB4_2253 Depth=2
	s_andn2_saveexec_b32 s13, s13
; %bb.2682:                             ;   in Loop: Header=BB4_2253 Depth=2
	v_bfe_u32 v81, v82, 23, 1
; %bb.2683:                             ;   in Loop: Header=BB4_2253 Depth=2
	s_or_b32 exec_lo, exec_lo, s13
	v_lshrrev_b32_e32 v82, 21, v82
	v_cmp_gt_i32_e32 vcc_lo, 32, v81
	v_min_i32_e32 v41, 31, v81
	v_and_b32_sdwa v118, v118, v113 dst_sel:DWORD dst_unused:UNUSED_PAD src0_sel:BYTE_3 src1_sel:DWORD
	v_cndmask_b32_e32 v82, 3, v82, vcc_lo
	v_lshlrev_b32_e32 v41, 2, v41
	v_and_b32_e32 v44, 3, v82
	v_or_b32_e32 v81, v81, v82
	v_or3_b32 v82, v41, v118, v44
	v_cmp_ne_u32_e32 vcc_lo, 0, v81
	v_cndmask_b32_e32 v81, 0, v82, vcc_lo
.LBB4_2684:                             ;   in Loop: Header=BB4_2253 Depth=2
	s_or_b32 exec_lo, exec_lo, s41
.LBB4_2685:                             ;   in Loop: Header=BB4_2253 Depth=2
	s_or_b32 exec_lo, exec_lo, s40
	v_cmp_gt_i16_sdwa s40, v71, v112 src0_sel:BYTE_0 src1_sel:DWORD
	s_andn2_b32 vcc_lo, exec_lo, s28
	s_mov_b32 s13, -1
                                        ; implicit-def: $vgpr82
	s_cbranch_vccnz .LBB4_2699
; %bb.2686:                             ;   in Loop: Header=BB4_2253 Depth=2
	s_mov_b32 s13, 0
	s_and_saveexec_b32 s41, s40
	s_xor_b32 s40, exec_lo, s41
	s_cbranch_execz .LBB4_2923
; %bb.2687:                             ;   in Loop: Header=BB4_2253 Depth=2
	v_cmp_eq_u16_sdwa s42, v71, v113 src0_sel:BYTE_0 src1_sel:DWORD
	s_mov_b32 s13, -1
	s_and_saveexec_b32 s41, s42
; %bb.2688:                             ;   in Loop: Header=BB4_2253 Depth=2
	s_xor_b32 s13, exec_lo, -1
; %bb.2689:                             ;   in Loop: Header=BB4_2253 Depth=2
	s_or_b32 exec_lo, exec_lo, s41
	s_and_b32 s13, s13, exec_lo
	s_or_saveexec_b32 s40, s40
	v_mov_b32_e32 v82, 0x7f800001
	s_xor_b32 exec_lo, exec_lo, s40
	s_cbranch_execnz .LBB4_2924
.LBB4_2690:                             ;   in Loop: Header=BB4_2253 Depth=2
	s_or_b32 exec_lo, exec_lo, s40
	s_and_saveexec_b32 s40, s13
	s_cbranch_execz .LBB4_2692
.LBB4_2691:                             ;   in Loop: Header=BB4_2253 Depth=2
	v_and_b32_e32 v82, 3, v71
	v_lshrrev_b16 v41, 2, v71
	v_lshlrev_b32_e32 v46, 24, v71
	v_ffbh_u32_e32 v118, v82
	v_and_b32_e32 v41, 31, v41
	v_min_u32_e32 v118, 32, v118
	v_cmp_eq_u32_e32 vcc_lo, 0, v41
	v_subrev_nc_u32_e32 v44, 29, v118
	v_sub_nc_u32_e32 v118, 30, v118
	v_lshlrev_b32_e32 v44, v44, v71
	v_cndmask_b32_e32 v118, v41, v118, vcc_lo
	v_and_b32_e32 v41, 0x80000000, v46
	v_and_b32_e32 v44, 3, v44
	v_lshl_add_u32 v118, v118, 23, 0x37800000
	v_cndmask_b32_e32 v82, v82, v44, vcc_lo
	v_lshlrev_b32_e32 v82, 21, v82
	v_or3_b32 v82, v41, v118, v82
.LBB4_2692:                             ;   in Loop: Header=BB4_2253 Depth=2
	s_or_b32 exec_lo, exec_lo, s40
	s_waitcnt vmcnt(3) lgkmcnt(3)
	v_cmp_gt_i16_sdwa s40, v70, v112 src0_sel:BYTE_0 src1_sel:DWORD
	s_mov_b32 s13, 0
	s_and_saveexec_b32 s41, s40
	s_xor_b32 s40, exec_lo, s41
	s_cbranch_execz .LBB4_2925
; %bb.2693:                             ;   in Loop: Header=BB4_2253 Depth=2
	v_cmp_eq_u16_sdwa s42, v70, v113 src0_sel:BYTE_0 src1_sel:DWORD
	s_mov_b32 s13, -1
	s_and_saveexec_b32 s41, s42
; %bb.2694:                             ;   in Loop: Header=BB4_2253 Depth=2
	s_xor_b32 s13, exec_lo, -1
; %bb.2695:                             ;   in Loop: Header=BB4_2253 Depth=2
	s_or_b32 exec_lo, exec_lo, s41
	s_and_b32 s13, s13, exec_lo
	s_or_saveexec_b32 s40, s40
	v_mov_b32_e32 v118, 0x7f800001
	s_xor_b32 exec_lo, exec_lo, s40
	s_cbranch_execnz .LBB4_2926
.LBB4_2696:                             ;   in Loop: Header=BB4_2253 Depth=2
	s_or_b32 exec_lo, exec_lo, s40
	s_and_saveexec_b32 s40, s13
	s_cbranch_execz .LBB4_2698
.LBB4_2697:                             ;   in Loop: Header=BB4_2253 Depth=2
	v_and_b32_e32 v118, 3, v70
	v_lshrrev_b16 v44, 2, v70
	v_lshlrev_b32_e32 v47, 24, v70
	v_ffbh_u32_e32 v41, v118
	v_and_b32_e32 v44, 31, v44
	v_min_u32_e32 v41, 32, v41
	v_cmp_eq_u32_e32 vcc_lo, 0, v44
	v_subrev_nc_u32_e32 v46, 29, v41
	v_sub_nc_u32_e32 v41, 30, v41
	v_lshlrev_b32_e32 v46, v46, v70
	v_cndmask_b32_e32 v41, v44, v41, vcc_lo
	v_and_b32_e32 v44, 0x80000000, v47
	v_and_b32_e32 v46, 3, v46
	v_lshl_add_u32 v41, v41, 23, 0x37800000
	v_cndmask_b32_e32 v118, v118, v46, vcc_lo
	v_lshlrev_b32_e32 v118, 21, v118
	v_or3_b32 v118, v44, v41, v118
.LBB4_2698:                             ;   in Loop: Header=BB4_2253 Depth=2
	s_or_b32 exec_lo, exec_lo, s40
	v_max_f32_e32 v118, v118, v118
	v_max_f32_e32 v82, v82, v82
	s_mov_b32 s13, 0
	v_max_f32_e32 v82, v82, v118
.LBB4_2699:                             ;   in Loop: Header=BB4_2253 Depth=2
	s_and_b32 vcc_lo, exec_lo, s13
	s_cbranch_vccz .LBB4_2713
; %bb.2700:                             ;   in Loop: Header=BB4_2253 Depth=2
	v_cmp_gt_i16_sdwa s40, v71, v112 src0_sel:BYTE_0 src1_sel:DWORD
	s_mov_b32 s13, 0
	s_and_saveexec_b32 s41, s40
	s_xor_b32 s40, exec_lo, s41
	s_cbranch_execz .LBB4_2927
; %bb.2701:                             ;   in Loop: Header=BB4_2253 Depth=2
	v_cmp_eq_u16_sdwa s42, v71, v113 src0_sel:BYTE_0 src1_sel:DWORD
	s_mov_b32 s13, -1
	s_and_saveexec_b32 s41, s42
; %bb.2702:                             ;   in Loop: Header=BB4_2253 Depth=2
	s_xor_b32 s13, exec_lo, -1
; %bb.2703:                             ;   in Loop: Header=BB4_2253 Depth=2
	s_or_b32 exec_lo, exec_lo, s41
	s_and_b32 s13, s13, exec_lo
	s_or_saveexec_b32 s40, s40
	v_mov_b32_e32 v82, 0x7f800001
	s_xor_b32 exec_lo, exec_lo, s40
	s_cbranch_execnz .LBB4_2928
.LBB4_2704:                             ;   in Loop: Header=BB4_2253 Depth=2
	s_or_b32 exec_lo, exec_lo, s40
	s_and_saveexec_b32 s40, s13
	s_cbranch_execz .LBB4_2706
.LBB4_2705:                             ;   in Loop: Header=BB4_2253 Depth=2
	v_and_b32_e32 v82, 3, v71
	v_lshrrev_b16 v41, 2, v71
	v_ffbh_u32_e32 v118, v82
	v_and_b32_e32 v41, 31, v41
	v_min_u32_e32 v118, 32, v118
	v_cmp_eq_u32_e32 vcc_lo, 0, v41
	v_subrev_nc_u32_e32 v44, 29, v118
	v_sub_nc_u32_e32 v118, 30, v118
	v_lshlrev_b32_e32 v44, v44, v71
	v_lshlrev_b32_e32 v71, 24, v71
	v_cndmask_b32_e32 v118, v41, v118, vcc_lo
	v_and_b32_e32 v44, 3, v44
	v_and_b32_e32 v71, 0x80000000, v71
	v_lshl_add_u32 v118, v118, 23, 0x37800000
	v_cndmask_b32_e32 v82, v82, v44, vcc_lo
	v_lshlrev_b32_e32 v82, 21, v82
	v_or3_b32 v82, v71, v118, v82
.LBB4_2706:                             ;   in Loop: Header=BB4_2253 Depth=2
	s_or_b32 exec_lo, exec_lo, s40
	s_waitcnt vmcnt(3) lgkmcnt(3)
	v_cmp_gt_i16_sdwa s40, v70, v112 src0_sel:BYTE_0 src1_sel:DWORD
	s_mov_b32 s13, 0
	s_and_saveexec_b32 s41, s40
	s_xor_b32 s40, exec_lo, s41
	s_cbranch_execz .LBB4_2929
; %bb.2707:                             ;   in Loop: Header=BB4_2253 Depth=2
	v_cmp_eq_u16_sdwa s42, v70, v113 src0_sel:BYTE_0 src1_sel:DWORD
	s_mov_b32 s13, -1
	s_and_saveexec_b32 s41, s42
; %bb.2708:                             ;   in Loop: Header=BB4_2253 Depth=2
	s_xor_b32 s13, exec_lo, -1
; %bb.2709:                             ;   in Loop: Header=BB4_2253 Depth=2
	s_or_b32 exec_lo, exec_lo, s41
	s_and_b32 s13, s13, exec_lo
	s_or_saveexec_b32 s40, s40
	v_mov_b32_e32 v71, 0x7f800001
	s_xor_b32 exec_lo, exec_lo, s40
	s_cbranch_execnz .LBB4_2930
.LBB4_2710:                             ;   in Loop: Header=BB4_2253 Depth=2
	s_or_b32 exec_lo, exec_lo, s40
	s_and_saveexec_b32 s40, s13
	s_cbranch_execz .LBB4_2712
.LBB4_2711:                             ;   in Loop: Header=BB4_2253 Depth=2
	v_and_b32_e32 v71, 3, v70
	v_lshrrev_b16 v41, 2, v70
	v_ffbh_u32_e32 v118, v71
	v_and_b32_e32 v41, 31, v41
	v_min_u32_e32 v118, 32, v118
	v_cmp_eq_u32_e32 vcc_lo, 0, v41
	v_subrev_nc_u32_e32 v44, 29, v118
	v_sub_nc_u32_e32 v118, 30, v118
	v_lshlrev_b32_e32 v44, v44, v70
	v_lshlrev_b32_e32 v70, 24, v70
	v_cndmask_b32_e32 v118, v41, v118, vcc_lo
	v_and_b32_e32 v44, 3, v44
	v_and_b32_e32 v70, 0x80000000, v70
	v_lshl_add_u32 v118, v118, 23, 0x37800000
	v_cndmask_b32_e32 v71, v71, v44, vcc_lo
	v_lshlrev_b32_e32 v71, 21, v71
	v_or3_b32 v71, v70, v118, v71
.LBB4_2712:                             ;   in Loop: Header=BB4_2253 Depth=2
	s_or_b32 exec_lo, exec_lo, s40
	v_max_f32_e32 v70, v71, v71
	v_max_f32_e32 v71, v82, v82
	v_min_f32_e32 v82, v71, v70
.LBB4_2713:                             ;   in Loop: Header=BB4_2253 Depth=2
	s_waitcnt vmcnt(3) lgkmcnt(3)
	v_and_b32_e32 v70, 0x7f800000, v82
	v_cmp_ne_u32_e32 vcc_lo, 0x7f800000, v70
	v_mov_b32_e32 v70, 0x80
	s_and_saveexec_b32 s40, vcc_lo
	s_cbranch_execz .LBB4_2721
; %bb.2714:                             ;   in Loop: Header=BB4_2253 Depth=2
	v_mov_b32_e32 v70, 0
	s_mov_b32 s41, exec_lo
	v_cmpx_ne_u32_e32 0, v82
	s_cbranch_execz .LBB4_2720
; %bb.2715:                             ;   in Loop: Header=BB4_2253 Depth=2
	v_bfe_u32 v70, v82, 23, 8
	v_and_b32_e32 v71, 0x7fffff, v82
	v_sub_nc_u32_e32 v118, 0x70, v70
	v_cmp_gt_u32_e32 vcc_lo, 0x71, v70
	v_or_b32_e32 v41, 0x800000, v71
	v_cndmask_b32_e32 v118, 0, v118, vcc_lo
	v_cmp_eq_u32_e32 vcc_lo, 0, v70
	v_add_nc_u32_e32 v70, 0xffffff91, v70
	v_cndmask_b32_e64 v118, v118, 0x6f, vcc_lo
	v_cndmask_b32_e32 v71, v41, v71, vcc_lo
	v_cndmask_b32_e64 v70, v70, 0xffffff92, vcc_lo
	v_lshl_add_u32 v41, 0x200000, v118, -1
	v_lshrrev_b32_e32 v44, v118, v71
	v_lshlrev_b32_e64 v47, v118, 0x100000
	v_add_nc_u32_e32 v118, v118, v70
	v_and_b32_e32 v71, v41, v71
	v_bfe_u32 v46, v44, 21, 1
	v_cmp_eq_u32_e64 s13, v71, v47
	v_add_nc_u32_e32 v41, -1, v46
	v_cndmask_b32_e64 v71, 0, v41, s13
	v_lshrrev_b32_e32 v41, 23, v44
	s_mov_b32 s13, exec_lo
	v_add_nc_u32_e32 v71, v71, v44
	v_xor_b32_e32 v41, 1, v41
	v_and_b32_e32 v70, 0x1fffff, v71
	v_add_nc_u32_e32 v71, v70, v44
                                        ; implicit-def: $vgpr70
	v_cmpx_ne_u32_e64 v118, v41
	s_xor_b32 s13, exec_lo, s13
; %bb.2716:                             ;   in Loop: Header=BB4_2253 Depth=2
	v_cmp_lt_u32_e32 vcc_lo, 0xffffff, v71
	v_sub_nc_u32_e32 v70, v118, v41
	v_cndmask_b32_e64 v118, 0, 1, vcc_lo
	v_add_co_ci_u32_e64 v70, null, 0, v70, vcc_lo
	v_lshrrev_b32_e32 v71, v118, v71
; %bb.2717:                             ;   in Loop: Header=BB4_2253 Depth=2
	s_andn2_saveexec_b32 s13, s13
; %bb.2718:                             ;   in Loop: Header=BB4_2253 Depth=2
	v_bfe_u32 v70, v71, 23, 1
; %bb.2719:                             ;   in Loop: Header=BB4_2253 Depth=2
	s_or_b32 exec_lo, exec_lo, s13
	v_lshrrev_b32_e32 v71, 21, v71
	v_cmp_gt_i32_e32 vcc_lo, 32, v70
	v_min_i32_e32 v118, 31, v70
	v_and_b32_sdwa v82, v82, v113 dst_sel:DWORD dst_unused:UNUSED_PAD src0_sel:BYTE_3 src1_sel:DWORD
	v_cndmask_b32_e32 v71, 3, v71, vcc_lo
	v_lshlrev_b32_e32 v118, 2, v118
	v_and_b32_e32 v41, 3, v71
	v_or_b32_e32 v70, v70, v71
	v_or3_b32 v71, v118, v82, v41
	v_cmp_ne_u32_e32 vcc_lo, 0, v70
	v_cndmask_b32_e32 v70, 0, v71, vcc_lo
.LBB4_2720:                             ;   in Loop: Header=BB4_2253 Depth=2
	s_or_b32 exec_lo, exec_lo, s41
.LBB4_2721:                             ;   in Loop: Header=BB4_2253 Depth=2
	s_or_b32 exec_lo, exec_lo, s40
	v_cmp_gt_i16_sdwa s40, v68, v112 src0_sel:BYTE_0 src1_sel:DWORD
	s_andn2_b32 vcc_lo, exec_lo, s28
	s_mov_b32 s13, -1
                                        ; implicit-def: $vgpr71
	s_cbranch_vccnz .LBB4_2735
; %bb.2722:                             ;   in Loop: Header=BB4_2253 Depth=2
	s_mov_b32 s13, 0
	s_and_saveexec_b32 s41, s40
	s_xor_b32 s40, exec_lo, s41
	s_cbranch_execz .LBB4_2931
; %bb.2723:                             ;   in Loop: Header=BB4_2253 Depth=2
	v_cmp_eq_u16_sdwa s42, v68, v113 src0_sel:BYTE_0 src1_sel:DWORD
	s_mov_b32 s13, -1
	s_and_saveexec_b32 s41, s42
; %bb.2724:                             ;   in Loop: Header=BB4_2253 Depth=2
	s_xor_b32 s13, exec_lo, -1
; %bb.2725:                             ;   in Loop: Header=BB4_2253 Depth=2
	s_or_b32 exec_lo, exec_lo, s41
	s_and_b32 s13, s13, exec_lo
	s_or_saveexec_b32 s40, s40
	v_mov_b32_e32 v71, 0x7f800001
	s_xor_b32 exec_lo, exec_lo, s40
	s_cbranch_execnz .LBB4_2932
.LBB4_2726:                             ;   in Loop: Header=BB4_2253 Depth=2
	s_or_b32 exec_lo, exec_lo, s40
	s_and_saveexec_b32 s40, s13
	s_cbranch_execz .LBB4_2728
.LBB4_2727:                             ;   in Loop: Header=BB4_2253 Depth=2
	v_and_b32_e32 v71, 3, v68
	v_lshrrev_b16 v118, 2, v68
	v_lshlrev_b32_e32 v44, 24, v68
	v_ffbh_u32_e32 v82, v71
	v_and_b32_e32 v118, 31, v118
	v_min_u32_e32 v82, 32, v82
	v_cmp_eq_u32_e32 vcc_lo, 0, v118
	v_subrev_nc_u32_e32 v41, 29, v82
	v_sub_nc_u32_e32 v82, 30, v82
	v_lshlrev_b32_e32 v41, v41, v68
	v_cndmask_b32_e32 v82, v118, v82, vcc_lo
	v_and_b32_e32 v118, 0x80000000, v44
	v_and_b32_e32 v41, 3, v41
	v_lshl_add_u32 v82, v82, 23, 0x37800000
	v_cndmask_b32_e32 v71, v71, v41, vcc_lo
	v_lshlrev_b32_e32 v71, 21, v71
	v_or3_b32 v71, v118, v82, v71
.LBB4_2728:                             ;   in Loop: Header=BB4_2253 Depth=2
	s_or_b32 exec_lo, exec_lo, s40
	s_waitcnt vmcnt(2) lgkmcnt(2)
	v_cmp_gt_i16_sdwa s40, v67, v112 src0_sel:BYTE_0 src1_sel:DWORD
	s_mov_b32 s13, 0
	s_and_saveexec_b32 s41, s40
	s_xor_b32 s40, exec_lo, s41
	s_cbranch_execz .LBB4_2933
; %bb.2729:                             ;   in Loop: Header=BB4_2253 Depth=2
	v_cmp_eq_u16_sdwa s42, v67, v113 src0_sel:BYTE_0 src1_sel:DWORD
	s_mov_b32 s13, -1
	s_and_saveexec_b32 s41, s42
; %bb.2730:                             ;   in Loop: Header=BB4_2253 Depth=2
	s_xor_b32 s13, exec_lo, -1
; %bb.2731:                             ;   in Loop: Header=BB4_2253 Depth=2
	s_or_b32 exec_lo, exec_lo, s41
	s_and_b32 s13, s13, exec_lo
	s_or_saveexec_b32 s40, s40
	v_mov_b32_e32 v82, 0x7f800001
	s_xor_b32 exec_lo, exec_lo, s40
	s_cbranch_execnz .LBB4_2934
.LBB4_2732:                             ;   in Loop: Header=BB4_2253 Depth=2
	s_or_b32 exec_lo, exec_lo, s40
	s_and_saveexec_b32 s40, s13
	s_cbranch_execz .LBB4_2734
.LBB4_2733:                             ;   in Loop: Header=BB4_2253 Depth=2
	v_and_b32_e32 v82, 3, v67
	v_lshrrev_b16 v41, 2, v67
	v_lshlrev_b32_e32 v46, 24, v67
	v_ffbh_u32_e32 v118, v82
	v_and_b32_e32 v41, 31, v41
	v_min_u32_e32 v118, 32, v118
	v_cmp_eq_u32_e32 vcc_lo, 0, v41
	v_subrev_nc_u32_e32 v44, 29, v118
	v_sub_nc_u32_e32 v118, 30, v118
	v_lshlrev_b32_e32 v44, v44, v67
	v_cndmask_b32_e32 v118, v41, v118, vcc_lo
	v_and_b32_e32 v41, 0x80000000, v46
	v_and_b32_e32 v44, 3, v44
	v_lshl_add_u32 v118, v118, 23, 0x37800000
	v_cndmask_b32_e32 v82, v82, v44, vcc_lo
	v_lshlrev_b32_e32 v82, 21, v82
	v_or3_b32 v82, v41, v118, v82
.LBB4_2734:                             ;   in Loop: Header=BB4_2253 Depth=2
	s_or_b32 exec_lo, exec_lo, s40
	v_max_f32_e32 v82, v82, v82
	v_max_f32_e32 v71, v71, v71
	s_mov_b32 s13, 0
	v_max_f32_e32 v71, v71, v82
.LBB4_2735:                             ;   in Loop: Header=BB4_2253 Depth=2
	s_and_b32 vcc_lo, exec_lo, s13
	s_cbranch_vccz .LBB4_2749
; %bb.2736:                             ;   in Loop: Header=BB4_2253 Depth=2
	v_cmp_gt_i16_sdwa s40, v68, v112 src0_sel:BYTE_0 src1_sel:DWORD
	s_mov_b32 s13, 0
	s_and_saveexec_b32 s41, s40
	s_xor_b32 s40, exec_lo, s41
	s_cbranch_execz .LBB4_2935
; %bb.2737:                             ;   in Loop: Header=BB4_2253 Depth=2
	v_cmp_eq_u16_sdwa s42, v68, v113 src0_sel:BYTE_0 src1_sel:DWORD
	s_mov_b32 s13, -1
	s_and_saveexec_b32 s41, s42
; %bb.2738:                             ;   in Loop: Header=BB4_2253 Depth=2
	s_xor_b32 s13, exec_lo, -1
; %bb.2739:                             ;   in Loop: Header=BB4_2253 Depth=2
	s_or_b32 exec_lo, exec_lo, s41
	s_and_b32 s13, s13, exec_lo
	s_or_saveexec_b32 s40, s40
	v_mov_b32_e32 v71, 0x7f800001
	s_xor_b32 exec_lo, exec_lo, s40
	s_cbranch_execnz .LBB4_2936
.LBB4_2740:                             ;   in Loop: Header=BB4_2253 Depth=2
	s_or_b32 exec_lo, exec_lo, s40
	s_and_saveexec_b32 s40, s13
	s_cbranch_execz .LBB4_2742
.LBB4_2741:                             ;   in Loop: Header=BB4_2253 Depth=2
	v_and_b32_e32 v71, 3, v68
	v_lshrrev_b16 v118, 2, v68
	v_ffbh_u32_e32 v82, v71
	v_and_b32_e32 v118, 31, v118
	v_min_u32_e32 v82, 32, v82
	v_cmp_eq_u32_e32 vcc_lo, 0, v118
	v_subrev_nc_u32_e32 v41, 29, v82
	v_sub_nc_u32_e32 v82, 30, v82
	v_lshlrev_b32_e32 v41, v41, v68
	v_lshlrev_b32_e32 v68, 24, v68
	v_cndmask_b32_e32 v82, v118, v82, vcc_lo
	v_and_b32_e32 v41, 3, v41
	v_and_b32_e32 v68, 0x80000000, v68
	v_lshl_add_u32 v82, v82, 23, 0x37800000
	v_cndmask_b32_e32 v71, v71, v41, vcc_lo
	v_lshlrev_b32_e32 v71, 21, v71
	v_or3_b32 v71, v68, v82, v71
.LBB4_2742:                             ;   in Loop: Header=BB4_2253 Depth=2
	s_or_b32 exec_lo, exec_lo, s40
	s_waitcnt vmcnt(2) lgkmcnt(2)
	v_cmp_gt_i16_sdwa s40, v67, v112 src0_sel:BYTE_0 src1_sel:DWORD
	s_mov_b32 s13, 0
	s_and_saveexec_b32 s41, s40
	s_xor_b32 s40, exec_lo, s41
	s_cbranch_execz .LBB4_2937
; %bb.2743:                             ;   in Loop: Header=BB4_2253 Depth=2
	v_cmp_eq_u16_sdwa s42, v67, v113 src0_sel:BYTE_0 src1_sel:DWORD
	s_mov_b32 s13, -1
	s_and_saveexec_b32 s41, s42
; %bb.2744:                             ;   in Loop: Header=BB4_2253 Depth=2
	s_xor_b32 s13, exec_lo, -1
; %bb.2745:                             ;   in Loop: Header=BB4_2253 Depth=2
	s_or_b32 exec_lo, exec_lo, s41
	s_and_b32 s13, s13, exec_lo
	s_or_saveexec_b32 s40, s40
	v_mov_b32_e32 v68, 0x7f800001
	s_xor_b32 exec_lo, exec_lo, s40
	s_cbranch_execnz .LBB4_2938
.LBB4_2746:                             ;   in Loop: Header=BB4_2253 Depth=2
	s_or_b32 exec_lo, exec_lo, s40
	s_and_saveexec_b32 s40, s13
	s_cbranch_execz .LBB4_2748
.LBB4_2747:                             ;   in Loop: Header=BB4_2253 Depth=2
	v_and_b32_e32 v68, 3, v67
	v_lshrrev_b16 v118, 2, v67
	v_ffbh_u32_e32 v82, v68
	v_and_b32_e32 v118, 31, v118
	v_min_u32_e32 v82, 32, v82
	v_cmp_eq_u32_e32 vcc_lo, 0, v118
	v_subrev_nc_u32_e32 v41, 29, v82
	v_sub_nc_u32_e32 v82, 30, v82
	v_lshlrev_b32_e32 v41, v41, v67
	v_lshlrev_b32_e32 v67, 24, v67
	v_cndmask_b32_e32 v82, v118, v82, vcc_lo
	v_and_b32_e32 v41, 3, v41
	v_and_b32_e32 v67, 0x80000000, v67
	v_lshl_add_u32 v82, v82, 23, 0x37800000
	v_cndmask_b32_e32 v68, v68, v41, vcc_lo
	v_lshlrev_b32_e32 v68, 21, v68
	v_or3_b32 v68, v67, v82, v68
.LBB4_2748:                             ;   in Loop: Header=BB4_2253 Depth=2
	s_or_b32 exec_lo, exec_lo, s40
	v_max_f32_e32 v67, v68, v68
	v_max_f32_e32 v68, v71, v71
	v_min_f32_e32 v71, v68, v67
.LBB4_2749:                             ;   in Loop: Header=BB4_2253 Depth=2
	s_waitcnt vmcnt(2) lgkmcnt(2)
	v_and_b32_e32 v67, 0x7f800000, v71
	v_cmp_ne_u32_e32 vcc_lo, 0x7f800000, v67
	v_mov_b32_e32 v67, 0x80
	s_and_saveexec_b32 s40, vcc_lo
	s_cbranch_execz .LBB4_2757
; %bb.2750:                             ;   in Loop: Header=BB4_2253 Depth=2
	v_mov_b32_e32 v67, 0
	s_mov_b32 s41, exec_lo
	v_cmpx_ne_u32_e32 0, v71
	s_cbranch_execz .LBB4_2756
; %bb.2751:                             ;   in Loop: Header=BB4_2253 Depth=2
	v_bfe_u32 v67, v71, 23, 8
	v_and_b32_e32 v68, 0x7fffff, v71
	v_sub_nc_u32_e32 v82, 0x70, v67
	v_cmp_gt_u32_e32 vcc_lo, 0x71, v67
	v_or_b32_e32 v118, 0x800000, v68
	v_cndmask_b32_e32 v82, 0, v82, vcc_lo
	v_cmp_eq_u32_e32 vcc_lo, 0, v67
	v_add_nc_u32_e32 v67, 0xffffff91, v67
	v_cndmask_b32_e64 v82, v82, 0x6f, vcc_lo
	v_cndmask_b32_e32 v68, v118, v68, vcc_lo
	v_cndmask_b32_e64 v67, v67, 0xffffff92, vcc_lo
	v_lshl_add_u32 v118, 0x200000, v82, -1
	v_lshrrev_b32_e32 v41, v82, v68
	v_lshlrev_b32_e64 v46, v82, 0x100000
	v_add_nc_u32_e32 v82, v82, v67
	v_and_b32_e32 v68, v118, v68
	v_bfe_u32 v44, v41, 21, 1
	v_cmp_eq_u32_e64 s13, v68, v46
	v_add_nc_u32_e32 v118, -1, v44
	v_cndmask_b32_e64 v68, 0, v118, s13
	v_lshrrev_b32_e32 v118, 23, v41
	s_mov_b32 s13, exec_lo
	v_add_nc_u32_e32 v68, v68, v41
	v_xor_b32_e32 v118, 1, v118
	v_and_b32_e32 v67, 0x1fffff, v68
	v_add_nc_u32_e32 v68, v67, v41
                                        ; implicit-def: $vgpr67
	v_cmpx_ne_u32_e64 v82, v118
	s_xor_b32 s13, exec_lo, s13
; %bb.2752:                             ;   in Loop: Header=BB4_2253 Depth=2
	v_cmp_lt_u32_e32 vcc_lo, 0xffffff, v68
	v_sub_nc_u32_e32 v67, v82, v118
	v_cndmask_b32_e64 v82, 0, 1, vcc_lo
	v_add_co_ci_u32_e64 v67, null, 0, v67, vcc_lo
	v_lshrrev_b32_e32 v68, v82, v68
; %bb.2753:                             ;   in Loop: Header=BB4_2253 Depth=2
	s_andn2_saveexec_b32 s13, s13
; %bb.2754:                             ;   in Loop: Header=BB4_2253 Depth=2
	v_bfe_u32 v67, v68, 23, 1
; %bb.2755:                             ;   in Loop: Header=BB4_2253 Depth=2
	s_or_b32 exec_lo, exec_lo, s13
	v_lshrrev_b32_e32 v68, 21, v68
	v_cmp_gt_i32_e32 vcc_lo, 32, v67
	v_min_i32_e32 v82, 31, v67
	v_and_b32_sdwa v71, v71, v113 dst_sel:DWORD dst_unused:UNUSED_PAD src0_sel:BYTE_3 src1_sel:DWORD
	v_cndmask_b32_e32 v68, 3, v68, vcc_lo
	v_lshlrev_b32_e32 v82, 2, v82
	v_and_b32_e32 v118, 3, v68
	v_or_b32_e32 v67, v67, v68
	v_or3_b32 v68, v82, v71, v118
	v_cmp_ne_u32_e32 vcc_lo, 0, v67
	v_cndmask_b32_e32 v67, 0, v68, vcc_lo
.LBB4_2756:                             ;   in Loop: Header=BB4_2253 Depth=2
	s_or_b32 exec_lo, exec_lo, s41
.LBB4_2757:                             ;   in Loop: Header=BB4_2253 Depth=2
	s_or_b32 exec_lo, exec_lo, s40
	v_cmp_gt_i16_sdwa s40, v25, v112 src0_sel:BYTE_0 src1_sel:DWORD
	s_andn2_b32 vcc_lo, exec_lo, s28
	s_mov_b32 s13, -1
                                        ; implicit-def: $vgpr68
	s_cbranch_vccnz .LBB4_2771
; %bb.2758:                             ;   in Loop: Header=BB4_2253 Depth=2
	s_mov_b32 s13, 0
	s_and_saveexec_b32 s41, s40
	s_xor_b32 s40, exec_lo, s41
	s_cbranch_execz .LBB4_2939
; %bb.2759:                             ;   in Loop: Header=BB4_2253 Depth=2
	v_cmp_eq_u16_sdwa s42, v25, v113 src0_sel:BYTE_0 src1_sel:DWORD
	s_mov_b32 s13, -1
	s_and_saveexec_b32 s41, s42
; %bb.2760:                             ;   in Loop: Header=BB4_2253 Depth=2
	s_xor_b32 s13, exec_lo, -1
; %bb.2761:                             ;   in Loop: Header=BB4_2253 Depth=2
	s_or_b32 exec_lo, exec_lo, s41
	s_and_b32 s13, s13, exec_lo
	s_or_saveexec_b32 s40, s40
	v_mov_b32_e32 v68, 0x7f800001
	s_xor_b32 exec_lo, exec_lo, s40
	s_cbranch_execnz .LBB4_2940
.LBB4_2762:                             ;   in Loop: Header=BB4_2253 Depth=2
	s_or_b32 exec_lo, exec_lo, s40
	s_and_saveexec_b32 s40, s13
	s_cbranch_execz .LBB4_2764
.LBB4_2763:                             ;   in Loop: Header=BB4_2253 Depth=2
	v_and_b32_e32 v68, 3, v25
	v_lshrrev_b16 v82, 2, v25
	v_lshlrev_b32_e32 v41, 24, v25
	v_ffbh_u32_e32 v71, v68
	v_and_b32_e32 v82, 31, v82
	v_min_u32_e32 v71, 32, v71
	v_cmp_eq_u32_e32 vcc_lo, 0, v82
	v_subrev_nc_u32_e32 v118, 29, v71
	v_sub_nc_u32_e32 v71, 30, v71
	v_lshlrev_b32_e32 v118, v118, v25
	v_cndmask_b32_e32 v71, v82, v71, vcc_lo
	v_and_b32_e32 v82, 0x80000000, v41
	v_and_b32_e32 v118, 3, v118
	v_lshl_add_u32 v71, v71, 23, 0x37800000
	v_cndmask_b32_e32 v68, v68, v118, vcc_lo
	v_lshlrev_b32_e32 v68, 21, v68
	v_or3_b32 v68, v82, v71, v68
.LBB4_2764:                             ;   in Loop: Header=BB4_2253 Depth=2
	s_or_b32 exec_lo, exec_lo, s40
	s_waitcnt vmcnt(1) lgkmcnt(1)
	v_cmp_gt_i16_sdwa s40, v24, v112 src0_sel:BYTE_0 src1_sel:DWORD
	s_mov_b32 s13, 0
	s_and_saveexec_b32 s41, s40
	s_xor_b32 s40, exec_lo, s41
	s_cbranch_execz .LBB4_2941
; %bb.2765:                             ;   in Loop: Header=BB4_2253 Depth=2
	v_cmp_eq_u16_sdwa s42, v24, v113 src0_sel:BYTE_0 src1_sel:DWORD
	s_mov_b32 s13, -1
	s_and_saveexec_b32 s41, s42
; %bb.2766:                             ;   in Loop: Header=BB4_2253 Depth=2
	s_xor_b32 s13, exec_lo, -1
; %bb.2767:                             ;   in Loop: Header=BB4_2253 Depth=2
	s_or_b32 exec_lo, exec_lo, s41
	s_and_b32 s13, s13, exec_lo
	s_or_saveexec_b32 s40, s40
	v_mov_b32_e32 v71, 0x7f800001
	s_xor_b32 exec_lo, exec_lo, s40
	s_cbranch_execnz .LBB4_2942
.LBB4_2768:                             ;   in Loop: Header=BB4_2253 Depth=2
	s_or_b32 exec_lo, exec_lo, s40
	s_and_saveexec_b32 s40, s13
	s_cbranch_execz .LBB4_2770
.LBB4_2769:                             ;   in Loop: Header=BB4_2253 Depth=2
	v_and_b32_e32 v71, 3, v24
	v_lshrrev_b16 v118, 2, v24
	v_lshlrev_b32_e32 v44, 24, v24
	v_ffbh_u32_e32 v82, v71
	v_and_b32_e32 v118, 31, v118
	v_min_u32_e32 v82, 32, v82
	v_cmp_eq_u32_e32 vcc_lo, 0, v118
	v_subrev_nc_u32_e32 v41, 29, v82
	v_sub_nc_u32_e32 v82, 30, v82
	v_lshlrev_b32_e32 v41, v41, v24
	v_cndmask_b32_e32 v82, v118, v82, vcc_lo
	v_and_b32_e32 v118, 0x80000000, v44
	v_and_b32_e32 v41, 3, v41
	v_lshl_add_u32 v82, v82, 23, 0x37800000
	v_cndmask_b32_e32 v71, v71, v41, vcc_lo
	v_lshlrev_b32_e32 v71, 21, v71
	v_or3_b32 v71, v118, v82, v71
.LBB4_2770:                             ;   in Loop: Header=BB4_2253 Depth=2
	s_or_b32 exec_lo, exec_lo, s40
	v_max_f32_e32 v71, v71, v71
	v_max_f32_e32 v68, v68, v68
	s_mov_b32 s13, 0
	v_max_f32_e32 v68, v68, v71
.LBB4_2771:                             ;   in Loop: Header=BB4_2253 Depth=2
	s_and_b32 vcc_lo, exec_lo, s13
	s_cbranch_vccz .LBB4_2785
; %bb.2772:                             ;   in Loop: Header=BB4_2253 Depth=2
	v_cmp_gt_i16_sdwa s40, v25, v112 src0_sel:BYTE_0 src1_sel:DWORD
	s_mov_b32 s13, 0
	s_and_saveexec_b32 s41, s40
	s_xor_b32 s40, exec_lo, s41
	s_cbranch_execz .LBB4_2943
; %bb.2773:                             ;   in Loop: Header=BB4_2253 Depth=2
	v_cmp_eq_u16_sdwa s42, v25, v113 src0_sel:BYTE_0 src1_sel:DWORD
	s_mov_b32 s13, -1
	s_and_saveexec_b32 s41, s42
; %bb.2774:                             ;   in Loop: Header=BB4_2253 Depth=2
	s_xor_b32 s13, exec_lo, -1
; %bb.2775:                             ;   in Loop: Header=BB4_2253 Depth=2
	s_or_b32 exec_lo, exec_lo, s41
	s_and_b32 s13, s13, exec_lo
	s_or_saveexec_b32 s40, s40
	v_mov_b32_e32 v68, 0x7f800001
	s_xor_b32 exec_lo, exec_lo, s40
	s_cbranch_execnz .LBB4_2944
.LBB4_2776:                             ;   in Loop: Header=BB4_2253 Depth=2
	s_or_b32 exec_lo, exec_lo, s40
	s_and_saveexec_b32 s40, s13
	s_cbranch_execz .LBB4_2778
.LBB4_2777:                             ;   in Loop: Header=BB4_2253 Depth=2
	v_and_b32_e32 v68, 3, v25
	v_lshrrev_b16 v82, 2, v25
	v_ffbh_u32_e32 v71, v68
	v_and_b32_e32 v82, 31, v82
	v_min_u32_e32 v71, 32, v71
	v_cmp_eq_u32_e32 vcc_lo, 0, v82
	v_subrev_nc_u32_e32 v118, 29, v71
	v_sub_nc_u32_e32 v71, 30, v71
	v_lshlrev_b32_e32 v118, v118, v25
	v_lshlrev_b32_e32 v25, 24, v25
	v_cndmask_b32_e32 v71, v82, v71, vcc_lo
	v_and_b32_e32 v118, 3, v118
	v_and_b32_e32 v25, 0x80000000, v25
	v_lshl_add_u32 v71, v71, 23, 0x37800000
	v_cndmask_b32_e32 v68, v68, v118, vcc_lo
	v_lshlrev_b32_e32 v68, 21, v68
	v_or3_b32 v68, v25, v71, v68
.LBB4_2778:                             ;   in Loop: Header=BB4_2253 Depth=2
	s_or_b32 exec_lo, exec_lo, s40
	s_waitcnt vmcnt(1) lgkmcnt(1)
	v_cmp_gt_i16_sdwa s40, v24, v112 src0_sel:BYTE_0 src1_sel:DWORD
	s_mov_b32 s13, 0
	s_and_saveexec_b32 s41, s40
	s_xor_b32 s40, exec_lo, s41
	s_cbranch_execz .LBB4_2945
; %bb.2779:                             ;   in Loop: Header=BB4_2253 Depth=2
	v_cmp_eq_u16_sdwa s42, v24, v113 src0_sel:BYTE_0 src1_sel:DWORD
	s_mov_b32 s13, -1
	s_and_saveexec_b32 s41, s42
; %bb.2780:                             ;   in Loop: Header=BB4_2253 Depth=2
	s_xor_b32 s13, exec_lo, -1
; %bb.2781:                             ;   in Loop: Header=BB4_2253 Depth=2
	s_or_b32 exec_lo, exec_lo, s41
	s_and_b32 s13, s13, exec_lo
	s_or_saveexec_b32 s40, s40
	v_mov_b32_e32 v25, 0x7f800001
	s_xor_b32 exec_lo, exec_lo, s40
	s_cbranch_execnz .LBB4_2946
.LBB4_2782:                             ;   in Loop: Header=BB4_2253 Depth=2
	s_or_b32 exec_lo, exec_lo, s40
	s_and_saveexec_b32 s40, s13
	s_cbranch_execz .LBB4_2784
.LBB4_2783:                             ;   in Loop: Header=BB4_2253 Depth=2
	v_and_b32_e32 v25, 3, v24
	v_lshrrev_b16 v82, 2, v24
	v_ffbh_u32_e32 v71, v25
	v_and_b32_e32 v82, 31, v82
	v_min_u32_e32 v71, 32, v71
	v_cmp_eq_u32_e32 vcc_lo, 0, v82
	v_subrev_nc_u32_e32 v118, 29, v71
	v_sub_nc_u32_e32 v71, 30, v71
	v_lshlrev_b32_e32 v118, v118, v24
	v_lshlrev_b32_e32 v24, 24, v24
	v_cndmask_b32_e32 v71, v82, v71, vcc_lo
	v_and_b32_e32 v118, 3, v118
	v_and_b32_e32 v24, 0x80000000, v24
	v_lshl_add_u32 v71, v71, 23, 0x37800000
	v_cndmask_b32_e32 v25, v25, v118, vcc_lo
	v_lshlrev_b32_e32 v25, 21, v25
	v_or3_b32 v25, v24, v71, v25
.LBB4_2784:                             ;   in Loop: Header=BB4_2253 Depth=2
	s_or_b32 exec_lo, exec_lo, s40
	v_max_f32_e32 v24, v25, v25
	v_max_f32_e32 v25, v68, v68
	v_min_f32_e32 v68, v25, v24
.LBB4_2785:                             ;   in Loop: Header=BB4_2253 Depth=2
	s_waitcnt vmcnt(1) lgkmcnt(1)
	v_and_b32_e32 v24, 0x7f800000, v68
	v_cmp_ne_u32_e32 vcc_lo, 0x7f800000, v24
	v_mov_b32_e32 v24, 0x80
	s_and_saveexec_b32 s40, vcc_lo
	s_cbranch_execz .LBB4_2793
; %bb.2786:                             ;   in Loop: Header=BB4_2253 Depth=2
	v_mov_b32_e32 v24, 0
	s_mov_b32 s41, exec_lo
	v_cmpx_ne_u32_e32 0, v68
	s_cbranch_execz .LBB4_2792
; %bb.2787:                             ;   in Loop: Header=BB4_2253 Depth=2
	v_bfe_u32 v24, v68, 23, 8
	v_and_b32_e32 v25, 0x7fffff, v68
	v_sub_nc_u32_e32 v71, 0x70, v24
	v_cmp_gt_u32_e32 vcc_lo, 0x71, v24
	v_or_b32_e32 v82, 0x800000, v25
	v_cndmask_b32_e32 v71, 0, v71, vcc_lo
	v_cmp_eq_u32_e32 vcc_lo, 0, v24
	v_add_nc_u32_e32 v24, 0xffffff91, v24
	v_cndmask_b32_e64 v71, v71, 0x6f, vcc_lo
	v_cndmask_b32_e32 v25, v82, v25, vcc_lo
	v_cndmask_b32_e64 v24, v24, 0xffffff92, vcc_lo
	v_lshl_add_u32 v82, 0x200000, v71, -1
	v_lshrrev_b32_e32 v118, v71, v25
	v_lshlrev_b32_e64 v44, v71, 0x100000
	v_add_nc_u32_e32 v71, v71, v24
	v_and_b32_e32 v25, v82, v25
	v_bfe_u32 v41, v118, 21, 1
	v_cmp_eq_u32_e64 s13, v25, v44
	v_add_nc_u32_e32 v82, -1, v41
	v_cndmask_b32_e64 v25, 0, v82, s13
	v_lshrrev_b32_e32 v82, 23, v118
	s_mov_b32 s13, exec_lo
	v_add_nc_u32_e32 v25, v25, v118
	v_xor_b32_e32 v82, 1, v82
	v_and_b32_e32 v24, 0x1fffff, v25
	v_add_nc_u32_e32 v25, v24, v118
                                        ; implicit-def: $vgpr24
	v_cmpx_ne_u32_e64 v71, v82
	s_xor_b32 s13, exec_lo, s13
; %bb.2788:                             ;   in Loop: Header=BB4_2253 Depth=2
	v_cmp_lt_u32_e32 vcc_lo, 0xffffff, v25
	v_sub_nc_u32_e32 v24, v71, v82
	v_cndmask_b32_e64 v71, 0, 1, vcc_lo
	v_add_co_ci_u32_e64 v24, null, 0, v24, vcc_lo
	v_lshrrev_b32_e32 v25, v71, v25
; %bb.2789:                             ;   in Loop: Header=BB4_2253 Depth=2
	s_andn2_saveexec_b32 s13, s13
; %bb.2790:                             ;   in Loop: Header=BB4_2253 Depth=2
	v_bfe_u32 v24, v25, 23, 1
; %bb.2791:                             ;   in Loop: Header=BB4_2253 Depth=2
	s_or_b32 exec_lo, exec_lo, s13
	v_lshrrev_b32_e32 v25, 21, v25
	v_cmp_gt_i32_e32 vcc_lo, 32, v24
	v_min_i32_e32 v71, 31, v24
	v_and_b32_sdwa v68, v68, v113 dst_sel:DWORD dst_unused:UNUSED_PAD src0_sel:BYTE_3 src1_sel:DWORD
	v_cndmask_b32_e32 v25, 3, v25, vcc_lo
	v_lshlrev_b32_e32 v71, 2, v71
	v_and_b32_e32 v82, 3, v25
	v_or_b32_e32 v24, v24, v25
	v_or3_b32 v25, v71, v68, v82
	v_cmp_ne_u32_e32 vcc_lo, 0, v24
	v_cndmask_b32_e32 v24, 0, v25, vcc_lo
.LBB4_2792:                             ;   in Loop: Header=BB4_2253 Depth=2
	s_or_b32 exec_lo, exec_lo, s41
.LBB4_2793:                             ;   in Loop: Header=BB4_2253 Depth=2
	s_or_b32 exec_lo, exec_lo, s40
	v_cmp_gt_i16_sdwa s40, v22, v112 src0_sel:BYTE_0 src1_sel:DWORD
	s_andn2_b32 vcc_lo, exec_lo, s28
	s_mov_b32 s13, -1
                                        ; implicit-def: $vgpr25
	s_cbranch_vccnz .LBB4_2807
; %bb.2794:                             ;   in Loop: Header=BB4_2253 Depth=2
	s_mov_b32 s13, 0
	s_and_saveexec_b32 s41, s40
	s_xor_b32 s40, exec_lo, s41
	s_cbranch_execz .LBB4_2947
; %bb.2795:                             ;   in Loop: Header=BB4_2253 Depth=2
	v_cmp_eq_u16_sdwa s42, v22, v113 src0_sel:BYTE_0 src1_sel:DWORD
	s_mov_b32 s13, -1
	s_and_saveexec_b32 s41, s42
; %bb.2796:                             ;   in Loop: Header=BB4_2253 Depth=2
	s_xor_b32 s13, exec_lo, -1
; %bb.2797:                             ;   in Loop: Header=BB4_2253 Depth=2
	s_or_b32 exec_lo, exec_lo, s41
	s_and_b32 s13, s13, exec_lo
	s_or_saveexec_b32 s40, s40
	v_mov_b32_e32 v25, 0x7f800001
	s_xor_b32 exec_lo, exec_lo, s40
	s_cbranch_execnz .LBB4_2948
.LBB4_2798:                             ;   in Loop: Header=BB4_2253 Depth=2
	s_or_b32 exec_lo, exec_lo, s40
	s_and_saveexec_b32 s40, s13
	s_cbranch_execz .LBB4_2800
.LBB4_2799:                             ;   in Loop: Header=BB4_2253 Depth=2
	v_and_b32_e32 v25, 3, v22
	v_lshrrev_b16 v71, 2, v22
	v_lshlrev_b32_e32 v118, 24, v22
	v_ffbh_u32_e32 v68, v25
	v_and_b32_e32 v71, 31, v71
	v_min_u32_e32 v68, 32, v68
	v_cmp_eq_u32_e32 vcc_lo, 0, v71
	v_subrev_nc_u32_e32 v82, 29, v68
	v_sub_nc_u32_e32 v68, 30, v68
	v_lshlrev_b32_e32 v82, v82, v22
	v_cndmask_b32_e32 v68, v71, v68, vcc_lo
	v_and_b32_e32 v71, 0x80000000, v118
	v_and_b32_e32 v82, 3, v82
	v_lshl_add_u32 v68, v68, 23, 0x37800000
	v_cndmask_b32_e32 v25, v25, v82, vcc_lo
	v_lshlrev_b32_e32 v25, 21, v25
	v_or3_b32 v25, v71, v68, v25
.LBB4_2800:                             ;   in Loop: Header=BB4_2253 Depth=2
	s_or_b32 exec_lo, exec_lo, s40
	s_waitcnt vmcnt(0) lgkmcnt(0)
	v_cmp_gt_i16_sdwa s40, v21, v112 src0_sel:BYTE_0 src1_sel:DWORD
	s_mov_b32 s13, 0
	s_and_saveexec_b32 s41, s40
	s_xor_b32 s40, exec_lo, s41
	s_cbranch_execz .LBB4_2949
; %bb.2801:                             ;   in Loop: Header=BB4_2253 Depth=2
	v_cmp_eq_u16_sdwa s42, v21, v113 src0_sel:BYTE_0 src1_sel:DWORD
	s_mov_b32 s13, -1
	s_and_saveexec_b32 s41, s42
; %bb.2802:                             ;   in Loop: Header=BB4_2253 Depth=2
	s_xor_b32 s13, exec_lo, -1
; %bb.2803:                             ;   in Loop: Header=BB4_2253 Depth=2
	s_or_b32 exec_lo, exec_lo, s41
	s_and_b32 s13, s13, exec_lo
	s_or_saveexec_b32 s40, s40
	v_mov_b32_e32 v68, 0x7f800001
	s_xor_b32 exec_lo, exec_lo, s40
	s_cbranch_execnz .LBB4_2950
.LBB4_2804:                             ;   in Loop: Header=BB4_2253 Depth=2
	s_or_b32 exec_lo, exec_lo, s40
	s_and_saveexec_b32 s40, s13
	s_cbranch_execz .LBB4_2806
.LBB4_2805:                             ;   in Loop: Header=BB4_2253 Depth=2
	v_and_b32_e32 v68, 3, v21
	v_lshrrev_b16 v82, 2, v21
	v_lshlrev_b32_e32 v41, 24, v21
	v_ffbh_u32_e32 v71, v68
	v_and_b32_e32 v82, 31, v82
	v_min_u32_e32 v71, 32, v71
	v_cmp_eq_u32_e32 vcc_lo, 0, v82
	v_subrev_nc_u32_e32 v118, 29, v71
	v_sub_nc_u32_e32 v71, 30, v71
	v_lshlrev_b32_e32 v118, v118, v21
	v_cndmask_b32_e32 v71, v82, v71, vcc_lo
	v_and_b32_e32 v82, 0x80000000, v41
	v_and_b32_e32 v118, 3, v118
	v_lshl_add_u32 v71, v71, 23, 0x37800000
	v_cndmask_b32_e32 v68, v68, v118, vcc_lo
	v_lshlrev_b32_e32 v68, 21, v68
	v_or3_b32 v68, v82, v71, v68
.LBB4_2806:                             ;   in Loop: Header=BB4_2253 Depth=2
	s_or_b32 exec_lo, exec_lo, s40
	v_max_f32_e32 v68, v68, v68
	v_max_f32_e32 v25, v25, v25
	s_mov_b32 s13, 0
	v_max_f32_e32 v25, v25, v68
.LBB4_2807:                             ;   in Loop: Header=BB4_2253 Depth=2
	s_and_b32 vcc_lo, exec_lo, s13
	s_cbranch_vccz .LBB4_2821
; %bb.2808:                             ;   in Loop: Header=BB4_2253 Depth=2
	v_cmp_gt_i16_sdwa s40, v22, v112 src0_sel:BYTE_0 src1_sel:DWORD
	s_mov_b32 s13, 0
	s_and_saveexec_b32 s41, s40
	s_xor_b32 s40, exec_lo, s41
	s_cbranch_execz .LBB4_2951
; %bb.2809:                             ;   in Loop: Header=BB4_2253 Depth=2
	v_cmp_eq_u16_sdwa s42, v22, v113 src0_sel:BYTE_0 src1_sel:DWORD
	s_mov_b32 s13, -1
	s_and_saveexec_b32 s41, s42
; %bb.2810:                             ;   in Loop: Header=BB4_2253 Depth=2
	s_xor_b32 s13, exec_lo, -1
; %bb.2811:                             ;   in Loop: Header=BB4_2253 Depth=2
	s_or_b32 exec_lo, exec_lo, s41
	s_and_b32 s13, s13, exec_lo
	s_or_saveexec_b32 s40, s40
	v_mov_b32_e32 v25, 0x7f800001
	s_xor_b32 exec_lo, exec_lo, s40
	s_cbranch_execnz .LBB4_2952
.LBB4_2812:                             ;   in Loop: Header=BB4_2253 Depth=2
	s_or_b32 exec_lo, exec_lo, s40
	s_and_saveexec_b32 s40, s13
	s_cbranch_execz .LBB4_2814
.LBB4_2813:                             ;   in Loop: Header=BB4_2253 Depth=2
	v_and_b32_e32 v25, 3, v22
	v_lshrrev_b16 v71, 2, v22
	v_ffbh_u32_e32 v68, v25
	v_and_b32_e32 v71, 31, v71
	v_min_u32_e32 v68, 32, v68
	v_cmp_eq_u32_e32 vcc_lo, 0, v71
	v_subrev_nc_u32_e32 v82, 29, v68
	v_sub_nc_u32_e32 v68, 30, v68
	v_lshlrev_b32_e32 v82, v82, v22
	v_lshlrev_b32_e32 v22, 24, v22
	v_cndmask_b32_e32 v68, v71, v68, vcc_lo
	v_and_b32_e32 v82, 3, v82
	v_and_b32_e32 v22, 0x80000000, v22
	v_lshl_add_u32 v68, v68, 23, 0x37800000
	v_cndmask_b32_e32 v25, v25, v82, vcc_lo
	v_lshlrev_b32_e32 v25, 21, v25
	v_or3_b32 v25, v22, v68, v25
.LBB4_2814:                             ;   in Loop: Header=BB4_2253 Depth=2
	s_or_b32 exec_lo, exec_lo, s40
	s_waitcnt vmcnt(0) lgkmcnt(0)
	v_cmp_gt_i16_sdwa s40, v21, v112 src0_sel:BYTE_0 src1_sel:DWORD
	s_mov_b32 s13, 0
	s_and_saveexec_b32 s41, s40
	s_xor_b32 s40, exec_lo, s41
	s_cbranch_execz .LBB4_2953
; %bb.2815:                             ;   in Loop: Header=BB4_2253 Depth=2
	v_cmp_eq_u16_sdwa s42, v21, v113 src0_sel:BYTE_0 src1_sel:DWORD
	s_mov_b32 s13, -1
	s_and_saveexec_b32 s41, s42
; %bb.2816:                             ;   in Loop: Header=BB4_2253 Depth=2
	s_xor_b32 s13, exec_lo, -1
; %bb.2817:                             ;   in Loop: Header=BB4_2253 Depth=2
	s_or_b32 exec_lo, exec_lo, s41
	s_and_b32 s13, s13, exec_lo
	s_or_saveexec_b32 s40, s40
	v_mov_b32_e32 v22, 0x7f800001
	s_xor_b32 exec_lo, exec_lo, s40
	s_cbranch_execnz .LBB4_2954
.LBB4_2818:                             ;   in Loop: Header=BB4_2253 Depth=2
	s_or_b32 exec_lo, exec_lo, s40
	s_and_saveexec_b32 s40, s13
	s_cbranch_execz .LBB4_2820
.LBB4_2819:                             ;   in Loop: Header=BB4_2253 Depth=2
	v_and_b32_e32 v22, 3, v21
	v_lshrrev_b16 v71, 2, v21
	v_ffbh_u32_e32 v68, v22
	v_and_b32_e32 v71, 31, v71
	v_min_u32_e32 v68, 32, v68
	v_cmp_eq_u32_e32 vcc_lo, 0, v71
	v_subrev_nc_u32_e32 v82, 29, v68
	v_sub_nc_u32_e32 v68, 30, v68
	v_lshlrev_b32_e32 v82, v82, v21
	v_lshlrev_b32_e32 v21, 24, v21
	v_cndmask_b32_e32 v68, v71, v68, vcc_lo
	v_and_b32_e32 v82, 3, v82
	v_and_b32_e32 v21, 0x80000000, v21
	v_lshl_add_u32 v68, v68, 23, 0x37800000
	v_cndmask_b32_e32 v22, v22, v82, vcc_lo
	v_lshlrev_b32_e32 v22, 21, v22
	v_or3_b32 v22, v21, v68, v22
.LBB4_2820:                             ;   in Loop: Header=BB4_2253 Depth=2
	s_or_b32 exec_lo, exec_lo, s40
	v_max_f32_e32 v21, v22, v22
	v_max_f32_e32 v22, v25, v25
	v_min_f32_e32 v25, v22, v21
.LBB4_2821:                             ;   in Loop: Header=BB4_2253 Depth=2
	s_waitcnt vmcnt(0) lgkmcnt(0)
	v_and_b32_e32 v21, 0x7f800000, v25
	v_cmp_ne_u32_e32 vcc_lo, 0x7f800000, v21
	v_mov_b32_e32 v21, 0x80
	s_and_saveexec_b32 s40, vcc_lo
	s_cbranch_execz .LBB4_2252
; %bb.2822:                             ;   in Loop: Header=BB4_2253 Depth=2
	v_mov_b32_e32 v21, 0
	s_mov_b32 s41, exec_lo
	v_cmpx_ne_u32_e32 0, v25
	s_cbranch_execz .LBB4_2251
; %bb.2823:                             ;   in Loop: Header=BB4_2253 Depth=2
	v_bfe_u32 v21, v25, 23, 8
	v_and_b32_e32 v22, 0x7fffff, v25
	v_sub_nc_u32_e32 v68, 0x70, v21
	v_cmp_gt_u32_e32 vcc_lo, 0x71, v21
	v_or_b32_e32 v71, 0x800000, v22
	v_cndmask_b32_e32 v68, 0, v68, vcc_lo
	v_cmp_eq_u32_e32 vcc_lo, 0, v21
	v_add_nc_u32_e32 v21, 0xffffff91, v21
	v_cndmask_b32_e64 v68, v68, 0x6f, vcc_lo
	v_cndmask_b32_e32 v22, v71, v22, vcc_lo
	v_cndmask_b32_e64 v21, v21, 0xffffff92, vcc_lo
	v_lshl_add_u32 v71, 0x200000, v68, -1
	v_lshrrev_b32_e32 v82, v68, v22
	v_lshlrev_b32_e64 v41, v68, 0x100000
	v_add_nc_u32_e32 v68, v68, v21
	v_and_b32_e32 v22, v71, v22
	v_bfe_u32 v118, v82, 21, 1
	v_cmp_eq_u32_e64 s13, v22, v41
	v_add_nc_u32_e32 v71, -1, v118
	v_cndmask_b32_e64 v22, 0, v71, s13
	v_lshrrev_b32_e32 v71, 23, v82
	s_mov_b32 s13, exec_lo
	v_add_nc_u32_e32 v22, v22, v82
	v_xor_b32_e32 v71, 1, v71
	v_and_b32_e32 v21, 0x1fffff, v22
	v_add_nc_u32_e32 v22, v21, v82
                                        ; implicit-def: $vgpr21
	v_cmpx_ne_u32_e64 v68, v71
	s_xor_b32 s13, exec_lo, s13
; %bb.2824:                             ;   in Loop: Header=BB4_2253 Depth=2
	v_cmp_lt_u32_e32 vcc_lo, 0xffffff, v22
	v_sub_nc_u32_e32 v21, v68, v71
	v_cndmask_b32_e64 v68, 0, 1, vcc_lo
	v_add_co_ci_u32_e64 v21, null, 0, v21, vcc_lo
	v_lshrrev_b32_e32 v22, v68, v22
; %bb.2825:                             ;   in Loop: Header=BB4_2253 Depth=2
	s_andn2_saveexec_b32 s13, s13
	s_cbranch_execz .LBB4_2250
; %bb.2826:                             ;   in Loop: Header=BB4_2253 Depth=2
	v_bfe_u32 v21, v22, 23, 1
	s_branch .LBB4_2250
.LBB4_2827:                             ;   in Loop: Header=BB4_2253 Depth=2
	s_or_saveexec_b32 s40, s40
	v_mov_b32_e32 v62, 0x7f800001
	s_xor_b32 exec_lo, exec_lo, s40
	s_cbranch_execz .LBB4_2258
.LBB4_2828:                             ;   in Loop: Header=BB4_2253 Depth=2
	v_cmp_ne_u16_sdwa s41, v61, v52 src0_sel:BYTE_0 src1_sel:DWORD
	v_mov_b32_e32 v62, 0
	s_andn2_b32 s13, s13, exec_lo
	s_and_b32 s41, s41, exec_lo
	s_or_b32 s13, s13, s41
	s_or_b32 exec_lo, exec_lo, s40
	s_and_saveexec_b32 s40, s13
	s_cbranch_execnz .LBB4_2259
	s_branch .LBB4_2260
.LBB4_2829:                             ;   in Loop: Header=BB4_2253 Depth=2
	s_or_saveexec_b32 s40, s40
	v_mov_b32_e32 v63, 0x7f800001
	s_xor_b32 exec_lo, exec_lo, s40
	s_cbranch_execz .LBB4_2264
.LBB4_2830:                             ;   in Loop: Header=BB4_2253 Depth=2
	v_cmp_ne_u16_sdwa s41, v23, v52 src0_sel:BYTE_0 src1_sel:DWORD
	v_mov_b32_e32 v63, 0
	s_andn2_b32 s13, s13, exec_lo
	s_and_b32 s41, s41, exec_lo
	s_or_b32 s13, s13, s41
	s_or_b32 exec_lo, exec_lo, s40
	s_and_saveexec_b32 s40, s13
	s_cbranch_execnz .LBB4_2265
	s_branch .LBB4_2266
.LBB4_2831:                             ;   in Loop: Header=BB4_2253 Depth=2
	s_or_saveexec_b32 s40, s40
	v_mov_b32_e32 v62, 0x7f800001
	s_xor_b32 exec_lo, exec_lo, s40
	s_cbranch_execz .LBB4_2272
.LBB4_2832:                             ;   in Loop: Header=BB4_2253 Depth=2
	v_cmp_ne_u16_sdwa s41, v61, v52 src0_sel:BYTE_0 src1_sel:DWORD
	v_mov_b32_e32 v62, 0
	s_andn2_b32 s13, s13, exec_lo
	s_and_b32 s41, s41, exec_lo
	s_or_b32 s13, s13, s41
	s_or_b32 exec_lo, exec_lo, s40
	s_and_saveexec_b32 s40, s13
	s_cbranch_execnz .LBB4_2273
	s_branch .LBB4_2274
.LBB4_2833:                             ;   in Loop: Header=BB4_2253 Depth=2
	s_or_saveexec_b32 s40, s40
	v_mov_b32_e32 v61, 0x7f800001
	s_xor_b32 exec_lo, exec_lo, s40
	s_cbranch_execz .LBB4_2278
.LBB4_2834:                             ;   in Loop: Header=BB4_2253 Depth=2
	v_cmp_ne_u16_sdwa s41, v23, v52 src0_sel:BYTE_0 src1_sel:DWORD
	v_mov_b32_e32 v61, 0
	s_andn2_b32 s13, s13, exec_lo
	s_and_b32 s41, s41, exec_lo
	s_or_b32 s13, s13, s41
	s_or_b32 exec_lo, exec_lo, s40
	s_and_saveexec_b32 s40, s13
	s_cbranch_execnz .LBB4_2279
	s_branch .LBB4_2280
.LBB4_2835:                             ;   in Loop: Header=BB4_2253 Depth=2
	s_or_saveexec_b32 s40, s40
	v_mov_b32_e32 v61, 0x7f800001
	s_xor_b32 exec_lo, exec_lo, s40
	s_cbranch_execz .LBB4_2294
.LBB4_2836:                             ;   in Loop: Header=BB4_2253 Depth=2
	v_cmp_ne_u16_sdwa s41, v60, v52 src0_sel:BYTE_0 src1_sel:DWORD
	v_mov_b32_e32 v61, 0
	s_andn2_b32 s13, s13, exec_lo
	s_and_b32 s41, s41, exec_lo
	s_or_b32 s13, s13, s41
	s_or_b32 exec_lo, exec_lo, s40
	s_and_saveexec_b32 s40, s13
	s_cbranch_execnz .LBB4_2295
	s_branch .LBB4_2296
.LBB4_2837:                             ;   in Loop: Header=BB4_2253 Depth=2
	s_or_saveexec_b32 s40, s40
	v_mov_b32_e32 v62, 0x7f800001
	s_xor_b32 exec_lo, exec_lo, s40
	s_cbranch_execz .LBB4_2300
.LBB4_2838:                             ;   in Loop: Header=BB4_2253 Depth=2
	v_cmp_ne_u16_sdwa s41, v66, v52 src0_sel:BYTE_0 src1_sel:DWORD
	v_mov_b32_e32 v62, 0
	s_andn2_b32 s13, s13, exec_lo
	s_and_b32 s41, s41, exec_lo
	s_or_b32 s13, s13, s41
	s_or_b32 exec_lo, exec_lo, s40
	s_and_saveexec_b32 s40, s13
	s_cbranch_execnz .LBB4_2301
	s_branch .LBB4_2302
.LBB4_2839:                             ;   in Loop: Header=BB4_2253 Depth=2
	s_or_saveexec_b32 s40, s40
	v_mov_b32_e32 v61, 0x7f800001
	s_xor_b32 exec_lo, exec_lo, s40
	s_cbranch_execz .LBB4_2308
.LBB4_2840:                             ;   in Loop: Header=BB4_2253 Depth=2
	v_cmp_ne_u16_sdwa s41, v60, v52 src0_sel:BYTE_0 src1_sel:DWORD
	v_mov_b32_e32 v61, 0
	s_andn2_b32 s13, s13, exec_lo
	s_and_b32 s41, s41, exec_lo
	s_or_b32 s13, s13, s41
	s_or_b32 exec_lo, exec_lo, s40
	s_and_saveexec_b32 s40, s13
	s_cbranch_execnz .LBB4_2309
	s_branch .LBB4_2310
.LBB4_2841:                             ;   in Loop: Header=BB4_2253 Depth=2
	s_or_saveexec_b32 s40, s40
	v_mov_b32_e32 v60, 0x7f800001
	s_xor_b32 exec_lo, exec_lo, s40
	s_cbranch_execz .LBB4_2314
.LBB4_2842:                             ;   in Loop: Header=BB4_2253 Depth=2
	v_cmp_ne_u16_sdwa s41, v66, v52 src0_sel:BYTE_0 src1_sel:DWORD
	v_mov_b32_e32 v60, 0
	s_andn2_b32 s13, s13, exec_lo
	s_and_b32 s41, s41, exec_lo
	s_or_b32 s13, s13, s41
	s_or_b32 exec_lo, exec_lo, s40
	s_and_saveexec_b32 s40, s13
	s_cbranch_execnz .LBB4_2315
	s_branch .LBB4_2316
.LBB4_2843:                             ;   in Loop: Header=BB4_2253 Depth=2
	s_or_saveexec_b32 s40, s40
	v_mov_b32_e32 v60, 0x7f800001
	s_xor_b32 exec_lo, exec_lo, s40
	s_cbranch_execz .LBB4_2330
.LBB4_2844:                             ;   in Loop: Header=BB4_2253 Depth=2
	v_cmp_ne_u16_sdwa s41, v59, v52 src0_sel:BYTE_0 src1_sel:DWORD
	v_mov_b32_e32 v60, 0
	s_andn2_b32 s13, s13, exec_lo
	s_and_b32 s41, s41, exec_lo
	s_or_b32 s13, s13, s41
	s_or_b32 exec_lo, exec_lo, s40
	s_and_saveexec_b32 s40, s13
	s_cbranch_execnz .LBB4_2331
	s_branch .LBB4_2332
.LBB4_2845:                             ;   in Loop: Header=BB4_2253 Depth=2
	s_or_saveexec_b32 s40, s40
	v_mov_b32_e32 v61, 0x7f800001
	s_xor_b32 exec_lo, exec_lo, s40
	s_cbranch_execz .LBB4_2336
.LBB4_2846:                             ;   in Loop: Header=BB4_2253 Depth=2
	v_cmp_ne_u16_sdwa s41, v69, v52 src0_sel:BYTE_0 src1_sel:DWORD
	v_mov_b32_e32 v61, 0
	s_andn2_b32 s13, s13, exec_lo
	s_and_b32 s41, s41, exec_lo
	s_or_b32 s13, s13, s41
	s_or_b32 exec_lo, exec_lo, s40
	s_and_saveexec_b32 s40, s13
	s_cbranch_execnz .LBB4_2337
	s_branch .LBB4_2338
.LBB4_2847:                             ;   in Loop: Header=BB4_2253 Depth=2
	s_or_saveexec_b32 s40, s40
	v_mov_b32_e32 v60, 0x7f800001
	s_xor_b32 exec_lo, exec_lo, s40
	s_cbranch_execz .LBB4_2344
.LBB4_2848:                             ;   in Loop: Header=BB4_2253 Depth=2
	v_cmp_ne_u16_sdwa s41, v59, v52 src0_sel:BYTE_0 src1_sel:DWORD
	v_mov_b32_e32 v60, 0
	s_andn2_b32 s13, s13, exec_lo
	s_and_b32 s41, s41, exec_lo
	s_or_b32 s13, s13, s41
	s_or_b32 exec_lo, exec_lo, s40
	s_and_saveexec_b32 s40, s13
	s_cbranch_execnz .LBB4_2345
	s_branch .LBB4_2346
.LBB4_2849:                             ;   in Loop: Header=BB4_2253 Depth=2
	s_or_saveexec_b32 s40, s40
	v_mov_b32_e32 v59, 0x7f800001
	s_xor_b32 exec_lo, exec_lo, s40
	s_cbranch_execz .LBB4_2350
.LBB4_2850:                             ;   in Loop: Header=BB4_2253 Depth=2
	v_cmp_ne_u16_sdwa s41, v69, v52 src0_sel:BYTE_0 src1_sel:DWORD
	v_mov_b32_e32 v59, 0
	s_andn2_b32 s13, s13, exec_lo
	s_and_b32 s41, s41, exec_lo
	s_or_b32 s13, s13, s41
	s_or_b32 exec_lo, exec_lo, s40
	s_and_saveexec_b32 s40, s13
	s_cbranch_execnz .LBB4_2351
	s_branch .LBB4_2352
.LBB4_2851:                             ;   in Loop: Header=BB4_2253 Depth=2
	s_or_saveexec_b32 s40, s40
	v_mov_b32_e32 v59, 0x7f800001
	s_xor_b32 exec_lo, exec_lo, s40
	s_cbranch_execz .LBB4_2366
.LBB4_2852:                             ;   in Loop: Header=BB4_2253 Depth=2
	v_cmp_ne_u16_sdwa s41, v58, v52 src0_sel:BYTE_0 src1_sel:DWORD
	v_mov_b32_e32 v59, 0
	s_andn2_b32 s13, s13, exec_lo
	s_and_b32 s41, s41, exec_lo
	s_or_b32 s13, s13, s41
	s_or_b32 exec_lo, exec_lo, s40
	s_and_saveexec_b32 s40, s13
	s_cbranch_execnz .LBB4_2367
	s_branch .LBB4_2368
.LBB4_2853:                             ;   in Loop: Header=BB4_2253 Depth=2
	s_or_saveexec_b32 s40, s40
	v_mov_b32_e32 v60, 0x7f800001
	s_xor_b32 exec_lo, exec_lo, s40
	s_cbranch_execz .LBB4_2372
.LBB4_2854:                             ;   in Loop: Header=BB4_2253 Depth=2
	v_cmp_ne_u16_sdwa s41, v80, v52 src0_sel:BYTE_0 src1_sel:DWORD
	v_mov_b32_e32 v60, 0
	s_andn2_b32 s13, s13, exec_lo
	s_and_b32 s41, s41, exec_lo
	s_or_b32 s13, s13, s41
	s_or_b32 exec_lo, exec_lo, s40
	s_and_saveexec_b32 s40, s13
	s_cbranch_execnz .LBB4_2373
	s_branch .LBB4_2374
.LBB4_2855:                             ;   in Loop: Header=BB4_2253 Depth=2
	s_or_saveexec_b32 s40, s40
	v_mov_b32_e32 v59, 0x7f800001
	s_xor_b32 exec_lo, exec_lo, s40
	s_cbranch_execz .LBB4_2380
.LBB4_2856:                             ;   in Loop: Header=BB4_2253 Depth=2
	v_cmp_ne_u16_sdwa s41, v58, v52 src0_sel:BYTE_0 src1_sel:DWORD
	v_mov_b32_e32 v59, 0
	s_andn2_b32 s13, s13, exec_lo
	s_and_b32 s41, s41, exec_lo
	s_or_b32 s13, s13, s41
	s_or_b32 exec_lo, exec_lo, s40
	s_and_saveexec_b32 s40, s13
	s_cbranch_execnz .LBB4_2381
	s_branch .LBB4_2382
.LBB4_2857:                             ;   in Loop: Header=BB4_2253 Depth=2
	s_or_saveexec_b32 s40, s40
	v_mov_b32_e32 v58, 0x7f800001
	s_xor_b32 exec_lo, exec_lo, s40
	s_cbranch_execz .LBB4_2386
.LBB4_2858:                             ;   in Loop: Header=BB4_2253 Depth=2
	v_cmp_ne_u16_sdwa s41, v80, v52 src0_sel:BYTE_0 src1_sel:DWORD
	v_mov_b32_e32 v58, 0
	s_andn2_b32 s13, s13, exec_lo
	s_and_b32 s41, s41, exec_lo
	s_or_b32 s13, s13, s41
	s_or_b32 exec_lo, exec_lo, s40
	s_and_saveexec_b32 s40, s13
	s_cbranch_execnz .LBB4_2387
	s_branch .LBB4_2388
.LBB4_2859:                             ;   in Loop: Header=BB4_2253 Depth=2
	s_or_saveexec_b32 s40, s40
	v_mov_b32_e32 v58, 0x7f800001
	s_xor_b32 exec_lo, exec_lo, s40
	s_cbranch_execz .LBB4_2402
.LBB4_2860:                             ;   in Loop: Header=BB4_2253 Depth=2
	v_cmp_ne_u16_sdwa s41, v57, v52 src0_sel:BYTE_0 src1_sel:DWORD
	v_mov_b32_e32 v58, 0
	s_andn2_b32 s13, s13, exec_lo
	s_and_b32 s41, s41, exec_lo
	s_or_b32 s13, s13, s41
	s_or_b32 exec_lo, exec_lo, s40
	s_and_saveexec_b32 s40, s13
	s_cbranch_execnz .LBB4_2403
	s_branch .LBB4_2404
.LBB4_2861:                             ;   in Loop: Header=BB4_2253 Depth=2
	s_or_saveexec_b32 s40, s40
	v_mov_b32_e32 v59, 0x7f800001
	s_xor_b32 exec_lo, exec_lo, s40
	s_cbranch_execz .LBB4_2408
.LBB4_2862:                             ;   in Loop: Header=BB4_2253 Depth=2
	v_cmp_ne_u16_sdwa s41, v83, v52 src0_sel:BYTE_0 src1_sel:DWORD
	v_mov_b32_e32 v59, 0
	s_andn2_b32 s13, s13, exec_lo
	s_and_b32 s41, s41, exec_lo
	s_or_b32 s13, s13, s41
	s_or_b32 exec_lo, exec_lo, s40
	s_and_saveexec_b32 s40, s13
	s_cbranch_execnz .LBB4_2409
	s_branch .LBB4_2410
.LBB4_2863:                             ;   in Loop: Header=BB4_2253 Depth=2
	s_or_saveexec_b32 s40, s40
	v_mov_b32_e32 v58, 0x7f800001
	s_xor_b32 exec_lo, exec_lo, s40
	s_cbranch_execz .LBB4_2416
.LBB4_2864:                             ;   in Loop: Header=BB4_2253 Depth=2
	v_cmp_ne_u16_sdwa s41, v57, v52 src0_sel:BYTE_0 src1_sel:DWORD
	v_mov_b32_e32 v58, 0
	s_andn2_b32 s13, s13, exec_lo
	s_and_b32 s41, s41, exec_lo
	s_or_b32 s13, s13, s41
	s_or_b32 exec_lo, exec_lo, s40
	s_and_saveexec_b32 s40, s13
	s_cbranch_execnz .LBB4_2417
	s_branch .LBB4_2418
.LBB4_2865:                             ;   in Loop: Header=BB4_2253 Depth=2
	s_or_saveexec_b32 s40, s40
	v_mov_b32_e32 v57, 0x7f800001
	s_xor_b32 exec_lo, exec_lo, s40
	s_cbranch_execz .LBB4_2422
.LBB4_2866:                             ;   in Loop: Header=BB4_2253 Depth=2
	v_cmp_ne_u16_sdwa s41, v83, v52 src0_sel:BYTE_0 src1_sel:DWORD
	v_mov_b32_e32 v57, 0
	s_andn2_b32 s13, s13, exec_lo
	s_and_b32 s41, s41, exec_lo
	s_or_b32 s13, s13, s41
	s_or_b32 exec_lo, exec_lo, s40
	s_and_saveexec_b32 s40, s13
	s_cbranch_execnz .LBB4_2423
	s_branch .LBB4_2424
.LBB4_2867:                             ;   in Loop: Header=BB4_2253 Depth=2
	s_or_saveexec_b32 s40, s40
	v_mov_b32_e32 v57, 0x7f800001
	s_xor_b32 exec_lo, exec_lo, s40
	s_cbranch_execz .LBB4_2438
.LBB4_2868:                             ;   in Loop: Header=BB4_2253 Depth=2
	v_cmp_ne_u16_sdwa s41, v56, v52 src0_sel:BYTE_0 src1_sel:DWORD
	v_mov_b32_e32 v57, 0
	s_andn2_b32 s13, s13, exec_lo
	s_and_b32 s41, s41, exec_lo
	s_or_b32 s13, s13, s41
	s_or_b32 exec_lo, exec_lo, s40
	s_and_saveexec_b32 s40, s13
	s_cbranch_execnz .LBB4_2439
	s_branch .LBB4_2440
.LBB4_2869:                             ;   in Loop: Header=BB4_2253 Depth=2
	s_or_saveexec_b32 s40, s40
	v_mov_b32_e32 v58, 0x7f800001
	s_xor_b32 exec_lo, exec_lo, s40
	s_cbranch_execz .LBB4_2444
.LBB4_2870:                             ;   in Loop: Header=BB4_2253 Depth=2
	v_cmp_ne_u16_sdwa s41, v119, v52 src0_sel:BYTE_0 src1_sel:DWORD
	v_mov_b32_e32 v58, 0
	s_andn2_b32 s13, s13, exec_lo
	s_and_b32 s41, s41, exec_lo
	s_or_b32 s13, s13, s41
	s_or_b32 exec_lo, exec_lo, s40
	s_and_saveexec_b32 s40, s13
	s_cbranch_execnz .LBB4_2445
	s_branch .LBB4_2446
.LBB4_2871:                             ;   in Loop: Header=BB4_2253 Depth=2
	s_or_saveexec_b32 s40, s40
	v_mov_b32_e32 v57, 0x7f800001
	s_xor_b32 exec_lo, exec_lo, s40
	s_cbranch_execz .LBB4_2452
.LBB4_2872:                             ;   in Loop: Header=BB4_2253 Depth=2
	v_cmp_ne_u16_sdwa s41, v56, v52 src0_sel:BYTE_0 src1_sel:DWORD
	v_mov_b32_e32 v57, 0
	s_andn2_b32 s13, s13, exec_lo
	s_and_b32 s41, s41, exec_lo
	s_or_b32 s13, s13, s41
	s_or_b32 exec_lo, exec_lo, s40
	s_and_saveexec_b32 s40, s13
	s_cbranch_execnz .LBB4_2453
	s_branch .LBB4_2454
.LBB4_2873:                             ;   in Loop: Header=BB4_2253 Depth=2
	s_or_saveexec_b32 s40, s40
	v_mov_b32_e32 v56, 0x7f800001
	s_xor_b32 exec_lo, exec_lo, s40
	s_cbranch_execz .LBB4_2458
.LBB4_2874:                             ;   in Loop: Header=BB4_2253 Depth=2
	v_cmp_ne_u16_sdwa s41, v119, v52 src0_sel:BYTE_0 src1_sel:DWORD
	v_mov_b32_e32 v56, 0
	s_andn2_b32 s13, s13, exec_lo
	s_and_b32 s41, s41, exec_lo
	s_or_b32 s13, s13, s41
	s_or_b32 exec_lo, exec_lo, s40
	s_and_saveexec_b32 s40, s13
	s_cbranch_execnz .LBB4_2459
	s_branch .LBB4_2460
.LBB4_2875:                             ;   in Loop: Header=BB4_2253 Depth=2
	s_or_saveexec_b32 s40, s40
	v_mov_b32_e32 v56, 0x7f800001
	s_xor_b32 exec_lo, exec_lo, s40
	s_cbranch_execz .LBB4_2474
.LBB4_2876:                             ;   in Loop: Header=BB4_2253 Depth=2
	v_cmp_ne_u16_sdwa s41, v47, v52 src0_sel:BYTE_0 src1_sel:DWORD
	v_mov_b32_e32 v56, 0
	s_andn2_b32 s13, s13, exec_lo
	s_and_b32 s41, s41, exec_lo
	s_or_b32 s13, s13, s41
	s_or_b32 exec_lo, exec_lo, s40
	s_and_saveexec_b32 s40, s13
	s_cbranch_execnz .LBB4_2475
	s_branch .LBB4_2476
.LBB4_2877:                             ;   in Loop: Header=BB4_2253 Depth=2
	s_or_saveexec_b32 s40, s40
	v_mov_b32_e32 v57, 0x7f800001
	s_xor_b32 exec_lo, exec_lo, s40
	s_cbranch_execz .LBB4_2480
.LBB4_2878:                             ;   in Loop: Header=BB4_2253 Depth=2
	v_cmp_ne_u16_sdwa s41, v42, v52 src0_sel:BYTE_0 src1_sel:DWORD
	v_mov_b32_e32 v57, 0
	s_andn2_b32 s13, s13, exec_lo
	s_and_b32 s41, s41, exec_lo
	s_or_b32 s13, s13, s41
	s_or_b32 exec_lo, exec_lo, s40
	s_and_saveexec_b32 s40, s13
	s_cbranch_execnz .LBB4_2481
	s_branch .LBB4_2482
.LBB4_2879:                             ;   in Loop: Header=BB4_2253 Depth=2
	s_or_saveexec_b32 s40, s40
	v_mov_b32_e32 v56, 0x7f800001
	s_xor_b32 exec_lo, exec_lo, s40
	s_cbranch_execz .LBB4_2488
.LBB4_2880:                             ;   in Loop: Header=BB4_2253 Depth=2
	v_cmp_ne_u16_sdwa s41, v47, v52 src0_sel:BYTE_0 src1_sel:DWORD
	v_mov_b32_e32 v56, 0
	s_andn2_b32 s13, s13, exec_lo
	s_and_b32 s41, s41, exec_lo
	s_or_b32 s13, s13, s41
	s_or_b32 exec_lo, exec_lo, s40
	s_and_saveexec_b32 s40, s13
	s_cbranch_execnz .LBB4_2489
	s_branch .LBB4_2490
.LBB4_2881:                             ;   in Loop: Header=BB4_2253 Depth=2
	s_or_saveexec_b32 s40, s40
	v_mov_b32_e32 v47, 0x7f800001
	s_xor_b32 exec_lo, exec_lo, s40
	s_cbranch_execz .LBB4_2494
.LBB4_2882:                             ;   in Loop: Header=BB4_2253 Depth=2
	v_cmp_ne_u16_sdwa s41, v42, v52 src0_sel:BYTE_0 src1_sel:DWORD
	v_mov_b32_e32 v47, 0
	s_andn2_b32 s13, s13, exec_lo
	s_and_b32 s41, s41, exec_lo
	s_or_b32 s13, s13, s41
	s_or_b32 exec_lo, exec_lo, s40
	s_and_saveexec_b32 s40, s13
	s_cbranch_execnz .LBB4_2495
	s_branch .LBB4_2496
.LBB4_2883:                             ;   in Loop: Header=BB4_2253 Depth=2
	s_or_saveexec_b32 s40, s40
	v_mov_b32_e32 v47, 0x7f800001
	s_xor_b32 exec_lo, exec_lo, s40
	s_cbranch_execz .LBB4_2510
.LBB4_2884:                             ;   in Loop: Header=BB4_2253 Depth=2
	v_cmp_ne_u16_sdwa s41, v46, v52 src0_sel:BYTE_0 src1_sel:DWORD
	v_mov_b32_e32 v47, 0
	s_andn2_b32 s13, s13, exec_lo
	s_and_b32 s41, s41, exec_lo
	s_or_b32 s13, s13, s41
	s_or_b32 exec_lo, exec_lo, s40
	s_and_saveexec_b32 s40, s13
	s_cbranch_execnz .LBB4_2511
	s_branch .LBB4_2512
.LBB4_2885:                             ;   in Loop: Header=BB4_2253 Depth=2
	s_or_saveexec_b32 s40, s40
	v_mov_b32_e32 v56, 0x7f800001
	s_xor_b32 exec_lo, exec_lo, s40
	s_cbranch_execz .LBB4_2516
.LBB4_2886:                             ;   in Loop: Header=BB4_2253 Depth=2
	v_cmp_ne_u16_sdwa s41, v45, v52 src0_sel:BYTE_0 src1_sel:DWORD
	v_mov_b32_e32 v56, 0
	s_andn2_b32 s13, s13, exec_lo
	s_and_b32 s41, s41, exec_lo
	s_or_b32 s13, s13, s41
	s_or_b32 exec_lo, exec_lo, s40
	s_and_saveexec_b32 s40, s13
	s_cbranch_execnz .LBB4_2517
	s_branch .LBB4_2518
.LBB4_2887:                             ;   in Loop: Header=BB4_2253 Depth=2
	s_or_saveexec_b32 s40, s40
	v_mov_b32_e32 v47, 0x7f800001
	s_xor_b32 exec_lo, exec_lo, s40
	s_cbranch_execz .LBB4_2524
.LBB4_2888:                             ;   in Loop: Header=BB4_2253 Depth=2
	v_cmp_ne_u16_sdwa s41, v46, v52 src0_sel:BYTE_0 src1_sel:DWORD
	v_mov_b32_e32 v47, 0
	s_andn2_b32 s13, s13, exec_lo
	s_and_b32 s41, s41, exec_lo
	s_or_b32 s13, s13, s41
	s_or_b32 exec_lo, exec_lo, s40
	s_and_saveexec_b32 s40, s13
	s_cbranch_execnz .LBB4_2525
	s_branch .LBB4_2526
.LBB4_2889:                             ;   in Loop: Header=BB4_2253 Depth=2
	s_or_saveexec_b32 s40, s40
	v_mov_b32_e32 v46, 0x7f800001
	s_xor_b32 exec_lo, exec_lo, s40
	s_cbranch_execz .LBB4_2530
.LBB4_2890:                             ;   in Loop: Header=BB4_2253 Depth=2
	v_cmp_ne_u16_sdwa s41, v45, v52 src0_sel:BYTE_0 src1_sel:DWORD
	v_mov_b32_e32 v46, 0
	s_andn2_b32 s13, s13, exec_lo
	s_and_b32 s41, s41, exec_lo
	s_or_b32 s13, s13, s41
	s_or_b32 exec_lo, exec_lo, s40
	s_and_saveexec_b32 s40, s13
	s_cbranch_execnz .LBB4_2531
	s_branch .LBB4_2532
.LBB4_2891:                             ;   in Loop: Header=BB4_2253 Depth=2
	s_or_saveexec_b32 s40, s40
	v_mov_b32_e32 v46, 0x7f800001
	s_xor_b32 exec_lo, exec_lo, s40
	s_cbranch_execz .LBB4_2546
.LBB4_2892:                             ;   in Loop: Header=BB4_2253 Depth=2
	v_cmp_ne_u16_sdwa s41, v44, v52 src0_sel:BYTE_0 src1_sel:DWORD
	v_mov_b32_e32 v46, 0
	s_andn2_b32 s13, s13, exec_lo
	s_and_b32 s41, s41, exec_lo
	s_or_b32 s13, s13, s41
	s_or_b32 exec_lo, exec_lo, s40
	s_and_saveexec_b32 s40, s13
	s_cbranch_execnz .LBB4_2547
	s_branch .LBB4_2548
.LBB4_2893:                             ;   in Loop: Header=BB4_2253 Depth=2
	s_or_saveexec_b32 s40, s40
	v_mov_b32_e32 v47, 0x7f800001
	s_xor_b32 exec_lo, exec_lo, s40
	s_cbranch_execz .LBB4_2552
.LBB4_2894:                             ;   in Loop: Header=BB4_2253 Depth=2
	v_cmp_ne_u16_sdwa s41, v43, v52 src0_sel:BYTE_0 src1_sel:DWORD
	v_mov_b32_e32 v47, 0
	s_andn2_b32 s13, s13, exec_lo
	s_and_b32 s41, s41, exec_lo
	s_or_b32 s13, s13, s41
	s_or_b32 exec_lo, exec_lo, s40
	s_and_saveexec_b32 s40, s13
	s_cbranch_execnz .LBB4_2553
	s_branch .LBB4_2554
.LBB4_2895:                             ;   in Loop: Header=BB4_2253 Depth=2
	s_or_saveexec_b32 s40, s40
	v_mov_b32_e32 v46, 0x7f800001
	s_xor_b32 exec_lo, exec_lo, s40
	s_cbranch_execz .LBB4_2560
.LBB4_2896:                             ;   in Loop: Header=BB4_2253 Depth=2
	v_cmp_ne_u16_sdwa s41, v44, v52 src0_sel:BYTE_0 src1_sel:DWORD
	v_mov_b32_e32 v46, 0
	s_andn2_b32 s13, s13, exec_lo
	s_and_b32 s41, s41, exec_lo
	s_or_b32 s13, s13, s41
	s_or_b32 exec_lo, exec_lo, s40
	s_and_saveexec_b32 s40, s13
	s_cbranch_execnz .LBB4_2561
	s_branch .LBB4_2562
.LBB4_2897:                             ;   in Loop: Header=BB4_2253 Depth=2
	s_or_saveexec_b32 s40, s40
	v_mov_b32_e32 v44, 0x7f800001
	s_xor_b32 exec_lo, exec_lo, s40
	s_cbranch_execz .LBB4_2566
.LBB4_2898:                             ;   in Loop: Header=BB4_2253 Depth=2
	v_cmp_ne_u16_sdwa s41, v43, v52 src0_sel:BYTE_0 src1_sel:DWORD
	v_mov_b32_e32 v44, 0
	s_andn2_b32 s13, s13, exec_lo
	s_and_b32 s41, s41, exec_lo
	s_or_b32 s13, s13, s41
	s_or_b32 exec_lo, exec_lo, s40
	s_and_saveexec_b32 s40, s13
	s_cbranch_execnz .LBB4_2567
	s_branch .LBB4_2568
.LBB4_2899:                             ;   in Loop: Header=BB4_2253 Depth=2
	s_or_saveexec_b32 s40, s40
	v_mov_b32_e32 v44, 0x7f800001
	s_xor_b32 exec_lo, exec_lo, s40
	s_cbranch_execz .LBB4_2582
.LBB4_2900:                             ;   in Loop: Header=BB4_2253 Depth=2
	v_cmp_ne_u16_sdwa s41, v41, v52 src0_sel:BYTE_0 src1_sel:DWORD
	v_mov_b32_e32 v44, 0
	s_andn2_b32 s13, s13, exec_lo
	s_and_b32 s41, s41, exec_lo
	s_or_b32 s13, s13, s41
	s_or_b32 exec_lo, exec_lo, s40
	s_and_saveexec_b32 s40, s13
	s_cbranch_execnz .LBB4_2583
	s_branch .LBB4_2584
.LBB4_2901:                             ;   in Loop: Header=BB4_2253 Depth=2
	s_or_saveexec_b32 s40, s40
	v_mov_b32_e32 v46, 0x7f800001
	s_xor_b32 exec_lo, exec_lo, s40
	s_cbranch_execz .LBB4_2588
.LBB4_2902:                             ;   in Loop: Header=BB4_2253 Depth=2
	v_cmp_ne_u16_sdwa s41, v40, v52 src0_sel:BYTE_0 src1_sel:DWORD
	v_mov_b32_e32 v46, 0
	s_andn2_b32 s13, s13, exec_lo
	s_and_b32 s41, s41, exec_lo
	s_or_b32 s13, s13, s41
	s_or_b32 exec_lo, exec_lo, s40
	s_and_saveexec_b32 s40, s13
	s_cbranch_execnz .LBB4_2589
	s_branch .LBB4_2590
.LBB4_2903:                             ;   in Loop: Header=BB4_2253 Depth=2
	s_or_saveexec_b32 s40, s40
	v_mov_b32_e32 v44, 0x7f800001
	s_xor_b32 exec_lo, exec_lo, s40
	s_cbranch_execz .LBB4_2596
.LBB4_2904:                             ;   in Loop: Header=BB4_2253 Depth=2
	v_cmp_ne_u16_sdwa s41, v41, v52 src0_sel:BYTE_0 src1_sel:DWORD
	v_mov_b32_e32 v44, 0
	s_andn2_b32 s13, s13, exec_lo
	s_and_b32 s41, s41, exec_lo
	s_or_b32 s13, s13, s41
	s_or_b32 exec_lo, exec_lo, s40
	s_and_saveexec_b32 s40, s13
	s_cbranch_execnz .LBB4_2597
	s_branch .LBB4_2598
.LBB4_2905:                             ;   in Loop: Header=BB4_2253 Depth=2
	s_or_saveexec_b32 s40, s40
	v_mov_b32_e32 v41, 0x7f800001
	s_xor_b32 exec_lo, exec_lo, s40
	s_cbranch_execz .LBB4_2602
.LBB4_2906:                             ;   in Loop: Header=BB4_2253 Depth=2
	v_cmp_ne_u16_sdwa s41, v40, v52 src0_sel:BYTE_0 src1_sel:DWORD
	v_mov_b32_e32 v41, 0
	s_andn2_b32 s13, s13, exec_lo
	s_and_b32 s41, s41, exec_lo
	s_or_b32 s13, s13, s41
	s_or_b32 exec_lo, exec_lo, s40
	s_and_saveexec_b32 s40, s13
	s_cbranch_execnz .LBB4_2603
	s_branch .LBB4_2604
.LBB4_2907:                             ;   in Loop: Header=BB4_2253 Depth=2
	s_or_saveexec_b32 s40, s40
	v_mov_b32_e32 v41, 0x7f800001
	s_xor_b32 exec_lo, exec_lo, s40
	s_cbranch_execz .LBB4_2618
.LBB4_2908:                             ;   in Loop: Header=BB4_2253 Depth=2
	v_cmp_ne_u16_sdwa s41, v118, v52 src0_sel:BYTE_0 src1_sel:DWORD
	v_mov_b32_e32 v41, 0
	s_andn2_b32 s13, s13, exec_lo
	s_and_b32 s41, s41, exec_lo
	s_or_b32 s13, s13, s41
	s_or_b32 exec_lo, exec_lo, s40
	s_and_saveexec_b32 s40, s13
	s_cbranch_execnz .LBB4_2619
	s_branch .LBB4_2620
.LBB4_2909:                             ;   in Loop: Header=BB4_2253 Depth=2
	s_or_saveexec_b32 s40, s40
	v_mov_b32_e32 v44, 0x7f800001
	s_xor_b32 exec_lo, exec_lo, s40
	s_cbranch_execz .LBB4_2624
.LBB4_2910:                             ;   in Loop: Header=BB4_2253 Depth=2
	v_cmp_ne_u16_sdwa s41, v117, v52 src0_sel:BYTE_0 src1_sel:DWORD
	v_mov_b32_e32 v44, 0
	s_andn2_b32 s13, s13, exec_lo
	s_and_b32 s41, s41, exec_lo
	s_or_b32 s13, s13, s41
	s_or_b32 exec_lo, exec_lo, s40
	s_and_saveexec_b32 s40, s13
	s_cbranch_execnz .LBB4_2625
	s_branch .LBB4_2626
.LBB4_2911:                             ;   in Loop: Header=BB4_2253 Depth=2
	s_or_saveexec_b32 s40, s40
	v_mov_b32_e32 v41, 0x7f800001
	s_xor_b32 exec_lo, exec_lo, s40
	s_cbranch_execz .LBB4_2632
.LBB4_2912:                             ;   in Loop: Header=BB4_2253 Depth=2
	v_cmp_ne_u16_sdwa s41, v118, v52 src0_sel:BYTE_0 src1_sel:DWORD
	v_mov_b32_e32 v41, 0
	s_andn2_b32 s13, s13, exec_lo
	s_and_b32 s41, s41, exec_lo
	s_or_b32 s13, s13, s41
	s_or_b32 exec_lo, exec_lo, s40
	s_and_saveexec_b32 s40, s13
	s_cbranch_execnz .LBB4_2633
	s_branch .LBB4_2634
.LBB4_2913:                             ;   in Loop: Header=BB4_2253 Depth=2
	s_or_saveexec_b32 s40, s40
	v_mov_b32_e32 v118, 0x7f800001
	s_xor_b32 exec_lo, exec_lo, s40
	s_cbranch_execz .LBB4_2638
.LBB4_2914:                             ;   in Loop: Header=BB4_2253 Depth=2
	v_cmp_ne_u16_sdwa s41, v117, v52 src0_sel:BYTE_0 src1_sel:DWORD
	v_mov_b32_e32 v118, 0
	s_andn2_b32 s13, s13, exec_lo
	s_and_b32 s41, s41, exec_lo
	s_or_b32 s13, s13, s41
	s_or_b32 exec_lo, exec_lo, s40
	s_and_saveexec_b32 s40, s13
	s_cbranch_execnz .LBB4_2639
	s_branch .LBB4_2640
.LBB4_2915:                             ;   in Loop: Header=BB4_2253 Depth=2
	s_or_saveexec_b32 s40, s40
	v_mov_b32_e32 v118, 0x7f800001
	s_xor_b32 exec_lo, exec_lo, s40
	s_cbranch_execz .LBB4_2654
.LBB4_2916:                             ;   in Loop: Header=BB4_2253 Depth=2
	v_cmp_ne_u16_sdwa s41, v82, v52 src0_sel:BYTE_0 src1_sel:DWORD
	v_mov_b32_e32 v118, 0
	s_andn2_b32 s13, s13, exec_lo
	s_and_b32 s41, s41, exec_lo
	s_or_b32 s13, s13, s41
	s_or_b32 exec_lo, exec_lo, s40
	s_and_saveexec_b32 s40, s13
	s_cbranch_execnz .LBB4_2655
	s_branch .LBB4_2656
.LBB4_2917:                             ;   in Loop: Header=BB4_2253 Depth=2
	s_or_saveexec_b32 s40, s40
	v_mov_b32_e32 v41, 0x7f800001
	s_xor_b32 exec_lo, exec_lo, s40
	s_cbranch_execz .LBB4_2660
.LBB4_2918:                             ;   in Loop: Header=BB4_2253 Depth=2
	v_cmp_ne_u16_sdwa s41, v81, v52 src0_sel:BYTE_0 src1_sel:DWORD
	v_mov_b32_e32 v41, 0
	s_andn2_b32 s13, s13, exec_lo
	s_and_b32 s41, s41, exec_lo
	s_or_b32 s13, s13, s41
	s_or_b32 exec_lo, exec_lo, s40
	s_and_saveexec_b32 s40, s13
	s_cbranch_execnz .LBB4_2661
	s_branch .LBB4_2662
.LBB4_2919:                             ;   in Loop: Header=BB4_2253 Depth=2
	s_or_saveexec_b32 s40, s40
	v_mov_b32_e32 v118, 0x7f800001
	s_xor_b32 exec_lo, exec_lo, s40
	s_cbranch_execz .LBB4_2668
.LBB4_2920:                             ;   in Loop: Header=BB4_2253 Depth=2
	v_cmp_ne_u16_sdwa s41, v82, v52 src0_sel:BYTE_0 src1_sel:DWORD
	v_mov_b32_e32 v118, 0
	s_andn2_b32 s13, s13, exec_lo
	s_and_b32 s41, s41, exec_lo
	s_or_b32 s13, s13, s41
	s_or_b32 exec_lo, exec_lo, s40
	s_and_saveexec_b32 s40, s13
	s_cbranch_execnz .LBB4_2669
	s_branch .LBB4_2670
.LBB4_2921:                             ;   in Loop: Header=BB4_2253 Depth=2
	s_or_saveexec_b32 s40, s40
	v_mov_b32_e32 v82, 0x7f800001
	s_xor_b32 exec_lo, exec_lo, s40
	s_cbranch_execz .LBB4_2674
.LBB4_2922:                             ;   in Loop: Header=BB4_2253 Depth=2
	v_cmp_ne_u16_sdwa s41, v81, v52 src0_sel:BYTE_0 src1_sel:DWORD
	v_mov_b32_e32 v82, 0
	s_andn2_b32 s13, s13, exec_lo
	s_and_b32 s41, s41, exec_lo
	s_or_b32 s13, s13, s41
	s_or_b32 exec_lo, exec_lo, s40
	s_and_saveexec_b32 s40, s13
	s_cbranch_execnz .LBB4_2675
	s_branch .LBB4_2676
.LBB4_2923:                             ;   in Loop: Header=BB4_2253 Depth=2
	s_or_saveexec_b32 s40, s40
	v_mov_b32_e32 v82, 0x7f800001
	s_xor_b32 exec_lo, exec_lo, s40
	s_cbranch_execz .LBB4_2690
.LBB4_2924:                             ;   in Loop: Header=BB4_2253 Depth=2
	v_cmp_ne_u16_sdwa s41, v71, v52 src0_sel:BYTE_0 src1_sel:DWORD
	v_mov_b32_e32 v82, 0
	s_andn2_b32 s13, s13, exec_lo
	s_and_b32 s41, s41, exec_lo
	s_or_b32 s13, s13, s41
	s_or_b32 exec_lo, exec_lo, s40
	s_and_saveexec_b32 s40, s13
	s_cbranch_execnz .LBB4_2691
	s_branch .LBB4_2692
.LBB4_2925:                             ;   in Loop: Header=BB4_2253 Depth=2
	s_or_saveexec_b32 s40, s40
	v_mov_b32_e32 v118, 0x7f800001
	s_xor_b32 exec_lo, exec_lo, s40
	s_cbranch_execz .LBB4_2696
.LBB4_2926:                             ;   in Loop: Header=BB4_2253 Depth=2
	v_cmp_ne_u16_sdwa s41, v70, v52 src0_sel:BYTE_0 src1_sel:DWORD
	v_mov_b32_e32 v118, 0
	s_andn2_b32 s13, s13, exec_lo
	s_and_b32 s41, s41, exec_lo
	s_or_b32 s13, s13, s41
	s_or_b32 exec_lo, exec_lo, s40
	s_and_saveexec_b32 s40, s13
	s_cbranch_execnz .LBB4_2697
	s_branch .LBB4_2698
.LBB4_2927:                             ;   in Loop: Header=BB4_2253 Depth=2
	s_or_saveexec_b32 s40, s40
	v_mov_b32_e32 v82, 0x7f800001
	s_xor_b32 exec_lo, exec_lo, s40
	s_cbranch_execz .LBB4_2704
.LBB4_2928:                             ;   in Loop: Header=BB4_2253 Depth=2
	v_cmp_ne_u16_sdwa s41, v71, v52 src0_sel:BYTE_0 src1_sel:DWORD
	v_mov_b32_e32 v82, 0
	s_andn2_b32 s13, s13, exec_lo
	s_and_b32 s41, s41, exec_lo
	s_or_b32 s13, s13, s41
	s_or_b32 exec_lo, exec_lo, s40
	s_and_saveexec_b32 s40, s13
	s_cbranch_execnz .LBB4_2705
	s_branch .LBB4_2706
.LBB4_2929:                             ;   in Loop: Header=BB4_2253 Depth=2
	s_or_saveexec_b32 s40, s40
	v_mov_b32_e32 v71, 0x7f800001
	s_xor_b32 exec_lo, exec_lo, s40
	s_cbranch_execz .LBB4_2710
.LBB4_2930:                             ;   in Loop: Header=BB4_2253 Depth=2
	v_cmp_ne_u16_sdwa s41, v70, v52 src0_sel:BYTE_0 src1_sel:DWORD
	v_mov_b32_e32 v71, 0
	s_andn2_b32 s13, s13, exec_lo
	s_and_b32 s41, s41, exec_lo
	s_or_b32 s13, s13, s41
	s_or_b32 exec_lo, exec_lo, s40
	s_and_saveexec_b32 s40, s13
	s_cbranch_execnz .LBB4_2711
	s_branch .LBB4_2712
.LBB4_2931:                             ;   in Loop: Header=BB4_2253 Depth=2
	s_or_saveexec_b32 s40, s40
	v_mov_b32_e32 v71, 0x7f800001
	s_xor_b32 exec_lo, exec_lo, s40
	s_cbranch_execz .LBB4_2726
.LBB4_2932:                             ;   in Loop: Header=BB4_2253 Depth=2
	v_cmp_ne_u16_sdwa s41, v68, v52 src0_sel:BYTE_0 src1_sel:DWORD
	v_mov_b32_e32 v71, 0
	s_andn2_b32 s13, s13, exec_lo
	s_and_b32 s41, s41, exec_lo
	s_or_b32 s13, s13, s41
	s_or_b32 exec_lo, exec_lo, s40
	s_and_saveexec_b32 s40, s13
	s_cbranch_execnz .LBB4_2727
	s_branch .LBB4_2728
.LBB4_2933:                             ;   in Loop: Header=BB4_2253 Depth=2
	s_or_saveexec_b32 s40, s40
	v_mov_b32_e32 v82, 0x7f800001
	s_xor_b32 exec_lo, exec_lo, s40
	s_cbranch_execz .LBB4_2732
.LBB4_2934:                             ;   in Loop: Header=BB4_2253 Depth=2
	v_cmp_ne_u16_sdwa s41, v67, v52 src0_sel:BYTE_0 src1_sel:DWORD
	v_mov_b32_e32 v82, 0
	s_andn2_b32 s13, s13, exec_lo
	s_and_b32 s41, s41, exec_lo
	s_or_b32 s13, s13, s41
	s_or_b32 exec_lo, exec_lo, s40
	s_and_saveexec_b32 s40, s13
	s_cbranch_execnz .LBB4_2733
	s_branch .LBB4_2734
.LBB4_2935:                             ;   in Loop: Header=BB4_2253 Depth=2
	s_or_saveexec_b32 s40, s40
	v_mov_b32_e32 v71, 0x7f800001
	s_xor_b32 exec_lo, exec_lo, s40
	s_cbranch_execz .LBB4_2740
.LBB4_2936:                             ;   in Loop: Header=BB4_2253 Depth=2
	v_cmp_ne_u16_sdwa s41, v68, v52 src0_sel:BYTE_0 src1_sel:DWORD
	v_mov_b32_e32 v71, 0
	s_andn2_b32 s13, s13, exec_lo
	s_and_b32 s41, s41, exec_lo
	s_or_b32 s13, s13, s41
	s_or_b32 exec_lo, exec_lo, s40
	s_and_saveexec_b32 s40, s13
	s_cbranch_execnz .LBB4_2741
	s_branch .LBB4_2742
.LBB4_2937:                             ;   in Loop: Header=BB4_2253 Depth=2
	s_or_saveexec_b32 s40, s40
	v_mov_b32_e32 v68, 0x7f800001
	s_xor_b32 exec_lo, exec_lo, s40
	s_cbranch_execz .LBB4_2746
.LBB4_2938:                             ;   in Loop: Header=BB4_2253 Depth=2
	v_cmp_ne_u16_sdwa s41, v67, v52 src0_sel:BYTE_0 src1_sel:DWORD
	v_mov_b32_e32 v68, 0
	s_andn2_b32 s13, s13, exec_lo
	s_and_b32 s41, s41, exec_lo
	s_or_b32 s13, s13, s41
	s_or_b32 exec_lo, exec_lo, s40
	s_and_saveexec_b32 s40, s13
	s_cbranch_execnz .LBB4_2747
	s_branch .LBB4_2748
.LBB4_2939:                             ;   in Loop: Header=BB4_2253 Depth=2
	s_or_saveexec_b32 s40, s40
	v_mov_b32_e32 v68, 0x7f800001
	s_xor_b32 exec_lo, exec_lo, s40
	s_cbranch_execz .LBB4_2762
.LBB4_2940:                             ;   in Loop: Header=BB4_2253 Depth=2
	v_cmp_ne_u16_sdwa s41, v25, v52 src0_sel:BYTE_0 src1_sel:DWORD
	v_mov_b32_e32 v68, 0
	s_andn2_b32 s13, s13, exec_lo
	s_and_b32 s41, s41, exec_lo
	s_or_b32 s13, s13, s41
	s_or_b32 exec_lo, exec_lo, s40
	s_and_saveexec_b32 s40, s13
	s_cbranch_execnz .LBB4_2763
	s_branch .LBB4_2764
.LBB4_2941:                             ;   in Loop: Header=BB4_2253 Depth=2
	s_or_saveexec_b32 s40, s40
	v_mov_b32_e32 v71, 0x7f800001
	s_xor_b32 exec_lo, exec_lo, s40
	s_cbranch_execz .LBB4_2768
.LBB4_2942:                             ;   in Loop: Header=BB4_2253 Depth=2
	v_cmp_ne_u16_sdwa s41, v24, v52 src0_sel:BYTE_0 src1_sel:DWORD
	v_mov_b32_e32 v71, 0
	s_andn2_b32 s13, s13, exec_lo
	s_and_b32 s41, s41, exec_lo
	s_or_b32 s13, s13, s41
	s_or_b32 exec_lo, exec_lo, s40
	s_and_saveexec_b32 s40, s13
	s_cbranch_execnz .LBB4_2769
	s_branch .LBB4_2770
.LBB4_2943:                             ;   in Loop: Header=BB4_2253 Depth=2
	s_or_saveexec_b32 s40, s40
	v_mov_b32_e32 v68, 0x7f800001
	s_xor_b32 exec_lo, exec_lo, s40
	s_cbranch_execz .LBB4_2776
.LBB4_2944:                             ;   in Loop: Header=BB4_2253 Depth=2
	v_cmp_ne_u16_sdwa s41, v25, v52 src0_sel:BYTE_0 src1_sel:DWORD
	v_mov_b32_e32 v68, 0
	s_andn2_b32 s13, s13, exec_lo
	s_and_b32 s41, s41, exec_lo
	s_or_b32 s13, s13, s41
	s_or_b32 exec_lo, exec_lo, s40
	s_and_saveexec_b32 s40, s13
	s_cbranch_execnz .LBB4_2777
	s_branch .LBB4_2778
.LBB4_2945:                             ;   in Loop: Header=BB4_2253 Depth=2
	s_or_saveexec_b32 s40, s40
	v_mov_b32_e32 v25, 0x7f800001
	s_xor_b32 exec_lo, exec_lo, s40
	s_cbranch_execz .LBB4_2782
.LBB4_2946:                             ;   in Loop: Header=BB4_2253 Depth=2
	v_cmp_ne_u16_sdwa s41, v24, v52 src0_sel:BYTE_0 src1_sel:DWORD
	v_mov_b32_e32 v25, 0
	s_andn2_b32 s13, s13, exec_lo
	s_and_b32 s41, s41, exec_lo
	s_or_b32 s13, s13, s41
	s_or_b32 exec_lo, exec_lo, s40
	s_and_saveexec_b32 s40, s13
	s_cbranch_execnz .LBB4_2783
	s_branch .LBB4_2784
.LBB4_2947:                             ;   in Loop: Header=BB4_2253 Depth=2
	s_or_saveexec_b32 s40, s40
	v_mov_b32_e32 v25, 0x7f800001
	s_xor_b32 exec_lo, exec_lo, s40
	s_cbranch_execz .LBB4_2798
.LBB4_2948:                             ;   in Loop: Header=BB4_2253 Depth=2
	v_cmp_ne_u16_sdwa s41, v22, v52 src0_sel:BYTE_0 src1_sel:DWORD
	v_mov_b32_e32 v25, 0
	s_andn2_b32 s13, s13, exec_lo
	s_and_b32 s41, s41, exec_lo
	s_or_b32 s13, s13, s41
	s_or_b32 exec_lo, exec_lo, s40
	s_and_saveexec_b32 s40, s13
	s_cbranch_execnz .LBB4_2799
	s_branch .LBB4_2800
.LBB4_2949:                             ;   in Loop: Header=BB4_2253 Depth=2
	s_or_saveexec_b32 s40, s40
	v_mov_b32_e32 v68, 0x7f800001
	s_xor_b32 exec_lo, exec_lo, s40
	s_cbranch_execz .LBB4_2804
.LBB4_2950:                             ;   in Loop: Header=BB4_2253 Depth=2
	v_cmp_ne_u16_sdwa s41, v21, v52 src0_sel:BYTE_0 src1_sel:DWORD
	v_mov_b32_e32 v68, 0
	s_andn2_b32 s13, s13, exec_lo
	s_and_b32 s41, s41, exec_lo
	s_or_b32 s13, s13, s41
	s_or_b32 exec_lo, exec_lo, s40
	s_and_saveexec_b32 s40, s13
	s_cbranch_execnz .LBB4_2805
	s_branch .LBB4_2806
.LBB4_2951:                             ;   in Loop: Header=BB4_2253 Depth=2
	s_or_saveexec_b32 s40, s40
	v_mov_b32_e32 v25, 0x7f800001
	s_xor_b32 exec_lo, exec_lo, s40
	s_cbranch_execz .LBB4_2812
.LBB4_2952:                             ;   in Loop: Header=BB4_2253 Depth=2
	v_cmp_ne_u16_sdwa s41, v22, v52 src0_sel:BYTE_0 src1_sel:DWORD
	v_mov_b32_e32 v25, 0
	s_andn2_b32 s13, s13, exec_lo
	s_and_b32 s41, s41, exec_lo
	s_or_b32 s13, s13, s41
	s_or_b32 exec_lo, exec_lo, s40
	s_and_saveexec_b32 s40, s13
	s_cbranch_execnz .LBB4_2813
	s_branch .LBB4_2814
.LBB4_2953:                             ;   in Loop: Header=BB4_2253 Depth=2
	s_or_saveexec_b32 s40, s40
	v_mov_b32_e32 v22, 0x7f800001
	s_xor_b32 exec_lo, exec_lo, s40
	s_cbranch_execz .LBB4_2818
.LBB4_2954:                             ;   in Loop: Header=BB4_2253 Depth=2
	v_cmp_ne_u16_sdwa s41, v21, v52 src0_sel:BYTE_0 src1_sel:DWORD
	v_mov_b32_e32 v22, 0
	s_andn2_b32 s13, s13, exec_lo
	s_and_b32 s41, s41, exec_lo
	s_or_b32 s13, s13, s41
	s_or_b32 exec_lo, exec_lo, s40
	s_and_saveexec_b32 s40, s13
	s_cbranch_execnz .LBB4_2819
	s_branch .LBB4_2820
.LBB4_2955:                             ;   in Loop: Header=BB4_49 Depth=1
	s_or_b32 exec_lo, exec_lo, s29
.LBB4_2956:                             ;   in Loop: Header=BB4_49 Depth=1
	s_or_b32 exec_lo, exec_lo, s27
	v_and_b32_e32 v10, 0xfffffe00, v17
	v_cmp_ne_u32_e32 vcc_lo, v17, v10
	s_and_b32 exec_lo, exec_lo, vcc_lo
	s_cbranch_execz .LBB4_3004
; %bb.2957:                             ;   in Loop: Header=BB4_49 Depth=1
	v_lshlrev_b32_e32 v11, 5, v19
	v_lshlrev_b32_e32 v12, 5, v20
	v_sub_nc_u32_e32 v11, v18, v11
	v_sub_nc_u32_e32 v11, v11, v12
	v_and_b32_e32 v12, 0x1ff, v17
	v_sub_nc_u32_e32 v17, v12, v11
	v_cmp_lt_i32_e32 vcc_lo, 0, v17
	s_and_b32 exec_lo, exec_lo, vcc_lo
	s_cbranch_execz .LBB4_3004
; %bb.2958:                             ;   in Loop: Header=BB4_49 Depth=1
	s_trap 2
	ds_read_b128 v[12:15], v0
	ds_read_b64 v[18:19], v0
	v_add3_u32 v16, v10, v16, v11
	s_bitcmp1_b32 s26, 0
	s_mov_b32 s26, 0
	s_cselect_b32 s27, -1, 0
	v_ashrrev_i32_e32 v20, 31, v16
	s_waitcnt lgkmcnt(1)
	v_add_co_u32 v10, vcc_lo, v12, v16
	v_add_co_ci_u32_e64 v11, null, v13, v20, vcc_lo
	v_add_co_u32 v12, vcc_lo, v14, v16
	v_add_co_ci_u32_e64 v13, null, v15, v20, vcc_lo
	s_waitcnt lgkmcnt(0)
	v_add_co_u32 v14, vcc_lo, v18, v16
	v_add_co_ci_u32_e64 v15, null, v19, v20, vcc_lo
	s_branch .LBB4_2962
.LBB4_2959:                             ;   in Loop: Header=BB4_2962 Depth=2
	s_or_b32 exec_lo, exec_lo, s13
	v_lshrrev_b32_e32 v18, 21, v18
	v_cmp_gt_i32_e32 vcc_lo, 32, v16
	v_min_i32_e32 v19, 31, v16
	v_and_b32_sdwa v20, v20, v113 dst_sel:DWORD dst_unused:UNUSED_PAD src0_sel:BYTE_3 src1_sel:DWORD
	v_cndmask_b32_e32 v18, 3, v18, vcc_lo
	v_lshlrev_b32_e32 v19, 2, v19
	v_and_b32_e32 v21, 3, v18
	v_or_b32_e32 v16, v16, v18
	v_or3_b32 v18, v19, v20, v21
	v_cmp_ne_u32_e32 vcc_lo, 0, v16
	v_cndmask_b32_e32 v16, 0, v18, vcc_lo
.LBB4_2960:                             ;   in Loop: Header=BB4_2962 Depth=2
	s_or_b32 exec_lo, exec_lo, s29
.LBB4_2961:                             ;   in Loop: Header=BB4_2962 Depth=2
	s_or_b32 exec_lo, exec_lo, s28
	v_sub_nc_u32_e32 v17, v17, v101
	v_add_co_u32 v10, vcc_lo, v10, v101
	v_add_co_ci_u32_e64 v11, null, 0, v11, vcc_lo
	v_add_co_u32 v12, vcc_lo, v12, v101
	flat_store_byte v[14:15], v16 glc slc
	v_add_co_ci_u32_e64 v13, null, 0, v13, vcc_lo
	v_cmp_gt_i32_e32 vcc_lo, 1, v17
	v_add_co_u32 v14, s13, v14, v101
	v_add_co_ci_u32_e64 v15, null, 0, v15, s13
	s_or_b32 s26, vcc_lo, s26
	s_andn2_b32 exec_lo, exec_lo, s26
	s_cbranch_execz .LBB4_3004
.LBB4_2962:                             ;   Parent Loop BB4_49 Depth=1
                                        ; =>  This Inner Loop Header: Depth=2
	flat_load_ubyte v18, v[12:13] slc
	flat_load_ubyte v19, v[10:11] slc
	s_mov_b32 s13, -1
	s_waitcnt vmcnt(1) lgkmcnt(1)
	v_and_b32_e32 v16, 3, v18
	v_bfe_u32 v22, v18, 2, 5
	v_lshlrev_b32_e32 v23, 24, v18
	s_waitcnt vmcnt(0) lgkmcnt(0)
	v_cmp_gt_i16_sdwa s28, v19, v112 src0_sel:BYTE_0 src1_sel:DWORD
	v_ffbh_u32_e32 v20, v16
	v_cmp_eq_u32_e32 vcc_lo, 0, v22
	v_min_u32_e32 v20, 32, v20
	v_subrev_nc_u32_e32 v21, 29, v20
	v_sub_nc_u32_e32 v20, 30, v20
	v_lshlrev_b32_e32 v21, v21, v18
	v_cndmask_b32_e32 v20, v22, v20, vcc_lo
	v_and_b32_e32 v21, 3, v21
	v_lshl_add_u32 v20, v20, 23, 0x37800000
	v_cndmask_b32_e32 v16, v16, v21, vcc_lo
	v_and_b32_e32 v21, 0x80000000, v23
	s_and_b32 vcc_lo, exec_lo, s27
	v_lshlrev_b32_e32 v16, 21, v16
	v_or3_b32 v16, v21, v20, v16
                                        ; implicit-def: $vgpr20
	s_cbranch_vccz .LBB4_2976
; %bb.2963:                             ;   in Loop: Header=BB4_2962 Depth=2
	s_mov_b32 s13, 0
	s_and_saveexec_b32 s29, s28
	s_xor_b32 s28, exec_lo, s29
	s_cbranch_execz .LBB4_2996
; %bb.2964:                             ;   in Loop: Header=BB4_2962 Depth=2
	v_cmp_eq_u16_sdwa s40, v19, v113 src0_sel:BYTE_0 src1_sel:DWORD
	s_mov_b32 s13, -1
	s_and_saveexec_b32 s29, s40
; %bb.2965:                             ;   in Loop: Header=BB4_2962 Depth=2
	s_xor_b32 s13, exec_lo, -1
; %bb.2966:                             ;   in Loop: Header=BB4_2962 Depth=2
	s_or_b32 exec_lo, exec_lo, s29
	s_and_b32 s13, s13, exec_lo
	s_or_saveexec_b32 s28, s28
	v_mov_b32_e32 v20, 0x7f800001
	s_xor_b32 exec_lo, exec_lo, s28
	s_cbranch_execnz .LBB4_2997
.LBB4_2967:                             ;   in Loop: Header=BB4_2962 Depth=2
	s_or_b32 exec_lo, exec_lo, s28
	s_and_saveexec_b32 s28, s13
	s_cbranch_execz .LBB4_2969
.LBB4_2968:                             ;   in Loop: Header=BB4_2962 Depth=2
	v_and_b32_e32 v20, 3, v19
	v_lshrrev_b16 v22, 2, v19
	v_lshlrev_b32_e32 v24, 24, v19
	v_ffbh_u32_e32 v21, v20
	v_and_b32_e32 v22, 31, v22
	v_min_u32_e32 v21, 32, v21
	v_cmp_eq_u32_e32 vcc_lo, 0, v22
	v_subrev_nc_u32_e32 v23, 29, v21
	v_sub_nc_u32_e32 v21, 30, v21
	v_lshlrev_b32_e32 v23, v23, v19
	v_cndmask_b32_e32 v21, v22, v21, vcc_lo
	v_and_b32_e32 v22, 0x80000000, v24
	v_and_b32_e32 v23, 3, v23
	v_lshl_add_u32 v21, v21, 23, 0x37800000
	v_cndmask_b32_e32 v20, v20, v23, vcc_lo
	v_lshlrev_b32_e32 v20, 21, v20
	v_or3_b32 v20, v22, v21, v20
.LBB4_2969:                             ;   in Loop: Header=BB4_2962 Depth=2
	s_or_b32 exec_lo, exec_lo, s28
	v_cmp_gt_i16_sdwa s28, v18, v112 src0_sel:BYTE_0 src1_sel:DWORD
	s_mov_b32 s13, 0
	s_and_saveexec_b32 s29, s28
	s_xor_b32 s28, exec_lo, s29
	s_cbranch_execz .LBB4_2998
; %bb.2970:                             ;   in Loop: Header=BB4_2962 Depth=2
	v_cmp_eq_u16_sdwa s40, v18, v113 src0_sel:BYTE_0 src1_sel:DWORD
	s_mov_b32 s13, -1
	s_and_saveexec_b32 s29, s40
; %bb.2971:                             ;   in Loop: Header=BB4_2962 Depth=2
	s_xor_b32 s13, exec_lo, -1
; %bb.2972:                             ;   in Loop: Header=BB4_2962 Depth=2
	s_or_b32 exec_lo, exec_lo, s29
	s_and_b32 s13, s13, exec_lo
	s_or_saveexec_b32 s28, s28
	v_mov_b32_e32 v21, 0x7f800001
	s_xor_b32 exec_lo, exec_lo, s28
	s_cbranch_execnz .LBB4_2999
.LBB4_2973:                             ;   in Loop: Header=BB4_2962 Depth=2
	s_or_b32 exec_lo, exec_lo, s28
	s_and_saveexec_b32 s28, s13
.LBB4_2974:                             ;   in Loop: Header=BB4_2962 Depth=2
	v_mov_b32_e32 v21, v16
.LBB4_2975:                             ;   in Loop: Header=BB4_2962 Depth=2
	s_or_b32 exec_lo, exec_lo, s28
	v_max_f32_e32 v21, v21, v21
	v_max_f32_e32 v20, v20, v20
	s_mov_b32 s13, 0
	v_max_f32_e32 v20, v20, v21
.LBB4_2976:                             ;   in Loop: Header=BB4_2962 Depth=2
	s_and_b32 vcc_lo, exec_lo, s13
	s_cbranch_vccz .LBB4_2990
; %bb.2977:                             ;   in Loop: Header=BB4_2962 Depth=2
	v_cmp_gt_i16_sdwa s28, v19, v112 src0_sel:BYTE_0 src1_sel:DWORD
	s_mov_b32 s13, 0
	s_and_saveexec_b32 s29, s28
	s_xor_b32 s28, exec_lo, s29
	s_cbranch_execz .LBB4_3000
; %bb.2978:                             ;   in Loop: Header=BB4_2962 Depth=2
	v_cmp_eq_u16_sdwa s40, v19, v113 src0_sel:BYTE_0 src1_sel:DWORD
	s_mov_b32 s13, -1
	s_and_saveexec_b32 s29, s40
; %bb.2979:                             ;   in Loop: Header=BB4_2962 Depth=2
	s_xor_b32 s13, exec_lo, -1
; %bb.2980:                             ;   in Loop: Header=BB4_2962 Depth=2
	s_or_b32 exec_lo, exec_lo, s29
	s_and_b32 s13, s13, exec_lo
	s_or_saveexec_b32 s28, s28
	v_mov_b32_e32 v20, 0x7f800001
	s_xor_b32 exec_lo, exec_lo, s28
	s_cbranch_execnz .LBB4_3001
.LBB4_2981:                             ;   in Loop: Header=BB4_2962 Depth=2
	s_or_b32 exec_lo, exec_lo, s28
	s_and_saveexec_b32 s28, s13
	s_cbranch_execz .LBB4_2983
.LBB4_2982:                             ;   in Loop: Header=BB4_2962 Depth=2
	v_and_b32_e32 v20, 3, v19
	v_lshrrev_b16 v22, 2, v19
	v_ffbh_u32_e32 v21, v20
	v_and_b32_e32 v22, 31, v22
	v_min_u32_e32 v21, 32, v21
	v_cmp_eq_u32_e32 vcc_lo, 0, v22
	v_subrev_nc_u32_e32 v23, 29, v21
	v_sub_nc_u32_e32 v21, 30, v21
	v_lshlrev_b32_e32 v23, v23, v19
	v_lshlrev_b32_e32 v19, 24, v19
	v_cndmask_b32_e32 v21, v22, v21, vcc_lo
	v_and_b32_e32 v23, 3, v23
	v_and_b32_e32 v19, 0x80000000, v19
	v_lshl_add_u32 v21, v21, 23, 0x37800000
	v_cndmask_b32_e32 v20, v20, v23, vcc_lo
	v_lshlrev_b32_e32 v20, 21, v20
	v_or3_b32 v20, v19, v21, v20
.LBB4_2983:                             ;   in Loop: Header=BB4_2962 Depth=2
	s_or_b32 exec_lo, exec_lo, s28
	v_cmp_gt_i16_sdwa s28, v18, v112 src0_sel:BYTE_0 src1_sel:DWORD
	s_mov_b32 s13, 0
	s_and_saveexec_b32 s29, s28
	s_xor_b32 s28, exec_lo, s29
	s_cbranch_execz .LBB4_3002
; %bb.2984:                             ;   in Loop: Header=BB4_2962 Depth=2
	v_cmp_eq_u16_sdwa s40, v18, v113 src0_sel:BYTE_0 src1_sel:DWORD
	s_mov_b32 s13, -1
	s_and_saveexec_b32 s29, s40
; %bb.2985:                             ;   in Loop: Header=BB4_2962 Depth=2
	s_xor_b32 s13, exec_lo, -1
; %bb.2986:                             ;   in Loop: Header=BB4_2962 Depth=2
	s_or_b32 exec_lo, exec_lo, s29
	s_and_b32 s13, s13, exec_lo
                                        ; implicit-def: $vgpr18
	s_or_saveexec_b32 s28, s28
	v_mov_b32_e32 v19, 0x7f800001
	s_xor_b32 exec_lo, exec_lo, s28
	s_cbranch_execnz .LBB4_3003
.LBB4_2987:                             ;   in Loop: Header=BB4_2962 Depth=2
	s_or_b32 exec_lo, exec_lo, s28
	s_and_saveexec_b32 s28, s13
.LBB4_2988:                             ;   in Loop: Header=BB4_2962 Depth=2
	v_mov_b32_e32 v19, v16
.LBB4_2989:                             ;   in Loop: Header=BB4_2962 Depth=2
	s_or_b32 exec_lo, exec_lo, s28
	v_max_f32_e32 v16, v19, v19
	v_max_f32_e32 v18, v20, v20
	v_min_f32_e32 v20, v18, v16
.LBB4_2990:                             ;   in Loop: Header=BB4_2962 Depth=2
	v_and_b32_e32 v16, 0x7f800000, v20
	v_cmp_ne_u32_e32 vcc_lo, 0x7f800000, v16
	v_mov_b32_e32 v16, 0x80
	s_and_saveexec_b32 s28, vcc_lo
	s_cbranch_execz .LBB4_2961
; %bb.2991:                             ;   in Loop: Header=BB4_2962 Depth=2
	v_mov_b32_e32 v16, 0
	s_mov_b32 s29, exec_lo
	v_cmpx_ne_u32_e32 0, v20
	s_cbranch_execz .LBB4_2960
; %bb.2992:                             ;   in Loop: Header=BB4_2962 Depth=2
	v_bfe_u32 v16, v20, 23, 8
	v_and_b32_e32 v18, 0x7fffff, v20
	v_sub_nc_u32_e32 v19, 0x70, v16
	v_cmp_gt_u32_e32 vcc_lo, 0x71, v16
	v_or_b32_e32 v21, 0x800000, v18
	v_cndmask_b32_e32 v19, 0, v19, vcc_lo
	v_cmp_eq_u32_e32 vcc_lo, 0, v16
	v_add_nc_u32_e32 v16, 0xffffff91, v16
	v_cndmask_b32_e64 v19, v19, 0x6f, vcc_lo
	v_cndmask_b32_e32 v18, v21, v18, vcc_lo
	v_cndmask_b32_e64 v16, v16, 0xffffff92, vcc_lo
	v_lshl_add_u32 v21, 0x200000, v19, -1
	v_lshrrev_b32_e32 v22, v19, v18
	v_lshlrev_b32_e64 v24, v19, 0x100000
	v_add_nc_u32_e32 v19, v19, v16
	v_and_b32_e32 v18, v21, v18
	v_bfe_u32 v23, v22, 21, 1
	v_cmp_eq_u32_e64 s13, v18, v24
	v_add_nc_u32_e32 v21, -1, v23
	v_cndmask_b32_e64 v18, 0, v21, s13
	v_lshrrev_b32_e32 v21, 23, v22
	s_mov_b32 s13, exec_lo
	v_add_nc_u32_e32 v18, v18, v22
	v_xor_b32_e32 v21, 1, v21
	v_and_b32_e32 v16, 0x1fffff, v18
	v_add_nc_u32_e32 v18, v16, v22
                                        ; implicit-def: $vgpr16
	v_cmpx_ne_u32_e64 v19, v21
	s_xor_b32 s13, exec_lo, s13
; %bb.2993:                             ;   in Loop: Header=BB4_2962 Depth=2
	v_cmp_lt_u32_e32 vcc_lo, 0xffffff, v18
	v_sub_nc_u32_e32 v16, v19, v21
	v_cndmask_b32_e64 v19, 0, 1, vcc_lo
	v_add_co_ci_u32_e64 v16, null, 0, v16, vcc_lo
	v_lshrrev_b32_e32 v18, v19, v18
; %bb.2994:                             ;   in Loop: Header=BB4_2962 Depth=2
	s_andn2_saveexec_b32 s13, s13
	s_cbranch_execz .LBB4_2959
; %bb.2995:                             ;   in Loop: Header=BB4_2962 Depth=2
	v_bfe_u32 v16, v18, 23, 1
	s_branch .LBB4_2959
.LBB4_2996:                             ;   in Loop: Header=BB4_2962 Depth=2
	s_or_saveexec_b32 s28, s28
	v_mov_b32_e32 v20, 0x7f800001
	s_xor_b32 exec_lo, exec_lo, s28
	s_cbranch_execz .LBB4_2967
.LBB4_2997:                             ;   in Loop: Header=BB4_2962 Depth=2
	v_cmp_ne_u16_sdwa s29, v19, v52 src0_sel:BYTE_0 src1_sel:DWORD
	v_mov_b32_e32 v20, 0
	s_andn2_b32 s13, s13, exec_lo
	s_and_b32 s29, s29, exec_lo
	s_or_b32 s13, s13, s29
	s_or_b32 exec_lo, exec_lo, s28
	s_and_saveexec_b32 s28, s13
	s_cbranch_execnz .LBB4_2968
	s_branch .LBB4_2969
.LBB4_2998:                             ;   in Loop: Header=BB4_2962 Depth=2
	s_or_saveexec_b32 s28, s28
	v_mov_b32_e32 v21, 0x7f800001
	s_xor_b32 exec_lo, exec_lo, s28
	s_cbranch_execz .LBB4_2973
.LBB4_2999:                             ;   in Loop: Header=BB4_2962 Depth=2
	v_cmp_ne_u16_sdwa s29, v18, v52 src0_sel:BYTE_0 src1_sel:DWORD
	v_mov_b32_e32 v21, 0
	s_andn2_b32 s13, s13, exec_lo
	s_and_b32 s29, s29, exec_lo
	s_or_b32 s13, s13, s29
	s_or_b32 exec_lo, exec_lo, s28
	s_and_saveexec_b32 s28, s13
	s_cbranch_execnz .LBB4_2974
	s_branch .LBB4_2975
.LBB4_3000:                             ;   in Loop: Header=BB4_2962 Depth=2
	s_or_saveexec_b32 s28, s28
	v_mov_b32_e32 v20, 0x7f800001
	s_xor_b32 exec_lo, exec_lo, s28
	s_cbranch_execz .LBB4_2981
.LBB4_3001:                             ;   in Loop: Header=BB4_2962 Depth=2
	v_cmp_ne_u16_sdwa s29, v19, v52 src0_sel:BYTE_0 src1_sel:DWORD
	v_mov_b32_e32 v20, 0
	s_andn2_b32 s13, s13, exec_lo
	s_and_b32 s29, s29, exec_lo
	s_or_b32 s13, s13, s29
	s_or_b32 exec_lo, exec_lo, s28
	s_and_saveexec_b32 s28, s13
	s_cbranch_execnz .LBB4_2982
	s_branch .LBB4_2983
.LBB4_3002:                             ;   in Loop: Header=BB4_2962 Depth=2
	s_or_saveexec_b32 s28, s28
	v_mov_b32_e32 v19, 0x7f800001
	s_xor_b32 exec_lo, exec_lo, s28
	s_cbranch_execz .LBB4_2987
.LBB4_3003:                             ;   in Loop: Header=BB4_2962 Depth=2
	v_cmp_ne_u16_sdwa s29, v18, v52 src0_sel:BYTE_0 src1_sel:DWORD
	v_mov_b32_e32 v19, 0
	s_andn2_b32 s13, s13, exec_lo
	s_and_b32 s29, s29, exec_lo
	s_or_b32 s13, s13, s29
	s_or_b32 exec_lo, exec_lo, s28
	s_and_saveexec_b32 s28, s13
	s_cbranch_execnz .LBB4_2988
	s_branch .LBB4_2989
.LBB4_3004:                             ;   in Loop: Header=BB4_49 Depth=1
	s_or_b32 exec_lo, exec_lo, s14
	v_cmp_ne_u32_e64 s13, 0, v53
	s_and_saveexec_b32 s14, s6
	s_cbranch_execz .LBB4_3023
.LBB4_3005:                             ;   in Loop: Header=BB4_49 Depth=1
	s_and_saveexec_b32 s26, s20
	s_xor_b32 s26, exec_lo, s26
	s_cbranch_execz .LBB4_3020
; %bb.3006:                             ;   in Loop: Header=BB4_49 Depth=1
	s_and_saveexec_b32 s27, s7
	s_cbranch_execz .LBB4_3019
; %bb.3007:                             ;   in Loop: Header=BB4_49 Depth=1
	s_mov_b32 s29, exec_lo
	s_mov_b32 s28, exec_lo
	v_mbcnt_lo_u32_b32 v10, s29, 0
	s_waitcnt vmcnt(0) lgkmcnt(0)
	s_waitcnt_vscnt null, 0x0
	buffer_gl1_inv
	buffer_gl0_inv
	v_cmpx_eq_u32_e32 0, v10
	s_cbranch_execz .LBB4_3009
; %bb.3008:                             ;   in Loop: Header=BB4_49 Depth=1
	s_bcnt1_i32_b32 s29, s29
	v_mov_b32_e32 v11, v52
	v_mov_b32_e32 v10, s29
	ds_add_u64 v0, v[10:11]
	s_trap 2
.LBB4_3009:                             ;   in Loop: Header=BB4_49 Depth=1
	s_or_b32 exec_lo, exec_lo, s28
	s_trap 2
	ds_read_b64 v[10:11], v0
	s_waitcnt lgkmcnt(0)
	buffer_gl0_inv
	v_add_co_u32 v36, vcc_lo, v36, v97
	v_add_co_ci_u32_e64 v37, null, 0, v37, vcc_lo
	s_mov_b32 s28, exec_lo
	v_cmpx_lt_u64_e64 v[10:11], v[36:37]
	s_cbranch_execz .LBB4_3018
; %bb.3010:                             ;   in Loop: Header=BB4_49 Depth=1
	s_mov_b32 s29, 0
	s_mov_b32 s42, 0
                                        ; implicit-def: $sgpr40
                                        ; implicit-def: $sgpr41
	s_inst_prefetch 0x1
	s_branch .LBB4_3012
	.p2align	6
.LBB4_3011:                             ;   in Loop: Header=BB4_3012 Depth=2
	s_or_b32 exec_lo, exec_lo, s44
	s_and_b32 s43, exec_lo, s45
	s_or_b32 s29, s43, s29
	s_andn2_b32 s40, s40, exec_lo
	s_and_b32 s43, s41, exec_lo
	s_or_b32 s40, s40, s43
	s_andn2_b32 exec_lo, exec_lo, s29
	s_cbranch_execz .LBB4_3016
.LBB4_3012:                             ;   Parent Loop BB4_49 Depth=1
                                        ; =>  This Inner Loop Header: Depth=2
	s_add_i32 s42, s42, 1
	s_cmpk_lg_i32 s42, 0x2710
	s_cselect_b32 s43, -1, 0
	s_and_b32 vcc_lo, exec_lo, s43
	s_cbranch_vccz .LBB4_3014
; %bb.3013:                             ;   in Loop: Header=BB4_3012 Depth=2
	s_mov_b32 s45, -1
	s_or_b32 s41, s41, exec_lo
	s_and_saveexec_b32 s44, s43
	s_cbranch_execz .LBB4_3011
	s_branch .LBB4_3015
	.p2align	6
.LBB4_3014:                             ;   in Loop: Header=BB4_3012 Depth=2
	s_trap 2
	ds_read_b64 v[10:11], v0
	s_andn2_b32 s43, s43, exec_lo
	s_mov_b32 s42, 0
	s_waitcnt lgkmcnt(0)
	flat_load_dword v10, v[10:11] glc dlc
	s_waitcnt vmcnt(0) lgkmcnt(0)
	buffer_gl1_inv
	buffer_gl0_inv
	v_cmp_eq_u32_e32 vcc_lo, 0, v10
	s_and_b32 s44, vcc_lo, exec_lo
	s_or_b32 s43, s43, s44
	s_mov_b32 s45, -1
	s_or_b32 s41, s41, exec_lo
	s_and_saveexec_b32 s44, s43
	s_cbranch_execz .LBB4_3011
.LBB4_3015:                             ;   in Loop: Header=BB4_3012 Depth=2
	s_sleep 1
	s_trap 2
	ds_read_b64 v[10:11], v0
	s_waitcnt lgkmcnt(0)
	buffer_gl0_inv
	s_andn2_b32 s41, s41, exec_lo
	v_cmp_ge_u64_e32 vcc_lo, v[10:11], v[36:37]
	s_orn2_b32 s45, vcc_lo, exec_lo
	s_branch .LBB4_3011
.LBB4_3016:                             ;   in Loop: Header=BB4_49 Depth=1
	s_inst_prefetch 0x2
	s_or_b32 exec_lo, exec_lo, s29
	s_and_saveexec_b32 s29, s40
	s_xor_b32 s29, exec_lo, s29
	s_cbranch_execz .LBB4_3018
; %bb.3017:                             ;   in Loop: Header=BB4_49 Depth=1
	ds_write_b32 v0, v102
	s_trap 2
.LBB4_3018:                             ;   in Loop: Header=BB4_49 Depth=1
	s_or_b32 exec_lo, exec_lo, s28
	;;#ASMSTART
	s_wakeup
	;;#ASMEND
.LBB4_3019:                             ;   in Loop: Header=BB4_49 Depth=1
	s_or_b32 exec_lo, exec_lo, s27
.LBB4_3020:                             ;   in Loop: Header=BB4_49 Depth=1
	s_andn2_saveexec_b32 s26, s26
	s_cbranch_execz .LBB4_3022
; %bb.3021:                             ;   in Loop: Header=BB4_49 Depth=1
	s_waitcnt vmcnt(0) lgkmcnt(0)
	s_waitcnt_vscnt null, 0x0
	buffer_gl1_inv
	buffer_gl0_inv
	s_barrier
.LBB4_3022:                             ;   in Loop: Header=BB4_49 Depth=1
	s_or_b32 exec_lo, exec_lo, s26
.LBB4_3023:                             ;   in Loop: Header=BB4_49 Depth=1
	s_or_b32 exec_lo, exec_lo, s14
	v_and_b32_e32 v10, 16, v84
	v_cmp_ne_u32_e32 vcc_lo, 0, v10
	s_and_b32 s14, vcc_lo, s13
	s_and_saveexec_b32 s13, s14
	s_cbranch_execz .LBB4_3025
; %bb.3024:                             ;   in Loop: Header=BB4_49 Depth=1
	s_waitcnt vmcnt(0) lgkmcnt(0)
	s_waitcnt_vscnt null, 0x0
	buffer_gl1_inv
	buffer_gl0_inv
.LBB4_3025:                             ;   in Loop: Header=BB4_49 Depth=1
	s_or_b32 exec_lo, exec_lo, s13
	v_cmp_ne_u32_e32 vcc_lo, 0, v10
	s_xor_b32 s13, s12, -1
	s_and_b32 s14, vcc_lo, s13
	s_and_saveexec_b32 s13, s14
	s_cbranch_execz .LBB4_3027
; %bb.3026:                             ;   in Loop: Header=BB4_49 Depth=1
	s_waitcnt vmcnt(0) lgkmcnt(0)
	s_waitcnt_vscnt null, 0x0
	flat_store_dword v[50:51], v102
.LBB4_3027:                             ;   in Loop: Header=BB4_49 Depth=1
	s_or_b32 exec_lo, exec_lo, s13
	v_and_b32_e32 v10, 48, v84
	s_mov_b32 s13, exec_lo
	v_cmpx_ne_u32_e32 0, v10
	s_cbranch_execz .LBB4_3029
; %bb.3028:                             ;   in Loop: Header=BB4_49 Depth=1
	v_add_co_u32 v8, vcc_lo, v8, 1
	v_add_co_ci_u32_e64 v9, null, 0, v9, vcc_lo
	s_waitcnt vmcnt(0) lgkmcnt(0)
	s_waitcnt_vscnt null, 0x0
	flat_store_dwordx2 v[32:33], v[8:9]
.LBB4_3029:                             ;   in Loop: Header=BB4_49 Depth=1
	s_or_b32 exec_lo, exec_lo, s13
	v_mov_b32_e32 v10, v65
.LBB4_3030:                             ;   in Loop: Header=BB4_49 Depth=1
	s_or_b32 exec_lo, exec_lo, s25
	s_and_saveexec_b32 s14, s24
	s_cbranch_execz .LBB4_48
; %bb.3031:                             ;   in Loop: Header=BB4_49 Depth=1
	v_sub_nc_u32_e32 v10, v64, v10
	v_and_b32_e32 v11, 12, v84
	s_mov_b32 s24, exec_lo
	v_min_i32_e32 v10, v65, v10
	v_cmpx_ne_u32_e32 0, v11
	s_cbranch_execz .LBB4_3057
; %bb.3032:                             ;   in Loop: Header=BB4_49 Depth=1
	v_and_b32_e32 v16, 8, v84
	s_mov_b32 s25, exec_lo
	s_waitcnt vmcnt(0)
	v_add_co_u32 v14, vcc_lo, v38, v16
	v_add_co_ci_u32_e64 v15, null, 0, v39, vcc_lo
	s_waitcnt lgkmcnt(0)
	v_add_co_u32 v12, vcc_lo, v8, 1
	v_add_co_ci_u32_e64 v13, null, 0, v9, vcc_lo
	v_cmpx_lt_u64_e64 v[14:15], v[12:13]
	s_cbranch_execz .LBB4_3044
; %bb.3033:                             ;   in Loop: Header=BB4_49 Depth=1
	v_and_b32_e32 v9, 64, v84
	s_mov_b32 s26, 0
	s_mov_b32 s40, 0
                                        ; implicit-def: $sgpr27
                                        ; implicit-def: $sgpr28
                                        ; implicit-def: $sgpr29
	v_cmp_eq_u32_e32 vcc_lo, 0, v9
	s_branch .LBB4_3037
.LBB4_3034:                             ;   in Loop: Header=BB4_3037 Depth=2
	s_waitcnt vmcnt(0) lgkmcnt(0)
	v_add_co_u32 v14, s13, v38, v16
	v_add_co_ci_u32_e64 v15, null, 0, v39, s13
	s_or_b32 s43, s43, exec_lo
	v_cmp_ge_u64_e64 s13, v[14:15], v[12:13]
	s_orn2_b32 s42, s13, exec_lo
.LBB4_3035:                             ;   in Loop: Header=BB4_3037 Depth=2
	s_or_b32 exec_lo, exec_lo, s45
	s_andn2_b32 s13, s29, exec_lo
	s_and_b32 s29, s43, exec_lo
	s_andn2_b32 s28, s28, exec_lo
	s_and_b32 s42, s42, exec_lo
	s_or_b32 s29, s13, s29
	s_or_b32 s28, s28, s42
.LBB4_3036:                             ;   in Loop: Header=BB4_3037 Depth=2
	s_or_b32 exec_lo, exec_lo, s41
	s_and_b32 s13, exec_lo, s28
	s_or_b32 s26, s13, s26
	s_andn2_b32 s13, s27, exec_lo
	s_and_b32 s27, s29, exec_lo
	s_or_b32 s27, s13, s27
	s_andn2_b32 exec_lo, exec_lo, s26
	s_cbranch_execz .LBB4_3041
.LBB4_3037:                             ;   Parent Loop BB4_49 Depth=1
                                        ; =>  This Inner Loop Header: Depth=2
	s_sleep 1
	s_waitcnt vmcnt(0) lgkmcnt(0)
	flat_load_dwordx2 v[38:39], v[32:33] glc dlc
	s_or_b32 s29, s29, exec_lo
	s_or_b32 s28, s28, exec_lo
                                        ; implicit-def: $vgpr9
	s_and_saveexec_b32 s41, vcc_lo
	s_cbranch_execz .LBB4_3036
; %bb.3038:                             ;   in Loop: Header=BB4_3037 Depth=2
	s_cmpk_lt_i32 s40, 0x270f
	s_mov_b32 s42, -1
	s_cselect_b32 s44, -1, 0
	s_cmpk_gt_i32 s40, 0x270e
	s_cbranch_scc0 .LBB4_3040
; %bb.3039:                             ;   in Loop: Header=BB4_3037 Depth=2
	s_trap 2
	ds_read_b64 v[14:15], v0
	s_andn2_b32 s40, s44, exec_lo
	s_mov_b32 s43, 0
	s_waitcnt vmcnt(0) lgkmcnt(0)
	s_waitcnt_vscnt null, 0x0
	flat_load_dword v9, v[14:15] glc dlc
	s_waitcnt vmcnt(0) lgkmcnt(0)
	buffer_gl1_inv
	buffer_gl0_inv
	v_cmp_eq_u32_e64 s13, 0, v9
	s_and_b32 s13, s13, exec_lo
	s_or_b32 s44, s40, s13
	s_mov_b32 s40, 0
	s_and_saveexec_b32 s45, s44
	s_cbranch_execz .LBB4_3035
	s_branch .LBB4_3034
.LBB4_3040:                             ;   in Loop: Header=BB4_3037 Depth=2
	s_add_i32 s40, s40, 1
	s_mov_b32 s43, -1
                                        ; implicit-def: $vgpr9
	s_and_saveexec_b32 s45, s44
	s_cbranch_execz .LBB4_3035
	s_branch .LBB4_3034
.LBB4_3041:                             ;   in Loop: Header=BB4_49 Depth=1
	s_or_b32 exec_lo, exec_lo, s26
	s_xor_b32 s13, s27, -1
	s_and_saveexec_b32 s26, s13
	s_xor_b32 s13, exec_lo, s26
	s_cbranch_execz .LBB4_3043
; %bb.3042:                             ;   in Loop: Header=BB4_49 Depth=1
	v_or_b32_e32 v84, 64, v84
	s_waitcnt vmcnt(0) lgkmcnt(0)
	s_waitcnt_vscnt null, 0x0
	ds_write_b32 v0, v9
	s_trap 2
.LBB4_3043:                             ;   in Loop: Header=BB4_49 Depth=1
	s_or_b32 exec_lo, exec_lo, s13
.LBB4_3044:                             ;   in Loop: Header=BB4_49 Depth=1
	s_or_b32 exec_lo, exec_lo, s25
	v_and_b32_e32 v9, 0x108, v84
	v_and_b32_e32 v17, 7, v8
	s_mov_b32 s13, exec_lo
	;;#ASMSTART
	s_wakeup
	;;#ASMEND
	v_cmpx_ne_u32_e32 0x108, v9
	s_xor_b32 s13, exec_lo, s13
                                        ; implicit-def: $vgpr18
; %bb.3045:                             ;   in Loop: Header=BB4_49 Depth=1
	v_mov_b32_e32 v18, v52
; %bb.3046:                             ;   in Loop: Header=BB4_49 Depth=1
	s_andn2_saveexec_b32 s13, s13
	s_cbranch_execz .LBB4_3048
; %bb.3047:                             ;   in Loop: Header=BB4_49 Depth=1
	v_mad_u64_u32 v[8:9], null, v17, 24, v[6:7]
	v_ashrrev_i32_e32 v11, 31, v10
	v_mov_b32_e32 v18, v52
	flat_store_dwordx2 v[8:9], v[10:11] offset:8
.LBB4_3048:                             ;   in Loop: Header=BB4_49 Depth=1
	s_or_b32 exec_lo, exec_lo, s13
	v_and_b32_e32 v8, 0x100, v84
	s_mov_b32 s13, -1
	v_cmp_ne_u32_e32 vcc_lo, 0, v8
                                        ; implicit-def: $vgpr8_vgpr9
	s_and_saveexec_b32 s25, vcc_lo
	s_cbranch_execz .LBB4_3052
; %bb.3049:                             ;   in Loop: Header=BB4_49 Depth=1
	v_mad_u64_u32 v[14:15], null, v17, 24, v[6:7]
	v_mov_b32_e32 v8, v15
	v_mad_u64_u32 v[8:9], null, v18, 24, v[8:9]
	v_mov_b32_e32 v15, v8
	flat_load_dword v8, v[14:15]
	s_waitcnt vmcnt(0) lgkmcnt(0)
	v_cmp_eq_u32_e64 s13, 1, v8
	v_cmp_ne_u32_e32 vcc_lo, 1, v8
                                        ; implicit-def: $vgpr8_vgpr9
	s_and_saveexec_b32 s26, s13
	s_cbranch_execz .LBB4_3051
; %bb.3050:                             ;   in Loop: Header=BB4_49 Depth=1
	flat_load_dword v8, v[14:15] offset:4 glc dlc
	s_waitcnt vmcnt(0) lgkmcnt(0)
	v_ashrrev_i32_e32 v9, 31, v8
.LBB4_3051:                             ;   in Loop: Header=BB4_49 Depth=1
	s_or_b32 exec_lo, exec_lo, s26
	s_orn2_b32 s13, vcc_lo, exec_lo
.LBB4_3052:                             ;   in Loop: Header=BB4_49 Depth=1
	s_or_b32 exec_lo, exec_lo, s25
	s_and_saveexec_b32 s25, s13
; %bb.3053:                             ;   in Loop: Header=BB4_49 Depth=1
	v_mul_lo_u32 v11, v18, v85
	v_mul_lo_u32 v14, v17, v86
	v_mad_u64_u32 v[8:9], null, v17, v85, 0
	v_add3_u32 v9, v9, v14, v11
; %bb.3054:                             ;   in Loop: Header=BB4_49 Depth=1
	s_or_b32 exec_lo, exec_lo, s25
	v_cmp_eq_u32_e32 vcc_lo, 0, v16
	v_and_b32_e32 v14, 0x2000, v84
	s_mov_b32 s13, exec_lo
	v_cndmask_b32_e32 v11, 0xc8, v103, vcc_lo
	v_add_co_u32 v8, vcc_lo, v34, v8
	v_add_co_ci_u32_e64 v9, null, v35, v9, vcc_lo
	v_add_nc_u32_e32 v11, v0, v11
	ds_write_b64 v11, v[8:9] offset:584
	v_cmpx_ne_u32_e32 0, v14
	s_cbranch_execz .LBB4_3056
; %bb.3055:                             ;   in Loop: Header=BB4_49 Depth=1
	ds_read_b64 v[8:9], v0 offset:872
	s_waitcnt lgkmcnt(0)
	v_add_co_u32 v8, vcc_lo, v8, 1
	v_add_co_ci_u32_e64 v9, null, 0, v9, vcc_lo
	ds_write_b64 v0, v[8:9] offset:872
.LBB4_3056:                             ;   in Loop: Header=BB4_49 Depth=1
	s_or_b32 exec_lo, exec_lo, s13
	v_mov_b32_e32 v8, v12
	v_mov_b32_e32 v9, v13
.LBB4_3057:                             ;   in Loop: Header=BB4_49 Depth=1
	s_or_b32 exec_lo, exec_lo, s24
	s_and_saveexec_b32 s13, s6
	s_cbranch_execz .LBB4_3076
; %bb.3058:                             ;   in Loop: Header=BB4_49 Depth=1
	s_and_saveexec_b32 s24, s20
	s_xor_b32 s24, exec_lo, s24
	s_cbranch_execz .LBB4_3073
; %bb.3059:                             ;   in Loop: Header=BB4_49 Depth=1
	s_and_saveexec_b32 s25, s7
	s_cbranch_execz .LBB4_3072
; %bb.3060:                             ;   in Loop: Header=BB4_49 Depth=1
	s_mov_b32 s27, exec_lo
	s_mov_b32 s26, exec_lo
	v_mbcnt_lo_u32_b32 v11, s27, 0
	s_waitcnt vmcnt(0) lgkmcnt(0)
	s_waitcnt_vscnt null, 0x0
	buffer_gl1_inv
	buffer_gl0_inv
	v_cmpx_eq_u32_e32 0, v11
	s_cbranch_execz .LBB4_3062
; %bb.3061:                             ;   in Loop: Header=BB4_49 Depth=1
	s_bcnt1_i32_b32 s27, s27
	v_mov_b32_e32 v12, v52
	v_mov_b32_e32 v11, s27
	ds_add_u64 v0, v[11:12]
	s_trap 2
.LBB4_3062:                             ;   in Loop: Header=BB4_49 Depth=1
	s_or_b32 exec_lo, exec_lo, s26
	s_trap 2
	ds_read_b64 v[11:12], v0
	s_waitcnt lgkmcnt(0)
	buffer_gl0_inv
	v_add_co_u32 v36, vcc_lo, v36, v97
	v_add_co_ci_u32_e64 v37, null, 0, v37, vcc_lo
	s_mov_b32 s26, exec_lo
	v_cmpx_lt_u64_e64 v[11:12], v[36:37]
	s_cbranch_execz .LBB4_3071
; %bb.3063:                             ;   in Loop: Header=BB4_49 Depth=1
	s_mov_b32 s27, 0
	s_mov_b32 s40, 0
                                        ; implicit-def: $sgpr28
                                        ; implicit-def: $sgpr29
	s_inst_prefetch 0x1
	s_branch .LBB4_3065
	.p2align	6
.LBB4_3064:                             ;   in Loop: Header=BB4_3065 Depth=2
	s_or_b32 exec_lo, exec_lo, s42
	s_and_b32 s41, exec_lo, s43
	s_or_b32 s27, s41, s27
	s_andn2_b32 s28, s28, exec_lo
	s_and_b32 s41, s29, exec_lo
	s_or_b32 s28, s28, s41
	s_andn2_b32 exec_lo, exec_lo, s27
	s_cbranch_execz .LBB4_3069
.LBB4_3065:                             ;   Parent Loop BB4_49 Depth=1
                                        ; =>  This Inner Loop Header: Depth=2
	s_add_i32 s40, s40, 1
	s_cmpk_lg_i32 s40, 0x2710
	s_cselect_b32 s41, -1, 0
	s_and_b32 vcc_lo, exec_lo, s41
	s_cbranch_vccz .LBB4_3067
; %bb.3066:                             ;   in Loop: Header=BB4_3065 Depth=2
	s_mov_b32 s43, -1
	s_or_b32 s29, s29, exec_lo
	s_and_saveexec_b32 s42, s41
	s_cbranch_execz .LBB4_3064
	s_branch .LBB4_3068
	.p2align	6
.LBB4_3067:                             ;   in Loop: Header=BB4_3065 Depth=2
	s_trap 2
	ds_read_b64 v[11:12], v0
	s_andn2_b32 s41, s41, exec_lo
	s_mov_b32 s40, 0
	s_waitcnt lgkmcnt(0)
	flat_load_dword v11, v[11:12] glc dlc
	s_waitcnt vmcnt(0) lgkmcnt(0)
	buffer_gl1_inv
	buffer_gl0_inv
	v_cmp_eq_u32_e32 vcc_lo, 0, v11
	s_and_b32 s42, vcc_lo, exec_lo
	s_or_b32 s41, s41, s42
	s_mov_b32 s43, -1
	s_or_b32 s29, s29, exec_lo
	s_and_saveexec_b32 s42, s41
	s_cbranch_execz .LBB4_3064
.LBB4_3068:                             ;   in Loop: Header=BB4_3065 Depth=2
	s_sleep 1
	s_trap 2
	ds_read_b64 v[11:12], v0
	s_waitcnt lgkmcnt(0)
	buffer_gl0_inv
	s_andn2_b32 s29, s29, exec_lo
	v_cmp_ge_u64_e32 vcc_lo, v[11:12], v[36:37]
	s_orn2_b32 s43, vcc_lo, exec_lo
	s_branch .LBB4_3064
.LBB4_3069:                             ;   in Loop: Header=BB4_49 Depth=1
	s_inst_prefetch 0x2
	s_or_b32 exec_lo, exec_lo, s27
	s_and_saveexec_b32 s27, s28
	s_xor_b32 s27, exec_lo, s27
	s_cbranch_execz .LBB4_3071
; %bb.3070:                             ;   in Loop: Header=BB4_49 Depth=1
	ds_write_b32 v0, v102
	s_trap 2
.LBB4_3071:                             ;   in Loop: Header=BB4_49 Depth=1
	s_or_b32 exec_lo, exec_lo, s26
	;;#ASMSTART
	s_wakeup
	;;#ASMEND
.LBB4_3072:                             ;   in Loop: Header=BB4_49 Depth=1
	s_or_b32 exec_lo, exec_lo, s25
.LBB4_3073:                             ;   in Loop: Header=BB4_49 Depth=1
	s_andn2_saveexec_b32 s24, s24
	s_cbranch_execz .LBB4_3075
; %bb.3074:                             ;   in Loop: Header=BB4_49 Depth=1
	s_waitcnt vmcnt(0) lgkmcnt(0)
	s_waitcnt_vscnt null, 0x0
	buffer_gl1_inv
	buffer_gl0_inv
	s_barrier
.LBB4_3075:                             ;   in Loop: Header=BB4_49 Depth=1
	s_or_b32 exec_lo, exec_lo, s24
.LBB4_3076:                             ;   in Loop: Header=BB4_49 Depth=1
	s_or_b32 exec_lo, exec_lo, s13
	s_trap 2
	ds_read_b32 v11, v0
	v_cmp_lt_i32_e32 vcc_lo, 0, v10
	s_waitcnt lgkmcnt(0)
	v_readfirstlane_b32 s13, v11
	v_and_b32_e32 v11, 16, v84
	s_cmp_eq_u32 s13, 0
	v_cmp_ne_u32_e64 s13, 0, v11
	s_cselect_b32 s24, -1, 0
	s_and_b32 s24, vcc_lo, s24
	s_and_b32 s24, s13, s24
	s_and_saveexec_b32 s13, s24
	s_cbranch_execz .LBB4_3078
; %bb.3077:                             ;   in Loop: Header=BB4_49 Depth=1
	s_waitcnt vmcnt(0)
	s_waitcnt_vscnt null, 0x0
	buffer_gl1_inv
	buffer_gl0_inv
.LBB4_3078:                             ;   in Loop: Header=BB4_49 Depth=1
	s_or_b32 exec_lo, exec_lo, s13
	v_cmp_ne_u32_e32 vcc_lo, 0, v11
	s_xor_b32 s13, s12, -1
	s_and_b32 s24, vcc_lo, s13
	s_and_saveexec_b32 s13, s24
	s_cbranch_execz .LBB4_3080
; %bb.3079:                             ;   in Loop: Header=BB4_49 Depth=1
	s_waitcnt vmcnt(0)
	s_waitcnt_vscnt null, 0x0
	flat_store_dword v[50:51], v102
.LBB4_3080:                             ;   in Loop: Header=BB4_49 Depth=1
	s_or_b32 exec_lo, exec_lo, s13
	v_and_b32_e32 v10, 48, v84
	s_mov_b32 s13, exec_lo
	v_cmpx_ne_u32_e32 0, v10
	s_cbranch_execz .LBB4_47
; %bb.3081:                             ;   in Loop: Header=BB4_49 Depth=1
	v_add_co_u32 v8, vcc_lo, v8, 1
	v_add_co_ci_u32_e64 v9, null, 0, v9, vcc_lo
	s_waitcnt vmcnt(0) lgkmcnt(0)
	s_waitcnt_vscnt null, 0x0
	flat_store_dwordx2 v[32:33], v[8:9]
	s_branch .LBB4_47
.LBB4_3082:
	s_or_b32 exec_lo, exec_lo, s21
.LBB4_3083:
	s_or_b32 exec_lo, exec_lo, s19
                                        ; implicit-def: $vgpr26_vgpr27
                                        ; implicit-def: $vgpr4_vgpr5
                                        ; implicit-def: $vgpr85
                                        ; implicit-def: $vgpr38_vgpr39
                                        ; implicit-def: $vgpr34_vgpr35
                                        ; implicit-def: $vgpr32_vgpr33
                                        ; implicit-def: $vgpr0
                                        ; implicit-def: $vgpr25
                                        ; implicit-def: $vgpr48
.LBB4_3084:
	s_andn2_saveexec_b32 s14, s18
	s_cbranch_execz .LBB4_6112
; %bb.3085:
	v_mov_b32_e32 v36, 0
	v_mov_b32_e32 v37, 0
	s_mov_b32 s18, exec_lo
	v_cmpx_ne_u64_e32 0, v[4:5]
	s_cbranch_execz .LBB4_6111
; %bb.3086:
	v_and_b32_e32 v10, 31, v31
	v_lshrrev_b32_e32 v82, 5, v0
	v_and_b32_e32 v83, 31, v0
	v_lshrrev_b32_e32 v86, 5, v1
	s_ashr_i32 s6, s16, 31
	v_cmp_eq_u32_e64 s7, 0, v10
	v_lshlrev_b32_e32 v10, 10, v82
	s_lshr_b32 s6, s6, 24
	v_cmp_eq_u32_e32 vcc_lo, 32, v1
	v_mov_b32_e32 v52, 0
	v_mov_b32_e32 v36, 0
	v_cmp_ge_u32_e64 s5, v0, v1
	s_add_i32 s12, s16, s6
	v_cmp_ne_u32_e64 s6, 32, v1
	s_waitcnt vmcnt(0)
	v_cmp_ne_u32_sdwa s19, v1, v30 src0_sel:DWORD src1_sel:WORD_0
	s_waitcnt lgkmcnt(1)
	v_mov_b32_e32 v51, 0
	v_cmp_le_u32_e64 s10, v83, v25
	v_cmp_eq_u32_e64 s11, 0, v83
	v_lshl_or_b32 v87, v83, 4, v10
	v_lshlrev_b32_e32 v96, 10, v86
	v_lshlrev_b32_e32 v97, 9, v86
	v_and_b32_e32 v98, 0x1fe0, v1
	v_mov_b32_e32 v53, 0
	v_mov_b32_e32 v99, 1
	;; [unrolled: 1-line block ×8, first 2 shown]
	s_ashr_i32 s21, s12, 8
	s_mov_b32 s20, 0
	s_xor_b32 s22, vcc_lo, -1
	s_trap 2
	s_branch .LBB4_3089
.LBB4_3087:                             ;   in Loop: Header=BB4_3089 Depth=1
	s_or_b32 exec_lo, exec_lo, s12
.LBB4_3088:                             ;   in Loop: Header=BB4_3089 Depth=1
	s_or_b32 exec_lo, exec_lo, s13
	v_add_co_u32 v52, vcc_lo, v52, v48
	v_add_co_ci_u32_e64 v53, null, 0, v53, vcc_lo
	v_cmp_ge_u64_e32 vcc_lo, v[52:53], v[4:5]
	s_or_b32 s20, vcc_lo, s20
	s_andn2_b32 exec_lo, exec_lo, s20
	s_cbranch_execz .LBB4_6110
.LBB4_3089:                             ; =>This Loop Header: Depth=1
                                        ;     Child Loop BB4_3098 Depth 2
                                        ;     Child Loop BB4_3122 Depth 2
	;; [unrolled: 1-line block ×10, first 2 shown]
	v_sub_co_u32 v10, vcc_lo, v4, v52
	v_sub_co_ci_u32_e64 v11, null, v5, v53, vcc_lo
	v_mov_b32_e32 v14, 0
	v_cmp_lt_u64_e32 vcc_lo, v[48:49], v[10:11]
	v_cndmask_b32_e32 v54, v10, v48, vcc_lo
	v_cndmask_b32_e64 v55, v11, 0, vcc_lo
	v_add_nc_u32_e32 v10, 15, v54
	v_cmp_eq_u64_e32 vcc_lo, 0, v[54:55]
	v_and_b32_e32 v10, 0x7ffffff0, v10
	s_or_b32 s23, s5, vcc_lo
	s_xor_b32 s12, s23, -1
	v_max_i32_e32 v55, s21, v10
	s_and_saveexec_b32 s24, s12
	s_cbranch_execz .LBB4_6064
; %bb.3090:                             ;   in Loop: Header=BB4_3089 Depth=1
	s_and_saveexec_b32 s13, s4
	s_cbranch_execz .LBB4_3092
; %bb.3091:                             ;   in Loop: Header=BB4_3089 Depth=1
	s_trap 2
	ds_read2_b64 v[10:13], v0 offset1:1
	ds_read_b64 v[14:15], v0
	v_add_co_u32 v16, vcc_lo, v52, v26
	v_add_co_ci_u32_e64 v17, null, v53, v27, vcc_lo
	s_waitcnt lgkmcnt(1)
	v_add_co_u32 v10, vcc_lo, v10, v16
	v_add_co_ci_u32_e64 v11, null, v11, v17, vcc_lo
	s_waitcnt lgkmcnt(0)
	v_add_co_u32 v18, vcc_lo, v14, v16
	v_add_co_ci_u32_e64 v19, null, v15, v17, vcc_lo
	v_cmp_ne_u64_e32 vcc_lo, 0, v[14:15]
	v_add_co_u32 v12, s12, v12, v16
	v_add_co_ci_u32_e64 v13, null, v13, v17, s12
	v_cndmask_b32_e32 v15, 0, v19, vcc_lo
	v_cndmask_b32_e32 v14, 0, v18, vcc_lo
	ds_write_b64 v0, v[10:11]
	ds_write_b64 v0, v[12:13]
	;; [unrolled: 1-line block ×3, first 2 shown]
.LBB4_3092:                             ;   in Loop: Header=BB4_3089 Depth=1
	s_or_b32 exec_lo, exec_lo, s13
	v_and_b32_e32 v10, 4, v84
	s_mov_b32 s13, exec_lo
	v_cmpx_ne_u32_e32 0, v10
	s_cbranch_execz .LBB4_3114
; %bb.3093:                             ;   in Loop: Header=BB4_3089 Depth=1
	s_waitcnt lgkmcnt(0)
	v_add_co_u32 v10, vcc_lo, v8, 1
	v_add_co_ci_u32_e64 v11, null, 0, v9, vcc_lo
	s_mov_b32 s25, exec_lo
	s_waitcnt vmcnt(0)
	v_cmpx_lt_u64_e64 v[38:39], v[10:11]
	s_cbranch_execz .LBB4_3105
; %bb.3094:                             ;   in Loop: Header=BB4_3089 Depth=1
	v_and_b32_e32 v9, 64, v84
	s_mov_b32 s26, 0
	s_mov_b32 s40, 0
                                        ; implicit-def: $sgpr27
                                        ; implicit-def: $sgpr28
                                        ; implicit-def: $sgpr29
	v_cmp_eq_u32_e32 vcc_lo, 0, v9
	s_branch .LBB4_3098
.LBB4_3095:                             ;   in Loop: Header=BB4_3098 Depth=2
	s_waitcnt vmcnt(0) lgkmcnt(0)
	v_cmp_ge_u64_e64 s12, v[38:39], v[10:11]
	s_or_b32 s43, s43, exec_lo
	s_orn2_b32 s42, s12, exec_lo
.LBB4_3096:                             ;   in Loop: Header=BB4_3098 Depth=2
	s_or_b32 exec_lo, exec_lo, s45
	s_andn2_b32 s12, s29, exec_lo
	s_and_b32 s29, s43, exec_lo
	s_andn2_b32 s28, s28, exec_lo
	s_and_b32 s42, s42, exec_lo
	s_or_b32 s29, s12, s29
	s_or_b32 s28, s28, s42
.LBB4_3097:                             ;   in Loop: Header=BB4_3098 Depth=2
	s_or_b32 exec_lo, exec_lo, s41
	s_and_b32 s12, exec_lo, s28
	s_or_b32 s26, s12, s26
	s_andn2_b32 s12, s27, exec_lo
	s_and_b32 s27, s29, exec_lo
	s_or_b32 s27, s12, s27
	s_andn2_b32 exec_lo, exec_lo, s26
	s_cbranch_execz .LBB4_3102
.LBB4_3098:                             ;   Parent Loop BB4_3089 Depth=1
                                        ; =>  This Inner Loop Header: Depth=2
	s_sleep 1
	s_waitcnt vmcnt(0) lgkmcnt(0)
	flat_load_dwordx2 v[38:39], v[32:33] glc dlc
	s_or_b32 s29, s29, exec_lo
	s_or_b32 s28, s28, exec_lo
                                        ; implicit-def: $vgpr9
	s_and_saveexec_b32 s41, vcc_lo
	s_cbranch_execz .LBB4_3097
; %bb.3099:                             ;   in Loop: Header=BB4_3098 Depth=2
	s_cmpk_lt_i32 s40, 0x270f
	s_mov_b32 s42, -1
	s_cselect_b32 s44, -1, 0
	s_cmpk_gt_i32 s40, 0x270e
	s_cbranch_scc0 .LBB4_3101
; %bb.3100:                             ;   in Loop: Header=BB4_3098 Depth=2
	s_trap 2
	ds_read_b64 v[12:13], v0
	s_andn2_b32 s40, s44, exec_lo
	s_mov_b32 s43, 0
	s_waitcnt vmcnt(0) lgkmcnt(0)
	s_waitcnt_vscnt null, 0x0
	flat_load_dword v9, v[12:13] glc dlc
	s_waitcnt vmcnt(0) lgkmcnt(0)
	buffer_gl1_inv
	buffer_gl0_inv
	v_cmp_eq_u32_e64 s12, 0, v9
	s_and_b32 s12, s12, exec_lo
	s_or_b32 s44, s40, s12
	s_mov_b32 s40, 0
	s_and_saveexec_b32 s45, s44
	s_cbranch_execz .LBB4_3096
	s_branch .LBB4_3095
.LBB4_3101:                             ;   in Loop: Header=BB4_3098 Depth=2
	s_add_i32 s40, s40, 1
	s_mov_b32 s43, -1
                                        ; implicit-def: $vgpr9
	s_and_saveexec_b32 s45, s44
	s_cbranch_execz .LBB4_3096
	s_branch .LBB4_3095
.LBB4_3102:                             ;   in Loop: Header=BB4_3089 Depth=1
	s_or_b32 exec_lo, exec_lo, s26
	s_xor_b32 s12, s27, -1
	s_and_saveexec_b32 s26, s12
	s_xor_b32 s12, exec_lo, s26
	s_cbranch_execz .LBB4_3104
; %bb.3103:                             ;   in Loop: Header=BB4_3089 Depth=1
	v_or_b32_e32 v84, 64, v84
	s_waitcnt vmcnt(0) lgkmcnt(0)
	s_waitcnt_vscnt null, 0x0
	ds_write_b32 v0, v9
	s_trap 2
.LBB4_3104:                             ;   in Loop: Header=BB4_3089 Depth=1
	s_or_b32 exec_lo, exec_lo, s12
.LBB4_3105:                             ;   in Loop: Header=BB4_3089 Depth=1
	s_or_b32 exec_lo, exec_lo, s25
	v_and_b32_e32 v9, 0x100, v84
	v_and_b32_e32 v14, 7, v8
	s_mov_b32 s12, -1
	;;#ASMSTART
	s_wakeup
	;;#ASMEND
	v_cmp_ne_u32_e32 vcc_lo, 0, v9
                                        ; implicit-def: $vgpr8_vgpr9
	s_and_saveexec_b32 s25, vcc_lo
	s_cbranch_execz .LBB4_3109
; %bb.3106:                             ;   in Loop: Header=BB4_3089 Depth=1
	v_mad_u64_u32 v[12:13], null, v14, 24, v[6:7]
	flat_load_dword v8, v[12:13]
	s_waitcnt vmcnt(0) lgkmcnt(0)
	v_cmp_eq_u32_e64 s12, 1, v8
	v_cmp_ne_u32_e32 vcc_lo, 1, v8
                                        ; implicit-def: $vgpr8_vgpr9
	s_and_saveexec_b32 s26, s12
	s_cbranch_execz .LBB4_3108
; %bb.3107:                             ;   in Loop: Header=BB4_3089 Depth=1
	flat_load_dword v8, v[12:13] offset:4 glc dlc
	s_waitcnt vmcnt(0) lgkmcnt(0)
	v_ashrrev_i32_e32 v9, 31, v8
.LBB4_3108:                             ;   in Loop: Header=BB4_3089 Depth=1
	s_or_b32 exec_lo, exec_lo, s26
	s_orn2_b32 s12, vcc_lo, exec_lo
.LBB4_3109:                             ;   in Loop: Header=BB4_3089 Depth=1
	s_or_b32 exec_lo, exec_lo, s25
	s_and_saveexec_b32 s25, s12
; %bb.3110:                             ;   in Loop: Header=BB4_3089 Depth=1
	v_mad_i64_i32 v[8:9], null, v14, v85, 0
; %bb.3111:                             ;   in Loop: Header=BB4_3089 Depth=1
	s_or_b32 exec_lo, exec_lo, s25
	v_add_co_u32 v8, vcc_lo, v34, v8
	v_and_b32_e32 v12, 0x2000, v84
	v_add_co_ci_u32_e64 v9, null, v35, v9, vcc_lo
	s_mov_b32 s12, exec_lo
	ds_write_b64 v0, v[8:9] offset:728
	v_cmpx_ne_u32_e32 0, v12
	s_cbranch_execz .LBB4_3113
; %bb.3112:                             ;   in Loop: Header=BB4_3089 Depth=1
	ds_read_b64 v[8:9], v0 offset:872
	s_waitcnt lgkmcnt(0)
	v_add_co_u32 v8, vcc_lo, v8, 1
	v_add_co_ci_u32_e64 v9, null, 0, v9, vcc_lo
	ds_write_b64 v0, v[8:9] offset:872
.LBB4_3113:                             ;   in Loop: Header=BB4_3089 Depth=1
	s_or_b32 exec_lo, exec_lo, s12
	v_mov_b32_e32 v8, v10
	v_mov_b32_e32 v9, v11
.LBB4_3114:                             ;   in Loop: Header=BB4_3089 Depth=1
	s_or_b32 exec_lo, exec_lo, s13
	s_and_saveexec_b32 s12, s6
	s_cbranch_execz .LBB4_3133
; %bb.3115:                             ;   in Loop: Header=BB4_3089 Depth=1
	s_and_saveexec_b32 s13, s19
	s_xor_b32 s13, exec_lo, s13
	s_cbranch_execz .LBB4_3130
; %bb.3116:                             ;   in Loop: Header=BB4_3089 Depth=1
	s_and_saveexec_b32 s25, s7
	s_cbranch_execz .LBB4_3129
; %bb.3117:                             ;   in Loop: Header=BB4_3089 Depth=1
	s_mov_b32 s27, exec_lo
	s_mov_b32 s26, exec_lo
	v_mbcnt_lo_u32_b32 v10, s27, 0
	s_waitcnt vmcnt(0) lgkmcnt(0)
	s_waitcnt_vscnt null, 0x0
	buffer_gl1_inv
	buffer_gl0_inv
	v_cmpx_eq_u32_e32 0, v10
	s_cbranch_execz .LBB4_3119
; %bb.3118:                             ;   in Loop: Header=BB4_3089 Depth=1
	s_bcnt1_i32_b32 s27, s27
	v_mov_b32_e32 v50, s27
	ds_add_u64 v0, v[50:51]
	s_trap 2
.LBB4_3119:                             ;   in Loop: Header=BB4_3089 Depth=1
	s_or_b32 exec_lo, exec_lo, s26
	s_trap 2
	ds_read_b64 v[10:11], v0
	s_waitcnt lgkmcnt(0)
	buffer_gl0_inv
	v_add_co_u32 v36, vcc_lo, v36, v86
	v_add_co_ci_u32_e64 v37, null, 0, v37, vcc_lo
	s_mov_b32 s26, exec_lo
	v_cmpx_lt_u64_e64 v[10:11], v[36:37]
	s_cbranch_execz .LBB4_3128
; %bb.3120:                             ;   in Loop: Header=BB4_3089 Depth=1
	s_mov_b32 s27, 0
	s_mov_b32 s40, 0
                                        ; implicit-def: $sgpr28
                                        ; implicit-def: $sgpr29
	s_inst_prefetch 0x1
	s_branch .LBB4_3122
	.p2align	6
.LBB4_3121:                             ;   in Loop: Header=BB4_3122 Depth=2
	s_or_b32 exec_lo, exec_lo, s42
	s_and_b32 s41, exec_lo, s43
	s_or_b32 s27, s41, s27
	s_andn2_b32 s28, s28, exec_lo
	s_and_b32 s41, s29, exec_lo
	s_or_b32 s28, s28, s41
	s_andn2_b32 exec_lo, exec_lo, s27
	s_cbranch_execz .LBB4_3126
.LBB4_3122:                             ;   Parent Loop BB4_3089 Depth=1
                                        ; =>  This Inner Loop Header: Depth=2
	s_add_i32 s40, s40, 1
	s_cmpk_lg_i32 s40, 0x2710
	s_cselect_b32 s41, -1, 0
	s_and_b32 vcc_lo, exec_lo, s41
	s_cbranch_vccz .LBB4_3124
; %bb.3123:                             ;   in Loop: Header=BB4_3122 Depth=2
	s_mov_b32 s43, -1
	s_or_b32 s29, s29, exec_lo
	s_and_saveexec_b32 s42, s41
	s_cbranch_execz .LBB4_3121
	s_branch .LBB4_3125
	.p2align	6
.LBB4_3124:                             ;   in Loop: Header=BB4_3122 Depth=2
	s_trap 2
	ds_read_b64 v[10:11], v0
	s_andn2_b32 s41, s41, exec_lo
	s_mov_b32 s40, 0
	s_waitcnt lgkmcnt(0)
	flat_load_dword v10, v[10:11] glc dlc
	s_waitcnt vmcnt(0) lgkmcnt(0)
	buffer_gl1_inv
	buffer_gl0_inv
	v_cmp_eq_u32_e32 vcc_lo, 0, v10
	s_and_b32 s42, vcc_lo, exec_lo
	s_or_b32 s41, s41, s42
	s_mov_b32 s43, -1
	s_or_b32 s29, s29, exec_lo
	s_and_saveexec_b32 s42, s41
	s_cbranch_execz .LBB4_3121
.LBB4_3125:                             ;   in Loop: Header=BB4_3122 Depth=2
	s_sleep 1
	s_trap 2
	ds_read_b64 v[10:11], v0
	s_waitcnt lgkmcnt(0)
	buffer_gl0_inv
	s_andn2_b32 s29, s29, exec_lo
	v_cmp_ge_u64_e32 vcc_lo, v[10:11], v[36:37]
	s_orn2_b32 s43, vcc_lo, exec_lo
	s_branch .LBB4_3121
.LBB4_3126:                             ;   in Loop: Header=BB4_3089 Depth=1
	s_inst_prefetch 0x2
	s_or_b32 exec_lo, exec_lo, s27
	s_and_saveexec_b32 s27, s28
	s_xor_b32 s27, exec_lo, s27
	s_cbranch_execz .LBB4_3128
; %bb.3127:                             ;   in Loop: Header=BB4_3089 Depth=1
	ds_write_b32 v0, v99
	s_trap 2
.LBB4_3128:                             ;   in Loop: Header=BB4_3089 Depth=1
	s_or_b32 exec_lo, exec_lo, s26
	;;#ASMSTART
	s_wakeup
	;;#ASMEND
.LBB4_3129:                             ;   in Loop: Header=BB4_3089 Depth=1
	s_or_b32 exec_lo, exec_lo, s25
.LBB4_3130:                             ;   in Loop: Header=BB4_3089 Depth=1
	s_andn2_saveexec_b32 s13, s13
	s_cbranch_execz .LBB4_3132
; %bb.3131:                             ;   in Loop: Header=BB4_3089 Depth=1
	s_waitcnt vmcnt(0) lgkmcnt(0)
	s_waitcnt_vscnt null, 0x0
	buffer_gl1_inv
	buffer_gl0_inv
	s_barrier
.LBB4_3132:                             ;   in Loop: Header=BB4_3089 Depth=1
	s_or_b32 exec_lo, exec_lo, s13
.LBB4_3133:                             ;   in Loop: Header=BB4_3089 Depth=1
	s_or_b32 exec_lo, exec_lo, s12
	s_trap 2
	ds_read_b32 v10, v0
	v_and_b32_e32 v11, 0x4000, v84
	v_cmp_ne_u32_e32 vcc_lo, 0, v11
	s_and_b32 s13, s22, vcc_lo
	s_and_saveexec_b32 s12, s13
	s_cbranch_execz .LBB4_3152
; %bb.3134:                             ;   in Loop: Header=BB4_3089 Depth=1
	s_and_saveexec_b32 s13, s19
	s_xor_b32 s13, exec_lo, s13
	s_cbranch_execz .LBB4_3149
; %bb.3135:                             ;   in Loop: Header=BB4_3089 Depth=1
	s_and_saveexec_b32 s25, s7
	s_cbranch_execz .LBB4_3148
; %bb.3136:                             ;   in Loop: Header=BB4_3089 Depth=1
	s_mov_b32 s27, exec_lo
	s_mov_b32 s26, exec_lo
	v_mbcnt_lo_u32_b32 v11, s27, 0
	s_waitcnt vmcnt(0) lgkmcnt(0)
	s_waitcnt_vscnt null, 0x0
	buffer_gl1_inv
	buffer_gl0_inv
	v_cmpx_eq_u32_e32 0, v11
	s_cbranch_execz .LBB4_3138
; %bb.3137:                             ;   in Loop: Header=BB4_3089 Depth=1
	s_bcnt1_i32_b32 s27, s27
	v_mov_b32_e32 v50, s27
	ds_add_u64 v0, v[50:51]
	s_trap 2
.LBB4_3138:                             ;   in Loop: Header=BB4_3089 Depth=1
	s_or_b32 exec_lo, exec_lo, s26
	s_trap 2
	ds_read_b64 v[11:12], v0
	s_waitcnt lgkmcnt(0)
	buffer_gl0_inv
	v_add_co_u32 v36, vcc_lo, v36, v86
	v_add_co_ci_u32_e64 v37, null, 0, v37, vcc_lo
	s_mov_b32 s26, exec_lo
	v_cmpx_lt_u64_e64 v[11:12], v[36:37]
	s_cbranch_execz .LBB4_3147
; %bb.3139:                             ;   in Loop: Header=BB4_3089 Depth=1
	s_mov_b32 s27, 0
	s_mov_b32 s40, 0
                                        ; implicit-def: $sgpr28
                                        ; implicit-def: $sgpr29
	s_inst_prefetch 0x1
	s_branch .LBB4_3141
	.p2align	6
.LBB4_3140:                             ;   in Loop: Header=BB4_3141 Depth=2
	s_or_b32 exec_lo, exec_lo, s42
	s_and_b32 s41, exec_lo, s43
	s_or_b32 s27, s41, s27
	s_andn2_b32 s28, s28, exec_lo
	s_and_b32 s41, s29, exec_lo
	s_or_b32 s28, s28, s41
	s_andn2_b32 exec_lo, exec_lo, s27
	s_cbranch_execz .LBB4_3145
.LBB4_3141:                             ;   Parent Loop BB4_3089 Depth=1
                                        ; =>  This Inner Loop Header: Depth=2
	s_add_i32 s40, s40, 1
	s_cmpk_lg_i32 s40, 0x2710
	s_cselect_b32 s41, -1, 0
	s_and_b32 vcc_lo, exec_lo, s41
	s_cbranch_vccz .LBB4_3143
; %bb.3142:                             ;   in Loop: Header=BB4_3141 Depth=2
	s_mov_b32 s43, -1
	s_or_b32 s29, s29, exec_lo
	s_and_saveexec_b32 s42, s41
	s_cbranch_execz .LBB4_3140
	s_branch .LBB4_3144
	.p2align	6
.LBB4_3143:                             ;   in Loop: Header=BB4_3141 Depth=2
	s_trap 2
	ds_read_b64 v[11:12], v0
	s_andn2_b32 s41, s41, exec_lo
	s_mov_b32 s40, 0
	s_waitcnt lgkmcnt(0)
	flat_load_dword v11, v[11:12] glc dlc
	s_waitcnt vmcnt(0) lgkmcnt(0)
	buffer_gl1_inv
	buffer_gl0_inv
	v_cmp_eq_u32_e32 vcc_lo, 0, v11
	s_and_b32 s42, vcc_lo, exec_lo
	s_or_b32 s41, s41, s42
	s_mov_b32 s43, -1
	s_or_b32 s29, s29, exec_lo
	s_and_saveexec_b32 s42, s41
	s_cbranch_execz .LBB4_3140
.LBB4_3144:                             ;   in Loop: Header=BB4_3141 Depth=2
	s_sleep 1
	s_trap 2
	ds_read_b64 v[11:12], v0
	s_waitcnt lgkmcnt(0)
	buffer_gl0_inv
	s_andn2_b32 s29, s29, exec_lo
	v_cmp_ge_u64_e32 vcc_lo, v[11:12], v[36:37]
	s_orn2_b32 s43, vcc_lo, exec_lo
	s_branch .LBB4_3140
.LBB4_3145:                             ;   in Loop: Header=BB4_3089 Depth=1
	s_inst_prefetch 0x2
	s_or_b32 exec_lo, exec_lo, s27
	s_and_saveexec_b32 s27, s28
	s_xor_b32 s27, exec_lo, s27
	s_cbranch_execz .LBB4_3147
; %bb.3146:                             ;   in Loop: Header=BB4_3089 Depth=1
	ds_write_b32 v0, v99
	s_trap 2
.LBB4_3147:                             ;   in Loop: Header=BB4_3089 Depth=1
	s_or_b32 exec_lo, exec_lo, s26
	;;#ASMSTART
	s_wakeup
	;;#ASMEND
.LBB4_3148:                             ;   in Loop: Header=BB4_3089 Depth=1
	s_or_b32 exec_lo, exec_lo, s25
.LBB4_3149:                             ;   in Loop: Header=BB4_3089 Depth=1
	s_andn2_saveexec_b32 s13, s13
	s_cbranch_execz .LBB4_3151
; %bb.3150:                             ;   in Loop: Header=BB4_3089 Depth=1
	s_waitcnt vmcnt(0) lgkmcnt(0)
	s_waitcnt_vscnt null, 0x0
	buffer_gl1_inv
	buffer_gl0_inv
	s_barrier
.LBB4_3151:                             ;   in Loop: Header=BB4_3089 Depth=1
	s_or_b32 exec_lo, exec_lo, s13
.LBB4_3152:                             ;   in Loop: Header=BB4_3089 Depth=1
	s_or_b32 exec_lo, exec_lo, s12
	s_trap 2
	ds_read_b64 v[64:65], v0
	v_min_u32_e32 v55, v55, v54
	s_waitcnt lgkmcnt(0)
	v_cmp_eq_u64_e32 vcc_lo, 0, v[64:65]
	s_cbranch_vccnz .LBB4_3160
; %bb.3153:                             ;   in Loop: Header=BB4_3089 Depth=1
	s_trap 2
	ds_read_b64 v[66:67], v0
	s_waitcnt lgkmcnt(0)
	v_cmp_eq_u64_e32 vcc_lo, 0, v[66:67]
	s_cbranch_vccnz .LBB4_3160
; %bb.3154:                             ;   in Loop: Header=BB4_3089 Depth=1
	s_trap 2
	ds_read_b64 v[11:12], v0
	s_mov_b32 s12, -1
	s_waitcnt lgkmcnt(0)
	v_readfirstlane_b32 s25, v11
	s_and_saveexec_b32 s13, s10
	s_cbranch_execz .LBB4_3156
; %bb.3155:                             ;   in Loop: Header=BB4_3089 Depth=1
	ds_read_b32 v11, v0 offset:720
	s_waitcnt lgkmcnt(0)
	v_and_b32_e32 v11, 15, v11
	v_cmp_eq_u32_e32 vcc_lo, 0, v11
	s_orn2_b32 s12, vcc_lo, exec_lo
.LBB4_3156:                             ;   in Loop: Header=BB4_3089 Depth=1
	s_or_b32 exec_lo, exec_lo, s13
	s_and_saveexec_b32 s13, s11
	s_cbranch_execz .LBB4_3158
; %bb.3157:                             ;   in Loop: Header=BB4_3089 Depth=1
	ds_read_b32 v11, v0 offset:784
	s_waitcnt lgkmcnt(0)
	v_and_b32_e32 v11, 15, v11
	v_cmp_eq_u32_e32 vcc_lo, 0, v11
	s_and_b32 s26, s12, vcc_lo
	s_andn2_b32 s12, s12, exec_lo
	s_and_b32 s26, s26, exec_lo
	s_or_b32 s12, s12, s26
.LBB4_3158:                             ;   in Loop: Header=BB4_3089 Depth=1
	s_or_b32 exec_lo, exec_lo, s13
	v_cmp_eq_u32_e32 vcc_lo, 0, v10
	s_xor_b32 s12, s12, -1
	v_mov_b32_e32 v16, 0
	v_cndmask_b32_e64 v11, 0, 1, s12
	v_mov_b32_e32 v18, v0
	v_cndmask_b32_e32 v50, 0, v55, vcc_lo
	s_mov_b32 s12, -1
	v_cmp_ne_u32_e32 vcc_lo, 0, v11
	v_mov_b32_e32 v17, v50
	s_cbranch_vccz .LBB4_3161
; %bb.3159:                             ;   in Loop: Header=BB4_3089 Depth=1
	s_and_saveexec_b32 s13, s12
	s_cbranch_execnz .LBB4_5284
	s_branch .LBB4_6040
.LBB4_3160:                             ;   in Loop: Header=BB4_3089 Depth=1
	s_mov_b32 s12, 0
	s_and_saveexec_b32 s13, s6
	s_cbranch_execnz .LBB4_6041
	s_branch .LBB4_6059
.LBB4_3161:                             ;   in Loop: Header=BB4_3089 Depth=1
	v_lshrrev_b32_e32 v10, 10, v50
	s_mov_b32 s13, exec_lo
	v_sub_nc_u32_e32 v113, v10, v82
	v_cmpx_lt_i32_e32 0, v113
	s_cbranch_execz .LBB4_4573
; %bb.3162:                             ;   in Loop: Header=BB4_3089 Depth=1
	s_trap 2
	ds_read_b64 v[10:11], v0
	v_add_co_u32 v68, vcc_lo, v64, v87
	v_add_co_ci_u32_e64 v69, null, 0, v65, vcc_lo
	s_bitcmp1_b32 s25, 0
	s_mov_b32 s26, 0
	s_cselect_b32 s27, -1, 0
	s_waitcnt lgkmcnt(0)
	v_add_co_u32 v70, vcc_lo, v10, v87
	v_add_co_ci_u32_e64 v71, null, 0, v11, vcc_lo
	v_add_co_u32 v80, vcc_lo, v66, v87
	v_add_co_ci_u32_e64 v81, null, 0, v67, vcc_lo
	s_branch .LBB4_3166
.LBB4_3163:                             ;   in Loop: Header=BB4_3166 Depth=2
	s_or_b32 exec_lo, exec_lo, s12
	v_lshrrev_b32_e32 v17, 21, v17
	v_min_i32_e32 v60, 31, v13
	v_cmp_gt_i32_e32 vcc_lo, 32, v13
	v_and_b32_sdwa v59, v59, v101 dst_sel:DWORD dst_unused:UNUSED_PAD src0_sel:BYTE_3 src1_sel:DWORD
	v_lshlrev_b32_e32 v60, 2, v60
	v_cndmask_b32_e32 v17, 3, v17, vcc_lo
	v_and_b32_e32 v60, 0xfc, v60
	v_and_b32_e32 v61, 3, v17
	v_or_b32_e32 v13, v13, v17
	v_or3_b32 v59, v59, v60, v61
	v_cmp_ne_u32_e32 vcc_lo, 0, v13
	v_lshlrev_b32_e32 v17, 8, v59
	v_cndmask_b32_e32 v13, 0, v17, vcc_lo
.LBB4_3164:                             ;   in Loop: Header=BB4_3166 Depth=2
	s_or_b32 exec_lo, exec_lo, s29
.LBB4_3165:                             ;   in Loop: Header=BB4_3166 Depth=2
	s_or_b32 exec_lo, exec_lo, s28
	v_or_b32_sdwa v17, v19, v118 dst_sel:WORD_1 dst_unused:UNUSED_PAD src0_sel:DWORD src1_sel:DWORD
	v_or_b32_sdwa v19, v18, v116 dst_sel:WORD_1 dst_unused:UNUSED_PAD src0_sel:DWORD src1_sel:DWORD
	v_or_b32_sdwa v20, v20, v40 dst_sel:WORD_1 dst_unused:UNUSED_PAD src0_sel:DWORD src1_sel:DWORD
	v_or_b32_sdwa v11, v11, v46 dst_sel:WORD_1 dst_unused:UNUSED_PAD src0_sel:DWORD src1_sel:DWORD
	v_or_b32_sdwa v10, v10, v44 dst_sel:WORD_1 dst_unused:UNUSED_PAD src0_sel:DWORD src1_sel:DWORD
	v_or3_b32 v18, v117, v22, v17
	v_or3_b32 v17, v115, v114, v19
	;; [unrolled: 1-line block ×3, first 2 shown]
	v_or_b32_sdwa v20, v21, v42 dst_sel:WORD_1 dst_unused:UNUSED_PAD src0_sel:DWORD src1_sel:DWORD
	v_or_b32_sdwa v12, v12, v56 dst_sel:WORD_1 dst_unused:UNUSED_PAD src0_sel:DWORD src1_sel:DWORD
	v_or_b32_sdwa v13, v13, v58 dst_sel:WORD_1 dst_unused:UNUSED_PAD src0_sel:DWORD src1_sel:DWORD
	v_sub_nc_u32_e32 v113, v113, v86
	v_or3_b32 v11, v45, v14, v11
	v_or3_b32 v20, v41, v24, v20
	;; [unrolled: 1-line block ×5, first 2 shown]
	v_add_co_u32 v68, vcc_lo, v68, v96
	v_add_co_ci_u32_e64 v69, null, 0, v69, vcc_lo
	v_add_co_u32 v70, vcc_lo, v70, v96
	global_store_dwordx4 v[80:81], v[17:20], off glc slc
	global_store_dwordx4 v[80:81], v[10:13], off offset:512 glc slc
	v_add_co_ci_u32_e64 v71, null, 0, v71, vcc_lo
	v_cmp_gt_i32_e32 vcc_lo, 1, v113
	v_add_co_u32 v80, s12, v80, v96
	v_add_co_ci_u32_e64 v81, null, 0, v81, s12
	s_or_b32 s26, vcc_lo, s26
	s_andn2_b32 exec_lo, exec_lo, s26
	s_cbranch_execz .LBB4_4572
.LBB4_3166:                             ;   Parent Loop BB4_3089 Depth=1
                                        ; =>  This Inner Loop Header: Depth=2
	s_clause 0x1
	global_load_dwordx4 v[22:25], v[68:69], off slc
	global_load_dwordx4 v[14:17], v[68:69], off offset:512 slc
	s_clause 0x1
	global_load_dwordx4 v[18:21], v[70:71], off slc
	global_load_dwordx4 v[10:13], v[70:71], off offset:512 slc
	s_and_b32 vcc_lo, exec_lo, s27
	s_mov_b32 s12, -1
                                        ; implicit-def: $vgpr115
	s_waitcnt vmcnt(3)
	v_cmp_gt_i16_sdwa s28, v22, v100 src0_sel:BYTE_0 src1_sel:DWORD
	s_cbranch_vccz .LBB4_3180
; %bb.3167:                             ;   in Loop: Header=BB4_3166 Depth=2
	s_mov_b32 s12, 0
	s_and_saveexec_b32 s29, s28
	s_xor_b32 s28, exec_lo, s29
	s_cbranch_execz .LBB4_4316
; %bb.3168:                             ;   in Loop: Header=BB4_3166 Depth=2
	v_cmp_eq_u16_sdwa s40, v22, v101 src0_sel:BYTE_0 src1_sel:DWORD
	s_mov_b32 s12, -1
	s_and_saveexec_b32 s29, s40
; %bb.3169:                             ;   in Loop: Header=BB4_3166 Depth=2
	s_xor_b32 s12, exec_lo, -1
; %bb.3170:                             ;   in Loop: Header=BB4_3166 Depth=2
	s_or_b32 exec_lo, exec_lo, s29
	s_and_b32 s12, s12, exec_lo
	s_or_saveexec_b32 s28, s28
	v_mov_b32_e32 v114, 0x7f800001
	s_xor_b32 exec_lo, exec_lo, s28
	s_cbranch_execnz .LBB4_4317
.LBB4_3171:                             ;   in Loop: Header=BB4_3166 Depth=2
	s_or_b32 exec_lo, exec_lo, s28
	s_and_saveexec_b32 s28, s12
	s_cbranch_execz .LBB4_3173
.LBB4_3172:                             ;   in Loop: Header=BB4_3166 Depth=2
	v_and_b32_e32 v114, 3, v22
	v_bfe_u32 v117, v22, 2, 5
	v_lshlrev_b32_e32 v118, 24, v22
	v_ffbh_u32_e32 v115, v114
	v_cmp_eq_u32_e32 vcc_lo, 0, v117
	v_min_u32_e32 v115, 32, v115
	v_subrev_nc_u32_e32 v116, 29, v115
	v_sub_nc_u32_e32 v115, 30, v115
	v_lshlrev_b32_e32 v116, v116, v22
	v_cndmask_b32_e32 v115, v117, v115, vcc_lo
	v_and_b32_e32 v116, 3, v116
	v_lshl_add_u32 v115, v115, 23, 0x37800000
	v_cndmask_b32_e32 v114, v114, v116, vcc_lo
	v_and_b32_e32 v116, 0x80000000, v118
	v_lshlrev_b32_e32 v114, 21, v114
	v_or3_b32 v114, v116, v115, v114
.LBB4_3173:                             ;   in Loop: Header=BB4_3166 Depth=2
	s_or_b32 exec_lo, exec_lo, s28
	s_waitcnt vmcnt(1)
	v_cmp_gt_i16_sdwa s28, v18, v100 src0_sel:BYTE_0 src1_sel:DWORD
	s_mov_b32 s12, 0
	s_and_saveexec_b32 s29, s28
	s_xor_b32 s28, exec_lo, s29
	s_cbranch_execz .LBB4_4318
; %bb.3174:                             ;   in Loop: Header=BB4_3166 Depth=2
	v_cmp_eq_u16_sdwa s40, v18, v101 src0_sel:BYTE_0 src1_sel:DWORD
	s_mov_b32 s12, -1
	s_and_saveexec_b32 s29, s40
; %bb.3175:                             ;   in Loop: Header=BB4_3166 Depth=2
	s_xor_b32 s12, exec_lo, -1
; %bb.3176:                             ;   in Loop: Header=BB4_3166 Depth=2
	s_or_b32 exec_lo, exec_lo, s29
	s_and_b32 s12, s12, exec_lo
	s_or_saveexec_b32 s28, s28
	v_mov_b32_e32 v115, 0x7f800001
	s_xor_b32 exec_lo, exec_lo, s28
	s_cbranch_execnz .LBB4_4319
.LBB4_3177:                             ;   in Loop: Header=BB4_3166 Depth=2
	s_or_b32 exec_lo, exec_lo, s28
	s_and_saveexec_b32 s28, s12
	s_cbranch_execz .LBB4_3179
.LBB4_3178:                             ;   in Loop: Header=BB4_3166 Depth=2
	v_and_b32_e32 v115, 3, v18
	v_bfe_u32 v118, v18, 2, 5
	v_lshlrev_b32_e32 v119, 24, v18
	v_ffbh_u32_e32 v116, v115
	v_cmp_eq_u32_e32 vcc_lo, 0, v118
	v_min_u32_e32 v116, 32, v116
	v_subrev_nc_u32_e32 v117, 29, v116
	v_sub_nc_u32_e32 v116, 30, v116
	v_lshlrev_b32_e32 v117, v117, v18
	v_cndmask_b32_e32 v116, v118, v116, vcc_lo
	v_and_b32_e32 v117, 3, v117
	v_lshl_add_u32 v116, v116, 23, 0x37800000
	v_cndmask_b32_e32 v115, v115, v117, vcc_lo
	v_and_b32_e32 v117, 0x80000000, v119
	v_lshlrev_b32_e32 v115, 21, v115
	v_or3_b32 v115, v117, v116, v115
.LBB4_3179:                             ;   in Loop: Header=BB4_3166 Depth=2
	s_or_b32 exec_lo, exec_lo, s28
	v_max_f32_e32 v115, v115, v115
	v_max_f32_e32 v114, v114, v114
	s_mov_b32 s12, 0
	v_max_f32_e32 v115, v114, v115
.LBB4_3180:                             ;   in Loop: Header=BB4_3166 Depth=2
	s_and_b32 vcc_lo, exec_lo, s12
	s_cbranch_vccz .LBB4_3194
; %bb.3181:                             ;   in Loop: Header=BB4_3166 Depth=2
	v_cmp_gt_i16_sdwa s28, v22, v100 src0_sel:BYTE_0 src1_sel:DWORD
	s_mov_b32 s12, 0
	s_and_saveexec_b32 s29, s28
	s_xor_b32 s28, exec_lo, s29
	s_cbranch_execz .LBB4_4320
; %bb.3182:                             ;   in Loop: Header=BB4_3166 Depth=2
	v_cmp_eq_u16_sdwa s40, v22, v101 src0_sel:BYTE_0 src1_sel:DWORD
	s_mov_b32 s12, -1
	s_and_saveexec_b32 s29, s40
; %bb.3183:                             ;   in Loop: Header=BB4_3166 Depth=2
	s_xor_b32 s12, exec_lo, -1
; %bb.3184:                             ;   in Loop: Header=BB4_3166 Depth=2
	s_or_b32 exec_lo, exec_lo, s29
	s_and_b32 s12, s12, exec_lo
	s_or_saveexec_b32 s28, s28
	v_mov_b32_e32 v114, 0x7f800001
	s_xor_b32 exec_lo, exec_lo, s28
	s_cbranch_execnz .LBB4_4321
.LBB4_3185:                             ;   in Loop: Header=BB4_3166 Depth=2
	s_or_b32 exec_lo, exec_lo, s28
	s_and_saveexec_b32 s28, s12
	s_cbranch_execz .LBB4_3187
.LBB4_3186:                             ;   in Loop: Header=BB4_3166 Depth=2
	v_and_b32_e32 v114, 3, v22
	v_bfe_u32 v117, v22, 2, 5
	v_lshlrev_b32_e32 v118, 24, v22
	v_ffbh_u32_e32 v115, v114
	v_cmp_eq_u32_e32 vcc_lo, 0, v117
	v_min_u32_e32 v115, 32, v115
	v_subrev_nc_u32_e32 v116, 29, v115
	v_sub_nc_u32_e32 v115, 30, v115
	v_lshlrev_b32_e32 v116, v116, v22
	v_cndmask_b32_e32 v115, v117, v115, vcc_lo
	v_and_b32_e32 v116, 3, v116
	v_lshl_add_u32 v115, v115, 23, 0x37800000
	v_cndmask_b32_e32 v114, v114, v116, vcc_lo
	v_and_b32_e32 v116, 0x80000000, v118
	v_lshlrev_b32_e32 v114, 21, v114
	v_or3_b32 v114, v116, v115, v114
.LBB4_3187:                             ;   in Loop: Header=BB4_3166 Depth=2
	s_or_b32 exec_lo, exec_lo, s28
	s_waitcnt vmcnt(1)
	v_cmp_gt_i16_sdwa s28, v18, v100 src0_sel:BYTE_0 src1_sel:DWORD
	s_mov_b32 s12, 0
	s_and_saveexec_b32 s29, s28
	s_xor_b32 s28, exec_lo, s29
	s_cbranch_execz .LBB4_4322
; %bb.3188:                             ;   in Loop: Header=BB4_3166 Depth=2
	v_cmp_eq_u16_sdwa s40, v18, v101 src0_sel:BYTE_0 src1_sel:DWORD
	s_mov_b32 s12, -1
	s_and_saveexec_b32 s29, s40
; %bb.3189:                             ;   in Loop: Header=BB4_3166 Depth=2
	s_xor_b32 s12, exec_lo, -1
; %bb.3190:                             ;   in Loop: Header=BB4_3166 Depth=2
	s_or_b32 exec_lo, exec_lo, s29
	s_and_b32 s12, s12, exec_lo
	s_or_saveexec_b32 s28, s28
	v_mov_b32_e32 v115, 0x7f800001
	s_xor_b32 exec_lo, exec_lo, s28
	s_cbranch_execnz .LBB4_4323
.LBB4_3191:                             ;   in Loop: Header=BB4_3166 Depth=2
	s_or_b32 exec_lo, exec_lo, s28
	s_and_saveexec_b32 s28, s12
	s_cbranch_execz .LBB4_3193
.LBB4_3192:                             ;   in Loop: Header=BB4_3166 Depth=2
	v_and_b32_e32 v115, 3, v18
	v_bfe_u32 v118, v18, 2, 5
	v_lshlrev_b32_e32 v119, 24, v18
	v_ffbh_u32_e32 v116, v115
	v_cmp_eq_u32_e32 vcc_lo, 0, v118
	v_min_u32_e32 v116, 32, v116
	v_subrev_nc_u32_e32 v117, 29, v116
	v_sub_nc_u32_e32 v116, 30, v116
	v_lshlrev_b32_e32 v117, v117, v18
	v_cndmask_b32_e32 v116, v118, v116, vcc_lo
	v_and_b32_e32 v117, 3, v117
	v_lshl_add_u32 v116, v116, 23, 0x37800000
	v_cndmask_b32_e32 v115, v115, v117, vcc_lo
	v_and_b32_e32 v117, 0x80000000, v119
	v_lshlrev_b32_e32 v115, 21, v115
	v_or3_b32 v115, v117, v116, v115
.LBB4_3193:                             ;   in Loop: Header=BB4_3166 Depth=2
	s_or_b32 exec_lo, exec_lo, s28
	v_max_f32_e32 v115, v115, v115
	v_max_f32_e32 v114, v114, v114
	v_min_f32_e32 v115, v114, v115
.LBB4_3194:                             ;   in Loop: Header=BB4_3166 Depth=2
	v_and_b32_e32 v114, 0x7f800000, v115
	v_cmp_ne_u32_e32 vcc_lo, 0x7f800000, v114
	v_mov_b32_e32 v114, 0x80
	s_and_saveexec_b32 s28, vcc_lo
	s_cbranch_execz .LBB4_3202
; %bb.3195:                             ;   in Loop: Header=BB4_3166 Depth=2
	v_mov_b32_e32 v114, 0
	s_mov_b32 s29, exec_lo
	v_cmpx_ne_u32_e32 0, v115
	s_cbranch_execz .LBB4_3201
; %bb.3196:                             ;   in Loop: Header=BB4_3166 Depth=2
	v_bfe_u32 v114, v115, 23, 8
	v_and_b32_e32 v116, 0x7fffff, v115
	v_sub_nc_u32_e32 v117, 0x70, v114
	v_cmp_gt_u32_e32 vcc_lo, 0x71, v114
	v_or_b32_e32 v118, 0x800000, v116
	v_cndmask_b32_e32 v117, 0, v117, vcc_lo
	v_cmp_eq_u32_e32 vcc_lo, 0, v114
	v_add_nc_u32_e32 v114, 0xffffff91, v114
	v_cndmask_b32_e64 v117, v117, 0x6f, vcc_lo
	v_cndmask_b32_e32 v116, v118, v116, vcc_lo
	v_cndmask_b32_e64 v114, v114, 0xffffff92, vcc_lo
	v_lshl_add_u32 v118, 0x200000, v117, -1
	v_lshrrev_b32_e32 v119, v117, v116
	v_lshlrev_b32_e64 v41, v117, 0x100000
	v_add_nc_u32_e32 v117, v117, v114
	v_and_b32_e32 v116, v118, v116
	v_bfe_u32 v40, v119, 21, 1
	v_cmp_eq_u32_e64 s12, v116, v41
	v_add_nc_u32_e32 v118, -1, v40
	v_cndmask_b32_e64 v116, 0, v118, s12
	v_lshrrev_b32_e32 v118, 23, v119
	s_mov_b32 s12, exec_lo
	v_add_nc_u32_e32 v116, v116, v119
	v_xor_b32_e32 v118, 1, v118
	v_and_b32_e32 v114, 0x1fffff, v116
	v_add_nc_u32_e32 v116, v114, v119
                                        ; implicit-def: $vgpr114
	v_cmpx_ne_u32_e64 v117, v118
	s_xor_b32 s12, exec_lo, s12
; %bb.3197:                             ;   in Loop: Header=BB4_3166 Depth=2
	v_cmp_lt_u32_e32 vcc_lo, 0xffffff, v116
	v_sub_nc_u32_e32 v114, v117, v118
	v_cndmask_b32_e64 v117, 0, 1, vcc_lo
	v_add_co_ci_u32_e64 v114, null, 0, v114, vcc_lo
	v_lshrrev_b32_e32 v116, v117, v116
; %bb.3198:                             ;   in Loop: Header=BB4_3166 Depth=2
	s_andn2_saveexec_b32 s12, s12
; %bb.3199:                             ;   in Loop: Header=BB4_3166 Depth=2
	v_bfe_u32 v114, v116, 23, 1
; %bb.3200:                             ;   in Loop: Header=BB4_3166 Depth=2
	s_or_b32 exec_lo, exec_lo, s12
	v_lshrrev_b32_e32 v116, 21, v116
	v_min_i32_e32 v117, 31, v114
	v_cmp_gt_i32_e32 vcc_lo, 32, v114
	v_and_b32_sdwa v115, v115, v101 dst_sel:DWORD dst_unused:UNUSED_PAD src0_sel:BYTE_3 src1_sel:DWORD
	v_lshlrev_b32_e32 v117, 2, v117
	v_cndmask_b32_e32 v116, 3, v116, vcc_lo
	v_and_b32_e32 v117, 0xfc, v117
	v_and_b32_e32 v118, 3, v116
	v_or_b32_e32 v114, v114, v116
	v_or3_b32 v115, v117, v115, v118
	v_cmp_ne_u32_e32 vcc_lo, 0, v114
	v_cndmask_b32_e32 v114, 0, v115, vcc_lo
.LBB4_3201:                             ;   in Loop: Header=BB4_3166 Depth=2
	s_or_b32 exec_lo, exec_lo, s29
.LBB4_3202:                             ;   in Loop: Header=BB4_3166 Depth=2
	s_or_b32 exec_lo, exec_lo, s28
	v_cmp_gt_i16_sdwa s28, v22, v100 src0_sel:BYTE_1 src1_sel:DWORD
	s_and_b32 vcc_lo, exec_lo, s27
	s_mov_b32 s12, -1
                                        ; implicit-def: $vgpr116
	s_cbranch_vccz .LBB4_3216
; %bb.3203:                             ;   in Loop: Header=BB4_3166 Depth=2
	s_mov_b32 s12, 0
	s_and_saveexec_b32 s29, s28
	s_xor_b32 s28, exec_lo, s29
	s_cbranch_execz .LBB4_4324
; %bb.3204:                             ;   in Loop: Header=BB4_3166 Depth=2
	v_cmp_eq_u16_sdwa s40, v22, v101 src0_sel:BYTE_1 src1_sel:DWORD
	s_mov_b32 s12, -1
	s_and_saveexec_b32 s29, s40
; %bb.3205:                             ;   in Loop: Header=BB4_3166 Depth=2
	s_xor_b32 s12, exec_lo, -1
; %bb.3206:                             ;   in Loop: Header=BB4_3166 Depth=2
	s_or_b32 exec_lo, exec_lo, s29
	s_and_b32 s12, s12, exec_lo
	s_or_saveexec_b32 s28, s28
	v_mov_b32_e32 v115, 0x7f800001
	s_xor_b32 exec_lo, exec_lo, s28
	s_cbranch_execnz .LBB4_4325
.LBB4_3207:                             ;   in Loop: Header=BB4_3166 Depth=2
	s_or_b32 exec_lo, exec_lo, s28
	s_and_saveexec_b32 s28, s12
	s_cbranch_execz .LBB4_3209
.LBB4_3208:                             ;   in Loop: Header=BB4_3166 Depth=2
	v_and_b32_sdwa v115, v102, v22 dst_sel:DWORD dst_unused:UNUSED_PAD src0_sel:DWORD src1_sel:BYTE_1
	v_and_b32_e32 v116, 3, v115
	v_bfe_u32 v119, v115, 2, 5
	v_ffbh_u32_e32 v117, v116
	v_cmp_eq_u32_e32 vcc_lo, 0, v119
	v_min_u32_e32 v117, 32, v117
	v_subrev_nc_u32_e32 v118, 29, v117
	v_sub_nc_u32_e32 v117, 30, v117
	v_lshlrev_b32_e32 v115, v118, v115
	v_lshlrev_b32_e32 v118, 16, v22
	v_cndmask_b32_e32 v117, v119, v117, vcc_lo
	v_and_b32_e32 v115, 3, v115
	v_lshl_add_u32 v117, v117, 23, 0x37800000
	v_cndmask_b32_e32 v115, v116, v115, vcc_lo
	v_and_b32_e32 v116, 0x80000000, v118
	v_lshlrev_b32_e32 v115, 21, v115
	v_or3_b32 v115, v116, v117, v115
.LBB4_3209:                             ;   in Loop: Header=BB4_3166 Depth=2
	s_or_b32 exec_lo, exec_lo, s28
	s_waitcnt vmcnt(1)
	v_cmp_gt_i16_sdwa s28, v18, v100 src0_sel:BYTE_1 src1_sel:DWORD
	s_mov_b32 s12, 0
	s_and_saveexec_b32 s29, s28
	s_xor_b32 s28, exec_lo, s29
	s_cbranch_execz .LBB4_4326
; %bb.3210:                             ;   in Loop: Header=BB4_3166 Depth=2
	v_cmp_eq_u16_sdwa s40, v18, v101 src0_sel:BYTE_1 src1_sel:DWORD
	s_mov_b32 s12, -1
	s_and_saveexec_b32 s29, s40
; %bb.3211:                             ;   in Loop: Header=BB4_3166 Depth=2
	s_xor_b32 s12, exec_lo, -1
; %bb.3212:                             ;   in Loop: Header=BB4_3166 Depth=2
	s_or_b32 exec_lo, exec_lo, s29
	s_and_b32 s12, s12, exec_lo
	s_or_saveexec_b32 s28, s28
	v_mov_b32_e32 v116, 0x7f800001
	s_xor_b32 exec_lo, exec_lo, s28
	s_cbranch_execnz .LBB4_4327
.LBB4_3213:                             ;   in Loop: Header=BB4_3166 Depth=2
	s_or_b32 exec_lo, exec_lo, s28
	s_and_saveexec_b32 s28, s12
	s_cbranch_execz .LBB4_3215
.LBB4_3214:                             ;   in Loop: Header=BB4_3166 Depth=2
	v_and_b32_sdwa v116, v102, v18 dst_sel:DWORD dst_unused:UNUSED_PAD src0_sel:DWORD src1_sel:BYTE_1
	v_and_b32_e32 v117, 3, v116
	v_bfe_u32 v40, v116, 2, 5
	v_ffbh_u32_e32 v118, v117
	v_cmp_eq_u32_e32 vcc_lo, 0, v40
	v_min_u32_e32 v118, 32, v118
	v_subrev_nc_u32_e32 v119, 29, v118
	v_sub_nc_u32_e32 v118, 30, v118
	v_lshlrev_b32_e32 v116, v119, v116
	v_lshlrev_b32_e32 v119, 16, v18
	v_cndmask_b32_e32 v118, v40, v118, vcc_lo
	v_and_b32_e32 v116, 3, v116
	v_lshl_add_u32 v118, v118, 23, 0x37800000
	v_cndmask_b32_e32 v116, v117, v116, vcc_lo
	v_and_b32_e32 v117, 0x80000000, v119
	v_lshlrev_b32_e32 v116, 21, v116
	v_or3_b32 v116, v117, v118, v116
.LBB4_3215:                             ;   in Loop: Header=BB4_3166 Depth=2
	s_or_b32 exec_lo, exec_lo, s28
	v_max_f32_e32 v116, v116, v116
	v_max_f32_e32 v115, v115, v115
	s_mov_b32 s12, 0
	v_max_f32_e32 v116, v115, v116
.LBB4_3216:                             ;   in Loop: Header=BB4_3166 Depth=2
	s_and_b32 vcc_lo, exec_lo, s12
	s_cbranch_vccz .LBB4_3230
; %bb.3217:                             ;   in Loop: Header=BB4_3166 Depth=2
	v_cmp_gt_i16_sdwa s28, v22, v100 src0_sel:BYTE_1 src1_sel:DWORD
	s_mov_b32 s12, 0
	s_and_saveexec_b32 s29, s28
	s_xor_b32 s28, exec_lo, s29
	s_cbranch_execz .LBB4_4328
; %bb.3218:                             ;   in Loop: Header=BB4_3166 Depth=2
	v_cmp_eq_u16_sdwa s40, v22, v101 src0_sel:BYTE_1 src1_sel:DWORD
	s_mov_b32 s12, -1
	s_and_saveexec_b32 s29, s40
; %bb.3219:                             ;   in Loop: Header=BB4_3166 Depth=2
	s_xor_b32 s12, exec_lo, -1
; %bb.3220:                             ;   in Loop: Header=BB4_3166 Depth=2
	s_or_b32 exec_lo, exec_lo, s29
	s_and_b32 s12, s12, exec_lo
	s_or_saveexec_b32 s28, s28
	v_mov_b32_e32 v115, 0x7f800001
	s_xor_b32 exec_lo, exec_lo, s28
	s_cbranch_execnz .LBB4_4329
.LBB4_3221:                             ;   in Loop: Header=BB4_3166 Depth=2
	s_or_b32 exec_lo, exec_lo, s28
	s_and_saveexec_b32 s28, s12
	s_cbranch_execz .LBB4_3223
.LBB4_3222:                             ;   in Loop: Header=BB4_3166 Depth=2
	v_and_b32_sdwa v115, v102, v22 dst_sel:DWORD dst_unused:UNUSED_PAD src0_sel:DWORD src1_sel:BYTE_1
	v_and_b32_e32 v116, 3, v115
	v_bfe_u32 v119, v115, 2, 5
	v_ffbh_u32_e32 v117, v116
	v_cmp_eq_u32_e32 vcc_lo, 0, v119
	v_min_u32_e32 v117, 32, v117
	v_subrev_nc_u32_e32 v118, 29, v117
	v_sub_nc_u32_e32 v117, 30, v117
	v_lshlrev_b32_e32 v115, v118, v115
	v_lshlrev_b32_e32 v118, 16, v22
	v_cndmask_b32_e32 v117, v119, v117, vcc_lo
	v_and_b32_e32 v115, 3, v115
	v_lshl_add_u32 v117, v117, 23, 0x37800000
	v_cndmask_b32_e32 v115, v116, v115, vcc_lo
	v_and_b32_e32 v116, 0x80000000, v118
	v_lshlrev_b32_e32 v115, 21, v115
	v_or3_b32 v115, v116, v117, v115
.LBB4_3223:                             ;   in Loop: Header=BB4_3166 Depth=2
	s_or_b32 exec_lo, exec_lo, s28
	s_waitcnt vmcnt(1)
	v_cmp_gt_i16_sdwa s28, v18, v100 src0_sel:BYTE_1 src1_sel:DWORD
	s_mov_b32 s12, 0
	s_and_saveexec_b32 s29, s28
	s_xor_b32 s28, exec_lo, s29
	s_cbranch_execz .LBB4_4330
; %bb.3224:                             ;   in Loop: Header=BB4_3166 Depth=2
	v_cmp_eq_u16_sdwa s40, v18, v101 src0_sel:BYTE_1 src1_sel:DWORD
	s_mov_b32 s12, -1
	s_and_saveexec_b32 s29, s40
; %bb.3225:                             ;   in Loop: Header=BB4_3166 Depth=2
	s_xor_b32 s12, exec_lo, -1
; %bb.3226:                             ;   in Loop: Header=BB4_3166 Depth=2
	s_or_b32 exec_lo, exec_lo, s29
	s_and_b32 s12, s12, exec_lo
	s_or_saveexec_b32 s28, s28
	v_mov_b32_e32 v116, 0x7f800001
	s_xor_b32 exec_lo, exec_lo, s28
	s_cbranch_execnz .LBB4_4331
.LBB4_3227:                             ;   in Loop: Header=BB4_3166 Depth=2
	s_or_b32 exec_lo, exec_lo, s28
	s_and_saveexec_b32 s28, s12
	s_cbranch_execz .LBB4_3229
.LBB4_3228:                             ;   in Loop: Header=BB4_3166 Depth=2
	v_and_b32_sdwa v116, v102, v18 dst_sel:DWORD dst_unused:UNUSED_PAD src0_sel:DWORD src1_sel:BYTE_1
	v_and_b32_e32 v117, 3, v116
	v_bfe_u32 v40, v116, 2, 5
	v_ffbh_u32_e32 v118, v117
	v_cmp_eq_u32_e32 vcc_lo, 0, v40
	v_min_u32_e32 v118, 32, v118
	v_subrev_nc_u32_e32 v119, 29, v118
	v_sub_nc_u32_e32 v118, 30, v118
	v_lshlrev_b32_e32 v116, v119, v116
	v_lshlrev_b32_e32 v119, 16, v18
	v_cndmask_b32_e32 v118, v40, v118, vcc_lo
	v_and_b32_e32 v116, 3, v116
	v_lshl_add_u32 v118, v118, 23, 0x37800000
	v_cndmask_b32_e32 v116, v117, v116, vcc_lo
	v_and_b32_e32 v117, 0x80000000, v119
	v_lshlrev_b32_e32 v116, 21, v116
	v_or3_b32 v116, v117, v118, v116
.LBB4_3229:                             ;   in Loop: Header=BB4_3166 Depth=2
	s_or_b32 exec_lo, exec_lo, s28
	v_max_f32_e32 v116, v116, v116
	v_max_f32_e32 v115, v115, v115
	v_min_f32_e32 v116, v115, v116
.LBB4_3230:                             ;   in Loop: Header=BB4_3166 Depth=2
	v_and_b32_e32 v115, 0x7f800000, v116
	v_cmp_ne_u32_e32 vcc_lo, 0x7f800000, v115
	v_mov_b32_e32 v115, 0x8000
	s_and_saveexec_b32 s28, vcc_lo
	s_cbranch_execz .LBB4_3238
; %bb.3231:                             ;   in Loop: Header=BB4_3166 Depth=2
	v_mov_b32_e32 v115, 0
	s_mov_b32 s29, exec_lo
	v_cmpx_ne_u32_e32 0, v116
	s_cbranch_execz .LBB4_3237
; %bb.3232:                             ;   in Loop: Header=BB4_3166 Depth=2
	v_bfe_u32 v115, v116, 23, 8
	v_and_b32_e32 v117, 0x7fffff, v116
	v_sub_nc_u32_e32 v118, 0x70, v115
	v_cmp_gt_u32_e32 vcc_lo, 0x71, v115
	v_or_b32_e32 v119, 0x800000, v117
	v_cndmask_b32_e32 v118, 0, v118, vcc_lo
	v_cmp_eq_u32_e32 vcc_lo, 0, v115
	v_add_nc_u32_e32 v115, 0xffffff91, v115
	v_cndmask_b32_e64 v118, v118, 0x6f, vcc_lo
	v_cndmask_b32_e32 v117, v119, v117, vcc_lo
	v_cndmask_b32_e64 v115, v115, 0xffffff92, vcc_lo
	v_lshl_add_u32 v119, 0x200000, v118, -1
	v_lshrrev_b32_e32 v40, v118, v117
	v_lshlrev_b32_e64 v42, v118, 0x100000
	v_add_nc_u32_e32 v118, v118, v115
	v_and_b32_e32 v117, v119, v117
	v_bfe_u32 v41, v40, 21, 1
	v_cmp_eq_u32_e64 s12, v117, v42
	v_add_nc_u32_e32 v119, -1, v41
	v_cndmask_b32_e64 v117, 0, v119, s12
	v_lshrrev_b32_e32 v119, 23, v40
	s_mov_b32 s12, exec_lo
	v_add_nc_u32_e32 v117, v117, v40
	v_xor_b32_e32 v119, 1, v119
	v_and_b32_e32 v115, 0x1fffff, v117
	v_add_nc_u32_e32 v117, v115, v40
                                        ; implicit-def: $vgpr115
	v_cmpx_ne_u32_e64 v118, v119
	s_xor_b32 s12, exec_lo, s12
; %bb.3233:                             ;   in Loop: Header=BB4_3166 Depth=2
	v_cmp_lt_u32_e32 vcc_lo, 0xffffff, v117
	v_sub_nc_u32_e32 v115, v118, v119
	v_cndmask_b32_e64 v118, 0, 1, vcc_lo
	v_add_co_ci_u32_e64 v115, null, 0, v115, vcc_lo
	v_lshrrev_b32_e32 v117, v118, v117
; %bb.3234:                             ;   in Loop: Header=BB4_3166 Depth=2
	s_andn2_saveexec_b32 s12, s12
; %bb.3235:                             ;   in Loop: Header=BB4_3166 Depth=2
	v_bfe_u32 v115, v117, 23, 1
; %bb.3236:                             ;   in Loop: Header=BB4_3166 Depth=2
	s_or_b32 exec_lo, exec_lo, s12
	v_lshrrev_b32_e32 v117, 21, v117
	v_min_i32_e32 v118, 31, v115
	v_cmp_gt_i32_e32 vcc_lo, 32, v115
	v_and_b32_sdwa v116, v116, v101 dst_sel:DWORD dst_unused:UNUSED_PAD src0_sel:BYTE_3 src1_sel:DWORD
	v_lshlrev_b32_e32 v118, 2, v118
	v_cndmask_b32_e32 v117, 3, v117, vcc_lo
	v_and_b32_e32 v118, 0xfc, v118
	v_and_b32_e32 v119, 3, v117
	v_or_b32_e32 v115, v115, v117
	v_or3_b32 v116, v116, v118, v119
	v_cmp_ne_u32_e32 vcc_lo, 0, v115
	v_lshlrev_b32_e32 v116, 8, v116
	v_cndmask_b32_e32 v115, 0, v116, vcc_lo
.LBB4_3237:                             ;   in Loop: Header=BB4_3166 Depth=2
	s_or_b32 exec_lo, exec_lo, s29
.LBB4_3238:                             ;   in Loop: Header=BB4_3166 Depth=2
	s_or_b32 exec_lo, exec_lo, s28
	v_and_b32_sdwa v116, v22, v103 dst_sel:DWORD dst_unused:UNUSED_PAD src0_sel:WORD_1 src1_sel:DWORD
	s_and_b32 vcc_lo, exec_lo, s27
	s_mov_b32 s28, -1
                                        ; implicit-def: $vgpr117
	v_cmp_lt_i16_e64 s12, 0x7f, v116
	s_cbranch_vccz .LBB4_3252
; %bb.3239:                             ;   in Loop: Header=BB4_3166 Depth=2
	s_mov_b32 s28, 0
	s_and_saveexec_b32 s29, s12
	s_xor_b32 s12, exec_lo, s29
	s_cbranch_execz .LBB4_4332
; %bb.3240:                             ;   in Loop: Header=BB4_3166 Depth=2
	s_mov_b32 s28, -1
	s_mov_b32 s29, exec_lo
	v_cmpx_eq_u16_e32 0x80, v116
; %bb.3241:                             ;   in Loop: Header=BB4_3166 Depth=2
	s_xor_b32 s28, exec_lo, -1
; %bb.3242:                             ;   in Loop: Header=BB4_3166 Depth=2
	s_or_b32 exec_lo, exec_lo, s29
	s_and_b32 s28, s28, exec_lo
	s_or_saveexec_b32 s12, s12
	v_mov_b32_e32 v117, 0x7f800001
	s_xor_b32 exec_lo, exec_lo, s12
	s_cbranch_execnz .LBB4_4333
.LBB4_3243:                             ;   in Loop: Header=BB4_3166 Depth=2
	s_or_b32 exec_lo, exec_lo, s12
	s_and_saveexec_b32 s12, s28
	s_cbranch_execz .LBB4_3245
.LBB4_3244:                             ;   in Loop: Header=BB4_3166 Depth=2
	v_bfe_u32 v117, v22, 16, 2
	v_bfe_u32 v40, v22, 18, 5
	v_lshlrev_b32_sdwa v41, v112, v22 dst_sel:DWORD dst_unused:UNUSED_PAD src0_sel:DWORD src1_sel:WORD_1
	v_ffbh_u32_e32 v118, v117
	v_cmp_eq_u32_e32 vcc_lo, 0, v40
	v_min_u32_e32 v118, 32, v118
	v_subrev_nc_u32_e32 v119, 29, v118
	v_sub_nc_u32_e32 v118, 30, v118
	v_lshlrev_b32_sdwa v119, v119, v22 dst_sel:DWORD dst_unused:UNUSED_PAD src0_sel:DWORD src1_sel:WORD_1
	v_cndmask_b32_e32 v118, v40, v118, vcc_lo
	v_and_b32_e32 v119, 3, v119
	v_lshl_add_u32 v118, v118, 23, 0x37800000
	v_cndmask_b32_e32 v117, v117, v119, vcc_lo
	v_and_b32_e32 v119, 0x80000000, v41
	v_lshlrev_b32_e32 v117, 21, v117
	v_or3_b32 v117, v119, v118, v117
.LBB4_3245:                             ;   in Loop: Header=BB4_3166 Depth=2
	s_or_b32 exec_lo, exec_lo, s12
	s_waitcnt vmcnt(1)
	v_and_b32_sdwa v119, v18, v103 dst_sel:DWORD dst_unused:UNUSED_PAD src0_sel:WORD_1 src1_sel:DWORD
	s_mov_b32 s12, 0
	s_mov_b32 s28, exec_lo
	v_cmpx_lt_i16_e32 0x7f, v119
	s_xor_b32 s28, exec_lo, s28
	s_cbranch_execz .LBB4_4334
; %bb.3246:                             ;   in Loop: Header=BB4_3166 Depth=2
	s_mov_b32 s12, -1
	s_mov_b32 s29, exec_lo
	v_cmpx_eq_u16_e32 0x80, v119
; %bb.3247:                             ;   in Loop: Header=BB4_3166 Depth=2
	s_xor_b32 s12, exec_lo, -1
; %bb.3248:                             ;   in Loop: Header=BB4_3166 Depth=2
	s_or_b32 exec_lo, exec_lo, s29
	s_and_b32 s12, s12, exec_lo
                                        ; implicit-def: $vgpr119
	s_or_saveexec_b32 s28, s28
	v_mov_b32_e32 v118, 0x7f800001
	s_xor_b32 exec_lo, exec_lo, s28
	s_cbranch_execnz .LBB4_4335
.LBB4_3249:                             ;   in Loop: Header=BB4_3166 Depth=2
	s_or_b32 exec_lo, exec_lo, s28
	s_and_saveexec_b32 s28, s12
	s_cbranch_execz .LBB4_3251
.LBB4_3250:                             ;   in Loop: Header=BB4_3166 Depth=2
	v_bfe_u32 v118, v18, 16, 2
	v_bfe_u32 v41, v18, 18, 5
	v_lshlrev_b32_sdwa v42, v112, v18 dst_sel:DWORD dst_unused:UNUSED_PAD src0_sel:DWORD src1_sel:WORD_1
	v_ffbh_u32_e32 v119, v118
	v_cmp_eq_u32_e32 vcc_lo, 0, v41
	v_min_u32_e32 v119, 32, v119
	v_subrev_nc_u32_e32 v40, 29, v119
	v_sub_nc_u32_e32 v119, 30, v119
	v_lshlrev_b32_sdwa v40, v40, v18 dst_sel:DWORD dst_unused:UNUSED_PAD src0_sel:DWORD src1_sel:WORD_1
	v_cndmask_b32_e32 v119, v41, v119, vcc_lo
	v_and_b32_e32 v40, 3, v40
	v_lshl_add_u32 v119, v119, 23, 0x37800000
	v_cndmask_b32_e32 v118, v118, v40, vcc_lo
	v_and_b32_e32 v40, 0x80000000, v42
	v_lshlrev_b32_e32 v118, 21, v118
	v_or3_b32 v118, v40, v119, v118
.LBB4_3251:                             ;   in Loop: Header=BB4_3166 Depth=2
	s_or_b32 exec_lo, exec_lo, s28
	v_max_f32_e32 v118, v118, v118
	v_max_f32_e32 v117, v117, v117
	s_mov_b32 s28, 0
	v_max_f32_e32 v117, v117, v118
.LBB4_3252:                             ;   in Loop: Header=BB4_3166 Depth=2
	s_and_b32 vcc_lo, exec_lo, s28
	s_cbranch_vccz .LBB4_3266
; %bb.3253:                             ;   in Loop: Header=BB4_3166 Depth=2
	s_mov_b32 s12, 0
	s_mov_b32 s28, exec_lo
	v_cmpx_lt_i16_e32 0x7f, v116
	s_xor_b32 s28, exec_lo, s28
	s_cbranch_execz .LBB4_4336
; %bb.3254:                             ;   in Loop: Header=BB4_3166 Depth=2
	s_mov_b32 s12, -1
	s_mov_b32 s29, exec_lo
	v_cmpx_eq_u16_e32 0x80, v116
; %bb.3255:                             ;   in Loop: Header=BB4_3166 Depth=2
	s_xor_b32 s12, exec_lo, -1
; %bb.3256:                             ;   in Loop: Header=BB4_3166 Depth=2
	s_or_b32 exec_lo, exec_lo, s29
	s_and_b32 s12, s12, exec_lo
                                        ; implicit-def: $vgpr116
	s_or_saveexec_b32 s28, s28
	v_mov_b32_e32 v117, 0x7f800001
	s_xor_b32 exec_lo, exec_lo, s28
	s_cbranch_execnz .LBB4_4337
.LBB4_3257:                             ;   in Loop: Header=BB4_3166 Depth=2
	s_or_b32 exec_lo, exec_lo, s28
	s_and_saveexec_b32 s28, s12
	s_cbranch_execz .LBB4_3259
.LBB4_3258:                             ;   in Loop: Header=BB4_3166 Depth=2
	v_bfe_u32 v116, v22, 16, 2
	v_bfe_u32 v119, v22, 18, 5
	v_lshlrev_b32_sdwa v40, v112, v22 dst_sel:DWORD dst_unused:UNUSED_PAD src0_sel:DWORD src1_sel:WORD_1
	v_ffbh_u32_e32 v117, v116
	v_cmp_eq_u32_e32 vcc_lo, 0, v119
	v_min_u32_e32 v117, 32, v117
	v_subrev_nc_u32_e32 v118, 29, v117
	v_sub_nc_u32_e32 v117, 30, v117
	v_lshlrev_b32_sdwa v118, v118, v22 dst_sel:DWORD dst_unused:UNUSED_PAD src0_sel:DWORD src1_sel:WORD_1
	v_cndmask_b32_e32 v117, v119, v117, vcc_lo
	v_and_b32_e32 v118, 3, v118
	v_lshl_add_u32 v117, v117, 23, 0x37800000
	v_cndmask_b32_e32 v116, v116, v118, vcc_lo
	v_and_b32_e32 v118, 0x80000000, v40
	v_lshlrev_b32_e32 v116, 21, v116
	v_or3_b32 v117, v118, v117, v116
.LBB4_3259:                             ;   in Loop: Header=BB4_3166 Depth=2
	s_or_b32 exec_lo, exec_lo, s28
	s_waitcnt vmcnt(1)
	v_and_b32_sdwa v118, v18, v103 dst_sel:DWORD dst_unused:UNUSED_PAD src0_sel:WORD_1 src1_sel:DWORD
	s_mov_b32 s12, 0
	s_mov_b32 s28, exec_lo
	v_cmpx_lt_i16_e32 0x7f, v118
	s_xor_b32 s28, exec_lo, s28
	s_cbranch_execz .LBB4_4338
; %bb.3260:                             ;   in Loop: Header=BB4_3166 Depth=2
	s_mov_b32 s12, -1
	s_mov_b32 s29, exec_lo
	v_cmpx_eq_u16_e32 0x80, v118
; %bb.3261:                             ;   in Loop: Header=BB4_3166 Depth=2
	s_xor_b32 s12, exec_lo, -1
; %bb.3262:                             ;   in Loop: Header=BB4_3166 Depth=2
	s_or_b32 exec_lo, exec_lo, s29
	s_and_b32 s12, s12, exec_lo
                                        ; implicit-def: $vgpr118
	s_or_saveexec_b32 s28, s28
	v_mov_b32_e32 v116, 0x7f800001
	s_xor_b32 exec_lo, exec_lo, s28
	s_cbranch_execnz .LBB4_4339
.LBB4_3263:                             ;   in Loop: Header=BB4_3166 Depth=2
	s_or_b32 exec_lo, exec_lo, s28
	s_and_saveexec_b32 s28, s12
	s_cbranch_execz .LBB4_3265
.LBB4_3264:                             ;   in Loop: Header=BB4_3166 Depth=2
	v_bfe_u32 v116, v18, 16, 2
	v_bfe_u32 v40, v18, 18, 5
	v_lshlrev_b32_sdwa v41, v112, v18 dst_sel:DWORD dst_unused:UNUSED_PAD src0_sel:DWORD src1_sel:WORD_1
	v_ffbh_u32_e32 v118, v116
	v_cmp_eq_u32_e32 vcc_lo, 0, v40
	v_min_u32_e32 v118, 32, v118
	v_subrev_nc_u32_e32 v119, 29, v118
	v_sub_nc_u32_e32 v118, 30, v118
	v_lshlrev_b32_sdwa v119, v119, v18 dst_sel:DWORD dst_unused:UNUSED_PAD src0_sel:DWORD src1_sel:WORD_1
	v_cndmask_b32_e32 v118, v40, v118, vcc_lo
	v_and_b32_e32 v119, 3, v119
	v_lshl_add_u32 v118, v118, 23, 0x37800000
	v_cndmask_b32_e32 v116, v116, v119, vcc_lo
	v_and_b32_e32 v119, 0x80000000, v41
	v_lshlrev_b32_e32 v116, 21, v116
	v_or3_b32 v116, v119, v118, v116
.LBB4_3265:                             ;   in Loop: Header=BB4_3166 Depth=2
	s_or_b32 exec_lo, exec_lo, s28
	v_max_f32_e32 v116, v116, v116
	v_max_f32_e32 v117, v117, v117
	v_min_f32_e32 v117, v117, v116
.LBB4_3266:                             ;   in Loop: Header=BB4_3166 Depth=2
	v_and_b32_e32 v116, 0x7f800000, v117
	v_cmp_ne_u32_e32 vcc_lo, 0x7f800000, v116
	v_mov_b32_e32 v116, 0x80
	s_and_saveexec_b32 s28, vcc_lo
	s_cbranch_execz .LBB4_3274
; %bb.3267:                             ;   in Loop: Header=BB4_3166 Depth=2
	v_mov_b32_e32 v116, 0
	s_mov_b32 s29, exec_lo
	v_cmpx_ne_u32_e32 0, v117
	s_cbranch_execz .LBB4_3273
; %bb.3268:                             ;   in Loop: Header=BB4_3166 Depth=2
	v_bfe_u32 v116, v117, 23, 8
	v_and_b32_e32 v118, 0x7fffff, v117
	v_sub_nc_u32_e32 v119, 0x70, v116
	v_cmp_gt_u32_e32 vcc_lo, 0x71, v116
	v_or_b32_e32 v40, 0x800000, v118
	v_cndmask_b32_e32 v119, 0, v119, vcc_lo
	v_cmp_eq_u32_e32 vcc_lo, 0, v116
	v_add_nc_u32_e32 v116, 0xffffff91, v116
	v_cndmask_b32_e64 v119, v119, 0x6f, vcc_lo
	v_cndmask_b32_e32 v118, v40, v118, vcc_lo
	v_cndmask_b32_e64 v116, v116, 0xffffff92, vcc_lo
	v_lshl_add_u32 v40, 0x200000, v119, -1
	v_lshrrev_b32_e32 v41, v119, v118
	v_lshlrev_b32_e64 v43, v119, 0x100000
	v_add_nc_u32_e32 v119, v119, v116
	v_and_b32_e32 v118, v40, v118
	v_bfe_u32 v42, v41, 21, 1
	v_cmp_eq_u32_e64 s12, v118, v43
	v_add_nc_u32_e32 v40, -1, v42
	v_cndmask_b32_e64 v118, 0, v40, s12
	v_lshrrev_b32_e32 v40, 23, v41
	s_mov_b32 s12, exec_lo
	v_add_nc_u32_e32 v118, v118, v41
	v_xor_b32_e32 v40, 1, v40
	v_and_b32_e32 v116, 0x1fffff, v118
	v_add_nc_u32_e32 v118, v116, v41
                                        ; implicit-def: $vgpr116
	v_cmpx_ne_u32_e64 v119, v40
	s_xor_b32 s12, exec_lo, s12
; %bb.3269:                             ;   in Loop: Header=BB4_3166 Depth=2
	v_cmp_lt_u32_e32 vcc_lo, 0xffffff, v118
	v_sub_nc_u32_e32 v116, v119, v40
	v_cndmask_b32_e64 v119, 0, 1, vcc_lo
	v_add_co_ci_u32_e64 v116, null, 0, v116, vcc_lo
	v_lshrrev_b32_e32 v118, v119, v118
; %bb.3270:                             ;   in Loop: Header=BB4_3166 Depth=2
	s_andn2_saveexec_b32 s12, s12
; %bb.3271:                             ;   in Loop: Header=BB4_3166 Depth=2
	v_bfe_u32 v116, v118, 23, 1
; %bb.3272:                             ;   in Loop: Header=BB4_3166 Depth=2
	s_or_b32 exec_lo, exec_lo, s12
	v_lshrrev_b32_e32 v118, 21, v118
	v_min_i32_e32 v119, 31, v116
	v_cmp_gt_i32_e32 vcc_lo, 32, v116
	v_and_b32_sdwa v117, v117, v101 dst_sel:DWORD dst_unused:UNUSED_PAD src0_sel:BYTE_3 src1_sel:DWORD
	v_lshlrev_b32_e32 v119, 2, v119
	v_cndmask_b32_e32 v118, 3, v118, vcc_lo
	v_and_b32_e32 v119, 0xfc, v119
	v_and_b32_e32 v40, 3, v118
	v_or_b32_e32 v116, v116, v118
	v_or3_b32 v117, v119, v117, v40
	v_cmp_ne_u32_e32 vcc_lo, 0, v116
	v_cndmask_b32_e32 v116, 0, v117, vcc_lo
.LBB4_3273:                             ;   in Loop: Header=BB4_3166 Depth=2
	s_or_b32 exec_lo, exec_lo, s29
.LBB4_3274:                             ;   in Loop: Header=BB4_3166 Depth=2
	s_or_b32 exec_lo, exec_lo, s28
	v_cmp_gt_i16_sdwa s28, v22, v100 src0_sel:BYTE_3 src1_sel:DWORD
	s_and_b32 vcc_lo, exec_lo, s27
	s_mov_b32 s12, -1
                                        ; implicit-def: $vgpr117
	s_cbranch_vccz .LBB4_3288
; %bb.3275:                             ;   in Loop: Header=BB4_3166 Depth=2
	s_mov_b32 s12, 0
	s_and_saveexec_b32 s29, s28
	s_xor_b32 s28, exec_lo, s29
	s_cbranch_execz .LBB4_4340
; %bb.3276:                             ;   in Loop: Header=BB4_3166 Depth=2
	v_cmp_eq_u16_sdwa s40, v22, v101 src0_sel:BYTE_3 src1_sel:DWORD
	s_mov_b32 s12, -1
	s_and_saveexec_b32 s29, s40
; %bb.3277:                             ;   in Loop: Header=BB4_3166 Depth=2
	s_xor_b32 s12, exec_lo, -1
; %bb.3278:                             ;   in Loop: Header=BB4_3166 Depth=2
	s_or_b32 exec_lo, exec_lo, s29
	s_and_b32 s12, s12, exec_lo
	s_or_saveexec_b32 s28, s28
	v_mov_b32_e32 v117, 0x7f800001
	s_xor_b32 exec_lo, exec_lo, s28
	s_cbranch_execnz .LBB4_4341
.LBB4_3279:                             ;   in Loop: Header=BB4_3166 Depth=2
	s_or_b32 exec_lo, exec_lo, s28
	s_and_saveexec_b32 s28, s12
	s_cbranch_execz .LBB4_3281
.LBB4_3280:                             ;   in Loop: Header=BB4_3166 Depth=2
	v_bfe_u32 v117, v22, 24, 2
	v_bfe_u32 v40, v22, 26, 5
	v_ffbh_u32_e32 v118, v117
	v_cmp_eq_u32_e32 vcc_lo, 0, v40
	v_min_u32_e32 v118, 32, v118
	v_subrev_nc_u32_e32 v119, 29, v118
	v_sub_nc_u32_e32 v118, 30, v118
	v_lshlrev_b32_sdwa v119, v119, v22 dst_sel:DWORD dst_unused:UNUSED_PAD src0_sel:DWORD src1_sel:BYTE_3
	v_cndmask_b32_e32 v118, v40, v118, vcc_lo
	v_and_b32_e32 v119, 3, v119
	v_lshl_add_u32 v118, v118, 23, 0x37800000
	v_cndmask_b32_e32 v117, v117, v119, vcc_lo
	v_and_b32_e32 v119, 0x80000000, v22
	v_lshlrev_b32_e32 v117, 21, v117
	v_or3_b32 v117, v119, v118, v117
.LBB4_3281:                             ;   in Loop: Header=BB4_3166 Depth=2
	s_or_b32 exec_lo, exec_lo, s28
	s_waitcnt vmcnt(1)
	v_cmp_gt_i16_sdwa s28, v18, v100 src0_sel:BYTE_3 src1_sel:DWORD
	s_mov_b32 s12, 0
	s_and_saveexec_b32 s29, s28
	s_xor_b32 s28, exec_lo, s29
	s_cbranch_execz .LBB4_4342
; %bb.3282:                             ;   in Loop: Header=BB4_3166 Depth=2
	v_cmp_eq_u16_sdwa s40, v18, v101 src0_sel:BYTE_3 src1_sel:DWORD
	s_mov_b32 s12, -1
	s_and_saveexec_b32 s29, s40
; %bb.3283:                             ;   in Loop: Header=BB4_3166 Depth=2
	s_xor_b32 s12, exec_lo, -1
; %bb.3284:                             ;   in Loop: Header=BB4_3166 Depth=2
	s_or_b32 exec_lo, exec_lo, s29
	s_and_b32 s12, s12, exec_lo
	s_or_saveexec_b32 s28, s28
	v_mov_b32_e32 v118, 0x7f800001
	s_xor_b32 exec_lo, exec_lo, s28
	s_cbranch_execnz .LBB4_4343
.LBB4_3285:                             ;   in Loop: Header=BB4_3166 Depth=2
	s_or_b32 exec_lo, exec_lo, s28
	s_and_saveexec_b32 s28, s12
	s_cbranch_execz .LBB4_3287
.LBB4_3286:                             ;   in Loop: Header=BB4_3166 Depth=2
	v_bfe_u32 v118, v18, 24, 2
	v_bfe_u32 v41, v18, 26, 5
	v_ffbh_u32_e32 v119, v118
	v_cmp_eq_u32_e32 vcc_lo, 0, v41
	v_min_u32_e32 v119, 32, v119
	v_subrev_nc_u32_e32 v40, 29, v119
	v_sub_nc_u32_e32 v119, 30, v119
	v_lshlrev_b32_sdwa v40, v40, v18 dst_sel:DWORD dst_unused:UNUSED_PAD src0_sel:DWORD src1_sel:BYTE_3
	v_cndmask_b32_e32 v119, v41, v119, vcc_lo
	v_and_b32_e32 v40, 3, v40
	v_lshl_add_u32 v119, v119, 23, 0x37800000
	v_cndmask_b32_e32 v118, v118, v40, vcc_lo
	v_and_b32_e32 v40, 0x80000000, v18
	v_lshlrev_b32_e32 v118, 21, v118
	v_or3_b32 v118, v40, v119, v118
.LBB4_3287:                             ;   in Loop: Header=BB4_3166 Depth=2
	s_or_b32 exec_lo, exec_lo, s28
	v_max_f32_e32 v118, v118, v118
	v_max_f32_e32 v117, v117, v117
	s_mov_b32 s12, 0
	v_max_f32_e32 v117, v117, v118
.LBB4_3288:                             ;   in Loop: Header=BB4_3166 Depth=2
	s_and_b32 vcc_lo, exec_lo, s12
	s_cbranch_vccz .LBB4_3302
; %bb.3289:                             ;   in Loop: Header=BB4_3166 Depth=2
	v_cmp_gt_i16_sdwa s28, v22, v100 src0_sel:BYTE_3 src1_sel:DWORD
	s_mov_b32 s12, 0
	s_and_saveexec_b32 s29, s28
	s_xor_b32 s28, exec_lo, s29
	s_cbranch_execz .LBB4_4344
; %bb.3290:                             ;   in Loop: Header=BB4_3166 Depth=2
	v_cmp_eq_u16_sdwa s40, v22, v101 src0_sel:BYTE_3 src1_sel:DWORD
	s_mov_b32 s12, -1
	s_and_saveexec_b32 s29, s40
; %bb.3291:                             ;   in Loop: Header=BB4_3166 Depth=2
	s_xor_b32 s12, exec_lo, -1
; %bb.3292:                             ;   in Loop: Header=BB4_3166 Depth=2
	s_or_b32 exec_lo, exec_lo, s29
	s_and_b32 s12, s12, exec_lo
	s_or_saveexec_b32 s28, s28
	v_mov_b32_e32 v117, 0x7f800001
	s_xor_b32 exec_lo, exec_lo, s28
	s_cbranch_execnz .LBB4_4345
.LBB4_3293:                             ;   in Loop: Header=BB4_3166 Depth=2
	s_or_b32 exec_lo, exec_lo, s28
	s_and_saveexec_b32 s28, s12
	s_cbranch_execz .LBB4_3295
.LBB4_3294:                             ;   in Loop: Header=BB4_3166 Depth=2
	v_bfe_u32 v117, v22, 24, 2
	v_bfe_u32 v40, v22, 26, 5
	v_ffbh_u32_e32 v118, v117
	v_cmp_eq_u32_e32 vcc_lo, 0, v40
	v_min_u32_e32 v118, 32, v118
	v_subrev_nc_u32_e32 v119, 29, v118
	v_sub_nc_u32_e32 v118, 30, v118
	v_lshlrev_b32_sdwa v119, v119, v22 dst_sel:DWORD dst_unused:UNUSED_PAD src0_sel:DWORD src1_sel:BYTE_3
	v_cndmask_b32_e32 v118, v40, v118, vcc_lo
	v_and_b32_e32 v22, 0x80000000, v22
	v_and_b32_e32 v119, 3, v119
	v_lshl_add_u32 v118, v118, 23, 0x37800000
	v_cndmask_b32_e32 v117, v117, v119, vcc_lo
	v_lshlrev_b32_e32 v117, 21, v117
	v_or3_b32 v117, v22, v118, v117
.LBB4_3295:                             ;   in Loop: Header=BB4_3166 Depth=2
	s_or_b32 exec_lo, exec_lo, s28
	s_waitcnt vmcnt(1)
	v_cmp_gt_i16_sdwa s28, v18, v100 src0_sel:BYTE_3 src1_sel:DWORD
	s_mov_b32 s12, 0
	s_and_saveexec_b32 s29, s28
	s_xor_b32 s28, exec_lo, s29
	s_cbranch_execz .LBB4_4346
; %bb.3296:                             ;   in Loop: Header=BB4_3166 Depth=2
	v_cmp_eq_u16_sdwa s40, v18, v101 src0_sel:BYTE_3 src1_sel:DWORD
	s_mov_b32 s12, -1
	s_and_saveexec_b32 s29, s40
; %bb.3297:                             ;   in Loop: Header=BB4_3166 Depth=2
	s_xor_b32 s12, exec_lo, -1
; %bb.3298:                             ;   in Loop: Header=BB4_3166 Depth=2
	s_or_b32 exec_lo, exec_lo, s29
	s_and_b32 s12, s12, exec_lo
	s_or_saveexec_b32 s28, s28
	v_mov_b32_e32 v22, 0x7f800001
	s_xor_b32 exec_lo, exec_lo, s28
	s_cbranch_execnz .LBB4_4347
.LBB4_3299:                             ;   in Loop: Header=BB4_3166 Depth=2
	s_or_b32 exec_lo, exec_lo, s28
	s_and_saveexec_b32 s28, s12
	s_cbranch_execz .LBB4_3301
.LBB4_3300:                             ;   in Loop: Header=BB4_3166 Depth=2
	v_bfe_u32 v22, v18, 24, 2
	v_bfe_u32 v40, v18, 26, 5
	v_ffbh_u32_e32 v118, v22
	v_cmp_eq_u32_e32 vcc_lo, 0, v40
	v_min_u32_e32 v118, 32, v118
	v_subrev_nc_u32_e32 v119, 29, v118
	v_sub_nc_u32_e32 v118, 30, v118
	v_lshlrev_b32_sdwa v119, v119, v18 dst_sel:DWORD dst_unused:UNUSED_PAD src0_sel:DWORD src1_sel:BYTE_3
	v_cndmask_b32_e32 v118, v40, v118, vcc_lo
	v_and_b32_e32 v18, 0x80000000, v18
	v_and_b32_e32 v119, 3, v119
	v_lshl_add_u32 v118, v118, 23, 0x37800000
	v_cndmask_b32_e32 v22, v22, v119, vcc_lo
	v_lshlrev_b32_e32 v22, 21, v22
	v_or3_b32 v22, v18, v118, v22
.LBB4_3301:                             ;   in Loop: Header=BB4_3166 Depth=2
	s_or_b32 exec_lo, exec_lo, s28
	v_max_f32_e32 v18, v22, v22
	v_max_f32_e32 v22, v117, v117
	v_min_f32_e32 v117, v22, v18
.LBB4_3302:                             ;   in Loop: Header=BB4_3166 Depth=2
	s_waitcnt vmcnt(1)
	v_and_b32_e32 v18, 0x7f800000, v117
	v_cmp_ne_u32_e32 vcc_lo, 0x7f800000, v18
	v_mov_b32_e32 v18, 0x8000
	s_and_saveexec_b32 s28, vcc_lo
	s_cbranch_execz .LBB4_3310
; %bb.3303:                             ;   in Loop: Header=BB4_3166 Depth=2
	v_mov_b32_e32 v18, 0
	s_mov_b32 s29, exec_lo
	v_cmpx_ne_u32_e32 0, v117
	s_cbranch_execz .LBB4_3309
; %bb.3304:                             ;   in Loop: Header=BB4_3166 Depth=2
	v_bfe_u32 v18, v117, 23, 8
	v_and_b32_e32 v22, 0x7fffff, v117
	v_sub_nc_u32_e32 v118, 0x70, v18
	v_cmp_gt_u32_e32 vcc_lo, 0x71, v18
	v_or_b32_e32 v119, 0x800000, v22
	v_cndmask_b32_e32 v118, 0, v118, vcc_lo
	v_cmp_eq_u32_e32 vcc_lo, 0, v18
	v_add_nc_u32_e32 v18, 0xffffff91, v18
	v_cndmask_b32_e64 v118, v118, 0x6f, vcc_lo
	v_cndmask_b32_e32 v22, v119, v22, vcc_lo
	v_cndmask_b32_e64 v18, v18, 0xffffff92, vcc_lo
	v_lshl_add_u32 v119, 0x200000, v118, -1
	v_lshrrev_b32_e32 v40, v118, v22
	v_lshlrev_b32_e64 v42, v118, 0x100000
	v_add_nc_u32_e32 v118, v118, v18
	v_and_b32_e32 v22, v119, v22
	v_bfe_u32 v41, v40, 21, 1
	v_cmp_eq_u32_e64 s12, v22, v42
	v_add_nc_u32_e32 v119, -1, v41
	v_cndmask_b32_e64 v22, 0, v119, s12
	v_lshrrev_b32_e32 v119, 23, v40
	s_mov_b32 s12, exec_lo
	v_add_nc_u32_e32 v22, v22, v40
	v_xor_b32_e32 v119, 1, v119
	v_and_b32_e32 v18, 0x1fffff, v22
	v_add_nc_u32_e32 v22, v18, v40
                                        ; implicit-def: $vgpr18
	v_cmpx_ne_u32_e64 v118, v119
	s_xor_b32 s12, exec_lo, s12
; %bb.3305:                             ;   in Loop: Header=BB4_3166 Depth=2
	v_cmp_lt_u32_e32 vcc_lo, 0xffffff, v22
	v_sub_nc_u32_e32 v18, v118, v119
	v_cndmask_b32_e64 v118, 0, 1, vcc_lo
	v_add_co_ci_u32_e64 v18, null, 0, v18, vcc_lo
	v_lshrrev_b32_e32 v22, v118, v22
; %bb.3306:                             ;   in Loop: Header=BB4_3166 Depth=2
	s_andn2_saveexec_b32 s12, s12
; %bb.3307:                             ;   in Loop: Header=BB4_3166 Depth=2
	v_bfe_u32 v18, v22, 23, 1
; %bb.3308:                             ;   in Loop: Header=BB4_3166 Depth=2
	s_or_b32 exec_lo, exec_lo, s12
	v_lshrrev_b32_e32 v22, 21, v22
	v_min_i32_e32 v118, 31, v18
	v_cmp_gt_i32_e32 vcc_lo, 32, v18
	v_and_b32_sdwa v117, v117, v101 dst_sel:DWORD dst_unused:UNUSED_PAD src0_sel:BYTE_3 src1_sel:DWORD
	v_lshlrev_b32_e32 v118, 2, v118
	v_cndmask_b32_e32 v22, 3, v22, vcc_lo
	v_and_b32_e32 v118, 0xfc, v118
	v_and_b32_e32 v119, 3, v22
	v_or_b32_e32 v18, v18, v22
	v_or3_b32 v117, v117, v118, v119
	v_cmp_ne_u32_e32 vcc_lo, 0, v18
	v_lshlrev_b32_e32 v22, 8, v117
	v_cndmask_b32_e32 v18, 0, v22, vcc_lo
.LBB4_3309:                             ;   in Loop: Header=BB4_3166 Depth=2
	s_or_b32 exec_lo, exec_lo, s29
.LBB4_3310:                             ;   in Loop: Header=BB4_3166 Depth=2
	s_or_b32 exec_lo, exec_lo, s28
	v_cmp_gt_i16_sdwa s28, v23, v100 src0_sel:BYTE_0 src1_sel:DWORD
	s_and_b32 vcc_lo, exec_lo, s27
	s_mov_b32 s12, -1
                                        ; implicit-def: $vgpr117
	s_cbranch_vccz .LBB4_3324
; %bb.3311:                             ;   in Loop: Header=BB4_3166 Depth=2
	s_mov_b32 s12, 0
	s_and_saveexec_b32 s29, s28
	s_xor_b32 s28, exec_lo, s29
	s_cbranch_execz .LBB4_4348
; %bb.3312:                             ;   in Loop: Header=BB4_3166 Depth=2
	v_cmp_eq_u16_sdwa s40, v23, v101 src0_sel:BYTE_0 src1_sel:DWORD
	s_mov_b32 s12, -1
	s_and_saveexec_b32 s29, s40
; %bb.3313:                             ;   in Loop: Header=BB4_3166 Depth=2
	s_xor_b32 s12, exec_lo, -1
; %bb.3314:                             ;   in Loop: Header=BB4_3166 Depth=2
	s_or_b32 exec_lo, exec_lo, s29
	s_and_b32 s12, s12, exec_lo
	s_or_saveexec_b32 s28, s28
	v_mov_b32_e32 v22, 0x7f800001
	s_xor_b32 exec_lo, exec_lo, s28
	s_cbranch_execnz .LBB4_4349
.LBB4_3315:                             ;   in Loop: Header=BB4_3166 Depth=2
	s_or_b32 exec_lo, exec_lo, s28
	s_and_saveexec_b32 s28, s12
	s_cbranch_execz .LBB4_3317
.LBB4_3316:                             ;   in Loop: Header=BB4_3166 Depth=2
	v_and_b32_e32 v22, 3, v23
	v_bfe_u32 v119, v23, 2, 5
	v_lshlrev_b32_e32 v40, 24, v23
	v_ffbh_u32_e32 v117, v22
	v_cmp_eq_u32_e32 vcc_lo, 0, v119
	v_min_u32_e32 v117, 32, v117
	v_subrev_nc_u32_e32 v118, 29, v117
	v_sub_nc_u32_e32 v117, 30, v117
	v_lshlrev_b32_e32 v118, v118, v23
	v_cndmask_b32_e32 v117, v119, v117, vcc_lo
	v_and_b32_e32 v118, 3, v118
	v_lshl_add_u32 v117, v117, 23, 0x37800000
	v_cndmask_b32_e32 v22, v22, v118, vcc_lo
	v_and_b32_e32 v118, 0x80000000, v40
	v_lshlrev_b32_e32 v22, 21, v22
	v_or3_b32 v22, v118, v117, v22
.LBB4_3317:                             ;   in Loop: Header=BB4_3166 Depth=2
	s_or_b32 exec_lo, exec_lo, s28
	v_cmp_gt_i16_sdwa s28, v19, v100 src0_sel:BYTE_0 src1_sel:DWORD
	s_mov_b32 s12, 0
	s_and_saveexec_b32 s29, s28
	s_xor_b32 s28, exec_lo, s29
	s_cbranch_execz .LBB4_4350
; %bb.3318:                             ;   in Loop: Header=BB4_3166 Depth=2
	v_cmp_eq_u16_sdwa s40, v19, v101 src0_sel:BYTE_0 src1_sel:DWORD
	s_mov_b32 s12, -1
	s_and_saveexec_b32 s29, s40
; %bb.3319:                             ;   in Loop: Header=BB4_3166 Depth=2
	s_xor_b32 s12, exec_lo, -1
; %bb.3320:                             ;   in Loop: Header=BB4_3166 Depth=2
	s_or_b32 exec_lo, exec_lo, s29
	s_and_b32 s12, s12, exec_lo
	s_or_saveexec_b32 s28, s28
	v_mov_b32_e32 v117, 0x7f800001
	s_xor_b32 exec_lo, exec_lo, s28
	s_cbranch_execnz .LBB4_4351
.LBB4_3321:                             ;   in Loop: Header=BB4_3166 Depth=2
	s_or_b32 exec_lo, exec_lo, s28
	s_and_saveexec_b32 s28, s12
	s_cbranch_execz .LBB4_3323
.LBB4_3322:                             ;   in Loop: Header=BB4_3166 Depth=2
	v_and_b32_e32 v117, 3, v19
	v_bfe_u32 v40, v19, 2, 5
	v_lshlrev_b32_e32 v41, 24, v19
	v_ffbh_u32_e32 v118, v117
	v_cmp_eq_u32_e32 vcc_lo, 0, v40
	v_min_u32_e32 v118, 32, v118
	v_subrev_nc_u32_e32 v119, 29, v118
	v_sub_nc_u32_e32 v118, 30, v118
	v_lshlrev_b32_e32 v119, v119, v19
	v_cndmask_b32_e32 v118, v40, v118, vcc_lo
	v_and_b32_e32 v119, 3, v119
	v_lshl_add_u32 v118, v118, 23, 0x37800000
	v_cndmask_b32_e32 v117, v117, v119, vcc_lo
	v_and_b32_e32 v119, 0x80000000, v41
	v_lshlrev_b32_e32 v117, 21, v117
	v_or3_b32 v117, v119, v118, v117
.LBB4_3323:                             ;   in Loop: Header=BB4_3166 Depth=2
	s_or_b32 exec_lo, exec_lo, s28
	v_max_f32_e32 v117, v117, v117
	v_max_f32_e32 v22, v22, v22
	s_mov_b32 s12, 0
	v_max_f32_e32 v117, v22, v117
.LBB4_3324:                             ;   in Loop: Header=BB4_3166 Depth=2
	s_and_b32 vcc_lo, exec_lo, s12
	s_cbranch_vccz .LBB4_3338
; %bb.3325:                             ;   in Loop: Header=BB4_3166 Depth=2
	v_cmp_gt_i16_sdwa s28, v23, v100 src0_sel:BYTE_0 src1_sel:DWORD
	s_mov_b32 s12, 0
	s_and_saveexec_b32 s29, s28
	s_xor_b32 s28, exec_lo, s29
	s_cbranch_execz .LBB4_4352
; %bb.3326:                             ;   in Loop: Header=BB4_3166 Depth=2
	v_cmp_eq_u16_sdwa s40, v23, v101 src0_sel:BYTE_0 src1_sel:DWORD
	s_mov_b32 s12, -1
	s_and_saveexec_b32 s29, s40
; %bb.3327:                             ;   in Loop: Header=BB4_3166 Depth=2
	s_xor_b32 s12, exec_lo, -1
; %bb.3328:                             ;   in Loop: Header=BB4_3166 Depth=2
	s_or_b32 exec_lo, exec_lo, s29
	s_and_b32 s12, s12, exec_lo
	s_or_saveexec_b32 s28, s28
	v_mov_b32_e32 v22, 0x7f800001
	s_xor_b32 exec_lo, exec_lo, s28
	s_cbranch_execnz .LBB4_4353
.LBB4_3329:                             ;   in Loop: Header=BB4_3166 Depth=2
	s_or_b32 exec_lo, exec_lo, s28
	s_and_saveexec_b32 s28, s12
	s_cbranch_execz .LBB4_3331
.LBB4_3330:                             ;   in Loop: Header=BB4_3166 Depth=2
	v_and_b32_e32 v22, 3, v23
	v_bfe_u32 v119, v23, 2, 5
	v_lshlrev_b32_e32 v40, 24, v23
	v_ffbh_u32_e32 v117, v22
	v_cmp_eq_u32_e32 vcc_lo, 0, v119
	v_min_u32_e32 v117, 32, v117
	v_subrev_nc_u32_e32 v118, 29, v117
	v_sub_nc_u32_e32 v117, 30, v117
	v_lshlrev_b32_e32 v118, v118, v23
	v_cndmask_b32_e32 v117, v119, v117, vcc_lo
	v_and_b32_e32 v118, 3, v118
	v_lshl_add_u32 v117, v117, 23, 0x37800000
	v_cndmask_b32_e32 v22, v22, v118, vcc_lo
	v_and_b32_e32 v118, 0x80000000, v40
	v_lshlrev_b32_e32 v22, 21, v22
	v_or3_b32 v22, v118, v117, v22
.LBB4_3331:                             ;   in Loop: Header=BB4_3166 Depth=2
	s_or_b32 exec_lo, exec_lo, s28
	v_cmp_gt_i16_sdwa s28, v19, v100 src0_sel:BYTE_0 src1_sel:DWORD
	s_mov_b32 s12, 0
	s_and_saveexec_b32 s29, s28
	s_xor_b32 s28, exec_lo, s29
	s_cbranch_execz .LBB4_4354
; %bb.3332:                             ;   in Loop: Header=BB4_3166 Depth=2
	v_cmp_eq_u16_sdwa s40, v19, v101 src0_sel:BYTE_0 src1_sel:DWORD
	s_mov_b32 s12, -1
	s_and_saveexec_b32 s29, s40
; %bb.3333:                             ;   in Loop: Header=BB4_3166 Depth=2
	s_xor_b32 s12, exec_lo, -1
; %bb.3334:                             ;   in Loop: Header=BB4_3166 Depth=2
	s_or_b32 exec_lo, exec_lo, s29
	s_and_b32 s12, s12, exec_lo
	s_or_saveexec_b32 s28, s28
	v_mov_b32_e32 v117, 0x7f800001
	s_xor_b32 exec_lo, exec_lo, s28
	s_cbranch_execnz .LBB4_4355
.LBB4_3335:                             ;   in Loop: Header=BB4_3166 Depth=2
	s_or_b32 exec_lo, exec_lo, s28
	s_and_saveexec_b32 s28, s12
	s_cbranch_execz .LBB4_3337
.LBB4_3336:                             ;   in Loop: Header=BB4_3166 Depth=2
	v_and_b32_e32 v117, 3, v19
	v_bfe_u32 v40, v19, 2, 5
	v_lshlrev_b32_e32 v41, 24, v19
	v_ffbh_u32_e32 v118, v117
	v_cmp_eq_u32_e32 vcc_lo, 0, v40
	v_min_u32_e32 v118, 32, v118
	v_subrev_nc_u32_e32 v119, 29, v118
	v_sub_nc_u32_e32 v118, 30, v118
	v_lshlrev_b32_e32 v119, v119, v19
	v_cndmask_b32_e32 v118, v40, v118, vcc_lo
	v_and_b32_e32 v119, 3, v119
	v_lshl_add_u32 v118, v118, 23, 0x37800000
	v_cndmask_b32_e32 v117, v117, v119, vcc_lo
	v_and_b32_e32 v119, 0x80000000, v41
	v_lshlrev_b32_e32 v117, 21, v117
	v_or3_b32 v117, v119, v118, v117
.LBB4_3337:                             ;   in Loop: Header=BB4_3166 Depth=2
	s_or_b32 exec_lo, exec_lo, s28
	v_max_f32_e32 v117, v117, v117
	v_max_f32_e32 v22, v22, v22
	v_min_f32_e32 v117, v22, v117
.LBB4_3338:                             ;   in Loop: Header=BB4_3166 Depth=2
	v_and_b32_e32 v22, 0x7f800000, v117
	v_cmp_ne_u32_e32 vcc_lo, 0x7f800000, v22
	v_mov_b32_e32 v22, 0x80
	s_and_saveexec_b32 s28, vcc_lo
	s_cbranch_execz .LBB4_3346
; %bb.3339:                             ;   in Loop: Header=BB4_3166 Depth=2
	v_mov_b32_e32 v22, 0
	s_mov_b32 s29, exec_lo
	v_cmpx_ne_u32_e32 0, v117
	s_cbranch_execz .LBB4_3345
; %bb.3340:                             ;   in Loop: Header=BB4_3166 Depth=2
	v_bfe_u32 v22, v117, 23, 8
	v_and_b32_e32 v118, 0x7fffff, v117
	v_sub_nc_u32_e32 v119, 0x70, v22
	v_cmp_gt_u32_e32 vcc_lo, 0x71, v22
	v_or_b32_e32 v40, 0x800000, v118
	v_cndmask_b32_e32 v119, 0, v119, vcc_lo
	v_cmp_eq_u32_e32 vcc_lo, 0, v22
	v_add_nc_u32_e32 v22, 0xffffff91, v22
	v_cndmask_b32_e64 v119, v119, 0x6f, vcc_lo
	v_cndmask_b32_e32 v118, v40, v118, vcc_lo
	v_cndmask_b32_e64 v22, v22, 0xffffff92, vcc_lo
	v_lshl_add_u32 v40, 0x200000, v119, -1
	v_lshrrev_b32_e32 v41, v119, v118
	v_lshlrev_b32_e64 v43, v119, 0x100000
	v_add_nc_u32_e32 v119, v119, v22
	v_and_b32_e32 v118, v40, v118
	v_bfe_u32 v42, v41, 21, 1
	v_cmp_eq_u32_e64 s12, v118, v43
	v_add_nc_u32_e32 v40, -1, v42
	v_cndmask_b32_e64 v118, 0, v40, s12
	v_lshrrev_b32_e32 v40, 23, v41
	s_mov_b32 s12, exec_lo
	v_add_nc_u32_e32 v118, v118, v41
	v_xor_b32_e32 v40, 1, v40
	v_and_b32_e32 v22, 0x1fffff, v118
	v_add_nc_u32_e32 v118, v22, v41
                                        ; implicit-def: $vgpr22
	v_cmpx_ne_u32_e64 v119, v40
	s_xor_b32 s12, exec_lo, s12
; %bb.3341:                             ;   in Loop: Header=BB4_3166 Depth=2
	v_cmp_lt_u32_e32 vcc_lo, 0xffffff, v118
	v_sub_nc_u32_e32 v22, v119, v40
	v_cndmask_b32_e64 v119, 0, 1, vcc_lo
	v_add_co_ci_u32_e64 v22, null, 0, v22, vcc_lo
	v_lshrrev_b32_e32 v118, v119, v118
; %bb.3342:                             ;   in Loop: Header=BB4_3166 Depth=2
	s_andn2_saveexec_b32 s12, s12
; %bb.3343:                             ;   in Loop: Header=BB4_3166 Depth=2
	v_bfe_u32 v22, v118, 23, 1
; %bb.3344:                             ;   in Loop: Header=BB4_3166 Depth=2
	s_or_b32 exec_lo, exec_lo, s12
	v_lshrrev_b32_e32 v118, 21, v118
	v_min_i32_e32 v119, 31, v22
	v_cmp_gt_i32_e32 vcc_lo, 32, v22
	v_and_b32_sdwa v117, v117, v101 dst_sel:DWORD dst_unused:UNUSED_PAD src0_sel:BYTE_3 src1_sel:DWORD
	v_lshlrev_b32_e32 v119, 2, v119
	v_cndmask_b32_e32 v118, 3, v118, vcc_lo
	v_and_b32_e32 v119, 0xfc, v119
	v_and_b32_e32 v40, 3, v118
	v_or_b32_e32 v22, v22, v118
	v_or3_b32 v117, v119, v117, v40
	v_cmp_ne_u32_e32 vcc_lo, 0, v22
	v_cndmask_b32_e32 v22, 0, v117, vcc_lo
.LBB4_3345:                             ;   in Loop: Header=BB4_3166 Depth=2
	s_or_b32 exec_lo, exec_lo, s29
.LBB4_3346:                             ;   in Loop: Header=BB4_3166 Depth=2
	s_or_b32 exec_lo, exec_lo, s28
	v_cmp_gt_i16_sdwa s28, v23, v100 src0_sel:BYTE_1 src1_sel:DWORD
	s_and_b32 vcc_lo, exec_lo, s27
	s_mov_b32 s12, -1
                                        ; implicit-def: $vgpr118
	s_cbranch_vccz .LBB4_3360
; %bb.3347:                             ;   in Loop: Header=BB4_3166 Depth=2
	s_mov_b32 s12, 0
	s_and_saveexec_b32 s29, s28
	s_xor_b32 s28, exec_lo, s29
	s_cbranch_execz .LBB4_4356
; %bb.3348:                             ;   in Loop: Header=BB4_3166 Depth=2
	v_cmp_eq_u16_sdwa s40, v23, v101 src0_sel:BYTE_1 src1_sel:DWORD
	s_mov_b32 s12, -1
	s_and_saveexec_b32 s29, s40
; %bb.3349:                             ;   in Loop: Header=BB4_3166 Depth=2
	s_xor_b32 s12, exec_lo, -1
; %bb.3350:                             ;   in Loop: Header=BB4_3166 Depth=2
	s_or_b32 exec_lo, exec_lo, s29
	s_and_b32 s12, s12, exec_lo
	s_or_saveexec_b32 s28, s28
	v_mov_b32_e32 v117, 0x7f800001
	s_xor_b32 exec_lo, exec_lo, s28
	s_cbranch_execnz .LBB4_4357
.LBB4_3351:                             ;   in Loop: Header=BB4_3166 Depth=2
	s_or_b32 exec_lo, exec_lo, s28
	s_and_saveexec_b32 s28, s12
	s_cbranch_execz .LBB4_3353
.LBB4_3352:                             ;   in Loop: Header=BB4_3166 Depth=2
	v_and_b32_sdwa v117, v102, v23 dst_sel:DWORD dst_unused:UNUSED_PAD src0_sel:DWORD src1_sel:BYTE_1
	v_and_b32_e32 v118, 3, v117
	v_bfe_u32 v41, v117, 2, 5
	v_ffbh_u32_e32 v119, v118
	v_cmp_eq_u32_e32 vcc_lo, 0, v41
	v_min_u32_e32 v119, 32, v119
	v_subrev_nc_u32_e32 v40, 29, v119
	v_sub_nc_u32_e32 v119, 30, v119
	v_lshlrev_b32_e32 v117, v40, v117
	v_lshlrev_b32_e32 v40, 16, v23
	v_cndmask_b32_e32 v119, v41, v119, vcc_lo
	v_and_b32_e32 v117, 3, v117
	v_lshl_add_u32 v119, v119, 23, 0x37800000
	v_cndmask_b32_e32 v117, v118, v117, vcc_lo
	v_and_b32_e32 v118, 0x80000000, v40
	v_lshlrev_b32_e32 v117, 21, v117
	v_or3_b32 v117, v118, v119, v117
.LBB4_3353:                             ;   in Loop: Header=BB4_3166 Depth=2
	s_or_b32 exec_lo, exec_lo, s28
	v_cmp_gt_i16_sdwa s28, v19, v100 src0_sel:BYTE_1 src1_sel:DWORD
	s_mov_b32 s12, 0
	s_and_saveexec_b32 s29, s28
	s_xor_b32 s28, exec_lo, s29
	s_cbranch_execz .LBB4_4358
; %bb.3354:                             ;   in Loop: Header=BB4_3166 Depth=2
	v_cmp_eq_u16_sdwa s40, v19, v101 src0_sel:BYTE_1 src1_sel:DWORD
	s_mov_b32 s12, -1
	s_and_saveexec_b32 s29, s40
; %bb.3355:                             ;   in Loop: Header=BB4_3166 Depth=2
	s_xor_b32 s12, exec_lo, -1
; %bb.3356:                             ;   in Loop: Header=BB4_3166 Depth=2
	s_or_b32 exec_lo, exec_lo, s29
	s_and_b32 s12, s12, exec_lo
	s_or_saveexec_b32 s28, s28
	v_mov_b32_e32 v118, 0x7f800001
	s_xor_b32 exec_lo, exec_lo, s28
	s_cbranch_execnz .LBB4_4359
.LBB4_3357:                             ;   in Loop: Header=BB4_3166 Depth=2
	s_or_b32 exec_lo, exec_lo, s28
	s_and_saveexec_b32 s28, s12
	s_cbranch_execz .LBB4_3359
.LBB4_3358:                             ;   in Loop: Header=BB4_3166 Depth=2
	v_and_b32_sdwa v118, v102, v19 dst_sel:DWORD dst_unused:UNUSED_PAD src0_sel:DWORD src1_sel:BYTE_1
	v_and_b32_e32 v119, 3, v118
	v_bfe_u32 v42, v118, 2, 5
	v_ffbh_u32_e32 v40, v119
	v_cmp_eq_u32_e32 vcc_lo, 0, v42
	v_min_u32_e32 v40, 32, v40
	v_subrev_nc_u32_e32 v41, 29, v40
	v_sub_nc_u32_e32 v40, 30, v40
	v_lshlrev_b32_e32 v118, v41, v118
	v_lshlrev_b32_e32 v41, 16, v19
	v_cndmask_b32_e32 v40, v42, v40, vcc_lo
	v_and_b32_e32 v118, 3, v118
	v_lshl_add_u32 v40, v40, 23, 0x37800000
	v_cndmask_b32_e32 v118, v119, v118, vcc_lo
	v_and_b32_e32 v119, 0x80000000, v41
	v_lshlrev_b32_e32 v118, 21, v118
	v_or3_b32 v118, v119, v40, v118
.LBB4_3359:                             ;   in Loop: Header=BB4_3166 Depth=2
	s_or_b32 exec_lo, exec_lo, s28
	v_max_f32_e32 v118, v118, v118
	v_max_f32_e32 v117, v117, v117
	s_mov_b32 s12, 0
	v_max_f32_e32 v118, v117, v118
.LBB4_3360:                             ;   in Loop: Header=BB4_3166 Depth=2
	s_and_b32 vcc_lo, exec_lo, s12
	s_cbranch_vccz .LBB4_3374
; %bb.3361:                             ;   in Loop: Header=BB4_3166 Depth=2
	v_cmp_gt_i16_sdwa s28, v23, v100 src0_sel:BYTE_1 src1_sel:DWORD
	s_mov_b32 s12, 0
	s_and_saveexec_b32 s29, s28
	s_xor_b32 s28, exec_lo, s29
	s_cbranch_execz .LBB4_4360
; %bb.3362:                             ;   in Loop: Header=BB4_3166 Depth=2
	v_cmp_eq_u16_sdwa s40, v23, v101 src0_sel:BYTE_1 src1_sel:DWORD
	s_mov_b32 s12, -1
	s_and_saveexec_b32 s29, s40
; %bb.3363:                             ;   in Loop: Header=BB4_3166 Depth=2
	s_xor_b32 s12, exec_lo, -1
; %bb.3364:                             ;   in Loop: Header=BB4_3166 Depth=2
	s_or_b32 exec_lo, exec_lo, s29
	s_and_b32 s12, s12, exec_lo
	s_or_saveexec_b32 s28, s28
	v_mov_b32_e32 v117, 0x7f800001
	s_xor_b32 exec_lo, exec_lo, s28
	s_cbranch_execnz .LBB4_4361
.LBB4_3365:                             ;   in Loop: Header=BB4_3166 Depth=2
	s_or_b32 exec_lo, exec_lo, s28
	s_and_saveexec_b32 s28, s12
	s_cbranch_execz .LBB4_3367
.LBB4_3366:                             ;   in Loop: Header=BB4_3166 Depth=2
	v_and_b32_sdwa v117, v102, v23 dst_sel:DWORD dst_unused:UNUSED_PAD src0_sel:DWORD src1_sel:BYTE_1
	v_and_b32_e32 v118, 3, v117
	v_bfe_u32 v41, v117, 2, 5
	v_ffbh_u32_e32 v119, v118
	v_cmp_eq_u32_e32 vcc_lo, 0, v41
	v_min_u32_e32 v119, 32, v119
	v_subrev_nc_u32_e32 v40, 29, v119
	v_sub_nc_u32_e32 v119, 30, v119
	v_lshlrev_b32_e32 v117, v40, v117
	v_lshlrev_b32_e32 v40, 16, v23
	v_cndmask_b32_e32 v119, v41, v119, vcc_lo
	v_and_b32_e32 v117, 3, v117
	v_lshl_add_u32 v119, v119, 23, 0x37800000
	v_cndmask_b32_e32 v117, v118, v117, vcc_lo
	v_and_b32_e32 v118, 0x80000000, v40
	v_lshlrev_b32_e32 v117, 21, v117
	v_or3_b32 v117, v118, v119, v117
.LBB4_3367:                             ;   in Loop: Header=BB4_3166 Depth=2
	s_or_b32 exec_lo, exec_lo, s28
	v_cmp_gt_i16_sdwa s28, v19, v100 src0_sel:BYTE_1 src1_sel:DWORD
	s_mov_b32 s12, 0
	s_and_saveexec_b32 s29, s28
	s_xor_b32 s28, exec_lo, s29
	s_cbranch_execz .LBB4_4362
; %bb.3368:                             ;   in Loop: Header=BB4_3166 Depth=2
	v_cmp_eq_u16_sdwa s40, v19, v101 src0_sel:BYTE_1 src1_sel:DWORD
	s_mov_b32 s12, -1
	s_and_saveexec_b32 s29, s40
; %bb.3369:                             ;   in Loop: Header=BB4_3166 Depth=2
	s_xor_b32 s12, exec_lo, -1
; %bb.3370:                             ;   in Loop: Header=BB4_3166 Depth=2
	s_or_b32 exec_lo, exec_lo, s29
	s_and_b32 s12, s12, exec_lo
	s_or_saveexec_b32 s28, s28
	v_mov_b32_e32 v118, 0x7f800001
	s_xor_b32 exec_lo, exec_lo, s28
	s_cbranch_execnz .LBB4_4363
.LBB4_3371:                             ;   in Loop: Header=BB4_3166 Depth=2
	s_or_b32 exec_lo, exec_lo, s28
	s_and_saveexec_b32 s28, s12
	s_cbranch_execz .LBB4_3373
.LBB4_3372:                             ;   in Loop: Header=BB4_3166 Depth=2
	v_and_b32_sdwa v118, v102, v19 dst_sel:DWORD dst_unused:UNUSED_PAD src0_sel:DWORD src1_sel:BYTE_1
	v_and_b32_e32 v119, 3, v118
	v_bfe_u32 v42, v118, 2, 5
	v_ffbh_u32_e32 v40, v119
	v_cmp_eq_u32_e32 vcc_lo, 0, v42
	v_min_u32_e32 v40, 32, v40
	v_subrev_nc_u32_e32 v41, 29, v40
	v_sub_nc_u32_e32 v40, 30, v40
	v_lshlrev_b32_e32 v118, v41, v118
	v_lshlrev_b32_e32 v41, 16, v19
	v_cndmask_b32_e32 v40, v42, v40, vcc_lo
	v_and_b32_e32 v118, 3, v118
	v_lshl_add_u32 v40, v40, 23, 0x37800000
	v_cndmask_b32_e32 v118, v119, v118, vcc_lo
	v_and_b32_e32 v119, 0x80000000, v41
	v_lshlrev_b32_e32 v118, 21, v118
	v_or3_b32 v118, v119, v40, v118
.LBB4_3373:                             ;   in Loop: Header=BB4_3166 Depth=2
	s_or_b32 exec_lo, exec_lo, s28
	v_max_f32_e32 v118, v118, v118
	v_max_f32_e32 v117, v117, v117
	v_min_f32_e32 v118, v117, v118
.LBB4_3374:                             ;   in Loop: Header=BB4_3166 Depth=2
	v_and_b32_e32 v117, 0x7f800000, v118
	v_cmp_ne_u32_e32 vcc_lo, 0x7f800000, v117
	v_mov_b32_e32 v117, 0x8000
	s_and_saveexec_b32 s28, vcc_lo
	s_cbranch_execz .LBB4_3382
; %bb.3375:                             ;   in Loop: Header=BB4_3166 Depth=2
	v_mov_b32_e32 v117, 0
	s_mov_b32 s29, exec_lo
	v_cmpx_ne_u32_e32 0, v118
	s_cbranch_execz .LBB4_3381
; %bb.3376:                             ;   in Loop: Header=BB4_3166 Depth=2
	v_bfe_u32 v117, v118, 23, 8
	v_and_b32_e32 v119, 0x7fffff, v118
	v_sub_nc_u32_e32 v40, 0x70, v117
	v_cmp_gt_u32_e32 vcc_lo, 0x71, v117
	v_or_b32_e32 v41, 0x800000, v119
	v_cndmask_b32_e32 v40, 0, v40, vcc_lo
	v_cmp_eq_u32_e32 vcc_lo, 0, v117
	v_add_nc_u32_e32 v117, 0xffffff91, v117
	v_cndmask_b32_e64 v40, v40, 0x6f, vcc_lo
	v_cndmask_b32_e32 v119, v41, v119, vcc_lo
	v_cndmask_b32_e64 v117, v117, 0xffffff92, vcc_lo
	v_lshl_add_u32 v41, 0x200000, v40, -1
	v_lshrrev_b32_e32 v42, v40, v119
	v_lshlrev_b32_e64 v44, v40, 0x100000
	v_add_nc_u32_e32 v40, v40, v117
	v_and_b32_e32 v119, v41, v119
	v_bfe_u32 v43, v42, 21, 1
	v_cmp_eq_u32_e64 s12, v119, v44
	v_add_nc_u32_e32 v41, -1, v43
	v_cndmask_b32_e64 v119, 0, v41, s12
	v_lshrrev_b32_e32 v41, 23, v42
	s_mov_b32 s12, exec_lo
	v_add_nc_u32_e32 v119, v119, v42
	v_xor_b32_e32 v41, 1, v41
	v_and_b32_e32 v117, 0x1fffff, v119
	v_add_nc_u32_e32 v119, v117, v42
                                        ; implicit-def: $vgpr117
	v_cmpx_ne_u32_e64 v40, v41
	s_xor_b32 s12, exec_lo, s12
; %bb.3377:                             ;   in Loop: Header=BB4_3166 Depth=2
	v_cmp_lt_u32_e32 vcc_lo, 0xffffff, v119
	v_sub_nc_u32_e32 v117, v40, v41
	v_cndmask_b32_e64 v40, 0, 1, vcc_lo
	v_add_co_ci_u32_e64 v117, null, 0, v117, vcc_lo
	v_lshrrev_b32_e32 v119, v40, v119
; %bb.3378:                             ;   in Loop: Header=BB4_3166 Depth=2
	s_andn2_saveexec_b32 s12, s12
; %bb.3379:                             ;   in Loop: Header=BB4_3166 Depth=2
	v_bfe_u32 v117, v119, 23, 1
; %bb.3380:                             ;   in Loop: Header=BB4_3166 Depth=2
	s_or_b32 exec_lo, exec_lo, s12
	v_lshrrev_b32_e32 v119, 21, v119
	v_min_i32_e32 v40, 31, v117
	v_cmp_gt_i32_e32 vcc_lo, 32, v117
	v_and_b32_sdwa v118, v118, v101 dst_sel:DWORD dst_unused:UNUSED_PAD src0_sel:BYTE_3 src1_sel:DWORD
	v_lshlrev_b32_e32 v40, 2, v40
	v_cndmask_b32_e32 v119, 3, v119, vcc_lo
	v_and_b32_e32 v40, 0xfc, v40
	v_and_b32_e32 v41, 3, v119
	v_or_b32_e32 v117, v117, v119
	v_or3_b32 v118, v118, v40, v41
	v_cmp_ne_u32_e32 vcc_lo, 0, v117
	v_lshlrev_b32_e32 v118, 8, v118
	v_cndmask_b32_e32 v117, 0, v118, vcc_lo
.LBB4_3381:                             ;   in Loop: Header=BB4_3166 Depth=2
	s_or_b32 exec_lo, exec_lo, s29
.LBB4_3382:                             ;   in Loop: Header=BB4_3166 Depth=2
	s_or_b32 exec_lo, exec_lo, s28
	v_and_b32_sdwa v118, v23, v103 dst_sel:DWORD dst_unused:UNUSED_PAD src0_sel:WORD_1 src1_sel:DWORD
	s_and_b32 vcc_lo, exec_lo, s27
	s_mov_b32 s28, -1
                                        ; implicit-def: $vgpr119
	v_cmp_lt_i16_e64 s12, 0x7f, v118
	s_cbranch_vccz .LBB4_3396
; %bb.3383:                             ;   in Loop: Header=BB4_3166 Depth=2
	s_mov_b32 s28, 0
	s_and_saveexec_b32 s29, s12
	s_xor_b32 s12, exec_lo, s29
	s_cbranch_execz .LBB4_4364
; %bb.3384:                             ;   in Loop: Header=BB4_3166 Depth=2
	s_mov_b32 s28, -1
	s_mov_b32 s29, exec_lo
	v_cmpx_eq_u16_e32 0x80, v118
; %bb.3385:                             ;   in Loop: Header=BB4_3166 Depth=2
	s_xor_b32 s28, exec_lo, -1
; %bb.3386:                             ;   in Loop: Header=BB4_3166 Depth=2
	s_or_b32 exec_lo, exec_lo, s29
	s_and_b32 s28, s28, exec_lo
	s_or_saveexec_b32 s12, s12
	v_mov_b32_e32 v119, 0x7f800001
	s_xor_b32 exec_lo, exec_lo, s12
	s_cbranch_execnz .LBB4_4365
.LBB4_3387:                             ;   in Loop: Header=BB4_3166 Depth=2
	s_or_b32 exec_lo, exec_lo, s12
	s_and_saveexec_b32 s12, s28
	s_cbranch_execz .LBB4_3389
.LBB4_3388:                             ;   in Loop: Header=BB4_3166 Depth=2
	v_bfe_u32 v119, v23, 16, 2
	v_bfe_u32 v42, v23, 18, 5
	v_lshlrev_b32_sdwa v43, v112, v23 dst_sel:DWORD dst_unused:UNUSED_PAD src0_sel:DWORD src1_sel:WORD_1
	v_ffbh_u32_e32 v40, v119
	v_cmp_eq_u32_e32 vcc_lo, 0, v42
	v_min_u32_e32 v40, 32, v40
	v_subrev_nc_u32_e32 v41, 29, v40
	v_sub_nc_u32_e32 v40, 30, v40
	v_lshlrev_b32_sdwa v41, v41, v23 dst_sel:DWORD dst_unused:UNUSED_PAD src0_sel:DWORD src1_sel:WORD_1
	v_cndmask_b32_e32 v40, v42, v40, vcc_lo
	v_and_b32_e32 v41, 3, v41
	v_lshl_add_u32 v40, v40, 23, 0x37800000
	v_cndmask_b32_e32 v119, v119, v41, vcc_lo
	v_and_b32_e32 v41, 0x80000000, v43
	v_lshlrev_b32_e32 v119, 21, v119
	v_or3_b32 v119, v41, v40, v119
.LBB4_3389:                             ;   in Loop: Header=BB4_3166 Depth=2
	s_or_b32 exec_lo, exec_lo, s12
	v_and_b32_sdwa v41, v19, v103 dst_sel:DWORD dst_unused:UNUSED_PAD src0_sel:WORD_1 src1_sel:DWORD
	s_mov_b32 s12, 0
	s_mov_b32 s28, exec_lo
	v_cmpx_lt_i16_e32 0x7f, v41
	s_xor_b32 s28, exec_lo, s28
	s_cbranch_execz .LBB4_4366
; %bb.3390:                             ;   in Loop: Header=BB4_3166 Depth=2
	s_mov_b32 s12, -1
	s_mov_b32 s29, exec_lo
	v_cmpx_eq_u16_e32 0x80, v41
; %bb.3391:                             ;   in Loop: Header=BB4_3166 Depth=2
	s_xor_b32 s12, exec_lo, -1
; %bb.3392:                             ;   in Loop: Header=BB4_3166 Depth=2
	s_or_b32 exec_lo, exec_lo, s29
	s_and_b32 s12, s12, exec_lo
                                        ; implicit-def: $vgpr41
	s_or_saveexec_b32 s28, s28
	v_mov_b32_e32 v40, 0x7f800001
	s_xor_b32 exec_lo, exec_lo, s28
	s_cbranch_execnz .LBB4_4367
.LBB4_3393:                             ;   in Loop: Header=BB4_3166 Depth=2
	s_or_b32 exec_lo, exec_lo, s28
	s_and_saveexec_b32 s28, s12
	s_cbranch_execz .LBB4_3395
.LBB4_3394:                             ;   in Loop: Header=BB4_3166 Depth=2
	v_bfe_u32 v40, v19, 16, 2
	v_bfe_u32 v43, v19, 18, 5
	v_lshlrev_b32_sdwa v44, v112, v19 dst_sel:DWORD dst_unused:UNUSED_PAD src0_sel:DWORD src1_sel:WORD_1
	v_ffbh_u32_e32 v41, v40
	v_cmp_eq_u32_e32 vcc_lo, 0, v43
	v_min_u32_e32 v41, 32, v41
	v_subrev_nc_u32_e32 v42, 29, v41
	v_sub_nc_u32_e32 v41, 30, v41
	v_lshlrev_b32_sdwa v42, v42, v19 dst_sel:DWORD dst_unused:UNUSED_PAD src0_sel:DWORD src1_sel:WORD_1
	v_cndmask_b32_e32 v41, v43, v41, vcc_lo
	v_and_b32_e32 v42, 3, v42
	v_lshl_add_u32 v41, v41, 23, 0x37800000
	v_cndmask_b32_e32 v40, v40, v42, vcc_lo
	v_and_b32_e32 v42, 0x80000000, v44
	v_lshlrev_b32_e32 v40, 21, v40
	v_or3_b32 v40, v42, v41, v40
.LBB4_3395:                             ;   in Loop: Header=BB4_3166 Depth=2
	s_or_b32 exec_lo, exec_lo, s28
	v_max_f32_e32 v40, v40, v40
	v_max_f32_e32 v119, v119, v119
	s_mov_b32 s28, 0
	v_max_f32_e32 v119, v119, v40
.LBB4_3396:                             ;   in Loop: Header=BB4_3166 Depth=2
	s_and_b32 vcc_lo, exec_lo, s28
	s_cbranch_vccz .LBB4_3410
; %bb.3397:                             ;   in Loop: Header=BB4_3166 Depth=2
	s_mov_b32 s12, 0
	s_mov_b32 s28, exec_lo
	v_cmpx_lt_i16_e32 0x7f, v118
	s_xor_b32 s28, exec_lo, s28
	s_cbranch_execz .LBB4_4368
; %bb.3398:                             ;   in Loop: Header=BB4_3166 Depth=2
	s_mov_b32 s12, -1
	s_mov_b32 s29, exec_lo
	v_cmpx_eq_u16_e32 0x80, v118
; %bb.3399:                             ;   in Loop: Header=BB4_3166 Depth=2
	s_xor_b32 s12, exec_lo, -1
; %bb.3400:                             ;   in Loop: Header=BB4_3166 Depth=2
	s_or_b32 exec_lo, exec_lo, s29
	s_and_b32 s12, s12, exec_lo
                                        ; implicit-def: $vgpr118
	s_or_saveexec_b32 s28, s28
	v_mov_b32_e32 v119, 0x7f800001
	s_xor_b32 exec_lo, exec_lo, s28
	s_cbranch_execnz .LBB4_4369
.LBB4_3401:                             ;   in Loop: Header=BB4_3166 Depth=2
	s_or_b32 exec_lo, exec_lo, s28
	s_and_saveexec_b32 s28, s12
	s_cbranch_execz .LBB4_3403
.LBB4_3402:                             ;   in Loop: Header=BB4_3166 Depth=2
	v_bfe_u32 v118, v23, 16, 2
	v_bfe_u32 v41, v23, 18, 5
	v_lshlrev_b32_sdwa v42, v112, v23 dst_sel:DWORD dst_unused:UNUSED_PAD src0_sel:DWORD src1_sel:WORD_1
	v_ffbh_u32_e32 v119, v118
	v_cmp_eq_u32_e32 vcc_lo, 0, v41
	v_min_u32_e32 v119, 32, v119
	v_subrev_nc_u32_e32 v40, 29, v119
	v_sub_nc_u32_e32 v119, 30, v119
	v_lshlrev_b32_sdwa v40, v40, v23 dst_sel:DWORD dst_unused:UNUSED_PAD src0_sel:DWORD src1_sel:WORD_1
	v_cndmask_b32_e32 v119, v41, v119, vcc_lo
	v_and_b32_e32 v40, 3, v40
	v_lshl_add_u32 v119, v119, 23, 0x37800000
	v_cndmask_b32_e32 v118, v118, v40, vcc_lo
	v_and_b32_e32 v40, 0x80000000, v42
	v_lshlrev_b32_e32 v118, 21, v118
	v_or3_b32 v119, v40, v119, v118
.LBB4_3403:                             ;   in Loop: Header=BB4_3166 Depth=2
	s_or_b32 exec_lo, exec_lo, s28
	v_and_b32_sdwa v40, v19, v103 dst_sel:DWORD dst_unused:UNUSED_PAD src0_sel:WORD_1 src1_sel:DWORD
	s_mov_b32 s12, 0
	s_mov_b32 s28, exec_lo
	v_cmpx_lt_i16_e32 0x7f, v40
	s_xor_b32 s28, exec_lo, s28
	s_cbranch_execz .LBB4_4370
; %bb.3404:                             ;   in Loop: Header=BB4_3166 Depth=2
	s_mov_b32 s12, -1
	s_mov_b32 s29, exec_lo
	v_cmpx_eq_u16_e32 0x80, v40
; %bb.3405:                             ;   in Loop: Header=BB4_3166 Depth=2
	s_xor_b32 s12, exec_lo, -1
; %bb.3406:                             ;   in Loop: Header=BB4_3166 Depth=2
	s_or_b32 exec_lo, exec_lo, s29
	s_and_b32 s12, s12, exec_lo
                                        ; implicit-def: $vgpr40
	s_or_saveexec_b32 s28, s28
	v_mov_b32_e32 v118, 0x7f800001
	s_xor_b32 exec_lo, exec_lo, s28
	s_cbranch_execnz .LBB4_4371
.LBB4_3407:                             ;   in Loop: Header=BB4_3166 Depth=2
	s_or_b32 exec_lo, exec_lo, s28
	s_and_saveexec_b32 s28, s12
	s_cbranch_execz .LBB4_3409
.LBB4_3408:                             ;   in Loop: Header=BB4_3166 Depth=2
	v_bfe_u32 v118, v19, 16, 2
	v_bfe_u32 v42, v19, 18, 5
	v_lshlrev_b32_sdwa v43, v112, v19 dst_sel:DWORD dst_unused:UNUSED_PAD src0_sel:DWORD src1_sel:WORD_1
	v_ffbh_u32_e32 v40, v118
	v_cmp_eq_u32_e32 vcc_lo, 0, v42
	v_min_u32_e32 v40, 32, v40
	v_subrev_nc_u32_e32 v41, 29, v40
	v_sub_nc_u32_e32 v40, 30, v40
	v_lshlrev_b32_sdwa v41, v41, v19 dst_sel:DWORD dst_unused:UNUSED_PAD src0_sel:DWORD src1_sel:WORD_1
	v_cndmask_b32_e32 v40, v42, v40, vcc_lo
	v_and_b32_e32 v41, 3, v41
	v_lshl_add_u32 v40, v40, 23, 0x37800000
	v_cndmask_b32_e32 v118, v118, v41, vcc_lo
	v_and_b32_e32 v41, 0x80000000, v43
	v_lshlrev_b32_e32 v118, 21, v118
	v_or3_b32 v118, v41, v40, v118
.LBB4_3409:                             ;   in Loop: Header=BB4_3166 Depth=2
	s_or_b32 exec_lo, exec_lo, s28
	v_max_f32_e32 v118, v118, v118
	v_max_f32_e32 v119, v119, v119
	v_min_f32_e32 v119, v119, v118
.LBB4_3410:                             ;   in Loop: Header=BB4_3166 Depth=2
	v_and_b32_e32 v118, 0x7f800000, v119
	v_cmp_ne_u32_e32 vcc_lo, 0x7f800000, v118
	v_mov_b32_e32 v118, 0x80
	s_and_saveexec_b32 s28, vcc_lo
	s_cbranch_execz .LBB4_3418
; %bb.3411:                             ;   in Loop: Header=BB4_3166 Depth=2
	v_mov_b32_e32 v118, 0
	s_mov_b32 s29, exec_lo
	v_cmpx_ne_u32_e32 0, v119
	s_cbranch_execz .LBB4_3417
; %bb.3412:                             ;   in Loop: Header=BB4_3166 Depth=2
	v_bfe_u32 v118, v119, 23, 8
	v_and_b32_e32 v40, 0x7fffff, v119
	v_sub_nc_u32_e32 v41, 0x70, v118
	v_cmp_gt_u32_e32 vcc_lo, 0x71, v118
	v_or_b32_e32 v42, 0x800000, v40
	v_cndmask_b32_e32 v41, 0, v41, vcc_lo
	v_cmp_eq_u32_e32 vcc_lo, 0, v118
	v_add_nc_u32_e32 v118, 0xffffff91, v118
	v_cndmask_b32_e64 v41, v41, 0x6f, vcc_lo
	v_cndmask_b32_e32 v40, v42, v40, vcc_lo
	v_cndmask_b32_e64 v118, v118, 0xffffff92, vcc_lo
	v_lshl_add_u32 v42, 0x200000, v41, -1
	v_lshrrev_b32_e32 v43, v41, v40
	v_lshlrev_b32_e64 v45, v41, 0x100000
	v_add_nc_u32_e32 v41, v41, v118
	v_and_b32_e32 v40, v42, v40
	v_bfe_u32 v44, v43, 21, 1
	v_cmp_eq_u32_e64 s12, v40, v45
	v_add_nc_u32_e32 v42, -1, v44
	v_cndmask_b32_e64 v40, 0, v42, s12
	v_lshrrev_b32_e32 v42, 23, v43
	s_mov_b32 s12, exec_lo
	v_add_nc_u32_e32 v40, v40, v43
	v_xor_b32_e32 v42, 1, v42
	v_and_b32_e32 v118, 0x1fffff, v40
	v_add_nc_u32_e32 v40, v118, v43
                                        ; implicit-def: $vgpr118
	v_cmpx_ne_u32_e64 v41, v42
	s_xor_b32 s12, exec_lo, s12
; %bb.3413:                             ;   in Loop: Header=BB4_3166 Depth=2
	v_cmp_lt_u32_e32 vcc_lo, 0xffffff, v40
	v_sub_nc_u32_e32 v118, v41, v42
	v_cndmask_b32_e64 v41, 0, 1, vcc_lo
	v_add_co_ci_u32_e64 v118, null, 0, v118, vcc_lo
	v_lshrrev_b32_e32 v40, v41, v40
; %bb.3414:                             ;   in Loop: Header=BB4_3166 Depth=2
	s_andn2_saveexec_b32 s12, s12
; %bb.3415:                             ;   in Loop: Header=BB4_3166 Depth=2
	v_bfe_u32 v118, v40, 23, 1
; %bb.3416:                             ;   in Loop: Header=BB4_3166 Depth=2
	s_or_b32 exec_lo, exec_lo, s12
	v_lshrrev_b32_e32 v40, 21, v40
	v_min_i32_e32 v41, 31, v118
	v_cmp_gt_i32_e32 vcc_lo, 32, v118
	v_and_b32_sdwa v119, v119, v101 dst_sel:DWORD dst_unused:UNUSED_PAD src0_sel:BYTE_3 src1_sel:DWORD
	v_lshlrev_b32_e32 v41, 2, v41
	v_cndmask_b32_e32 v40, 3, v40, vcc_lo
	v_and_b32_e32 v41, 0xfc, v41
	v_and_b32_e32 v42, 3, v40
	v_or_b32_e32 v118, v118, v40
	v_or3_b32 v119, v41, v119, v42
	v_cmp_ne_u32_e32 vcc_lo, 0, v118
	v_cndmask_b32_e32 v118, 0, v119, vcc_lo
.LBB4_3417:                             ;   in Loop: Header=BB4_3166 Depth=2
	s_or_b32 exec_lo, exec_lo, s29
.LBB4_3418:                             ;   in Loop: Header=BB4_3166 Depth=2
	s_or_b32 exec_lo, exec_lo, s28
	v_cmp_gt_i16_sdwa s28, v23, v100 src0_sel:BYTE_3 src1_sel:DWORD
	s_and_b32 vcc_lo, exec_lo, s27
	s_mov_b32 s12, -1
                                        ; implicit-def: $vgpr119
	s_cbranch_vccz .LBB4_3432
; %bb.3419:                             ;   in Loop: Header=BB4_3166 Depth=2
	s_mov_b32 s12, 0
	s_and_saveexec_b32 s29, s28
	s_xor_b32 s28, exec_lo, s29
	s_cbranch_execz .LBB4_4372
; %bb.3420:                             ;   in Loop: Header=BB4_3166 Depth=2
	v_cmp_eq_u16_sdwa s40, v23, v101 src0_sel:BYTE_3 src1_sel:DWORD
	s_mov_b32 s12, -1
	s_and_saveexec_b32 s29, s40
; %bb.3421:                             ;   in Loop: Header=BB4_3166 Depth=2
	s_xor_b32 s12, exec_lo, -1
; %bb.3422:                             ;   in Loop: Header=BB4_3166 Depth=2
	s_or_b32 exec_lo, exec_lo, s29
	s_and_b32 s12, s12, exec_lo
	s_or_saveexec_b32 s28, s28
	v_mov_b32_e32 v119, 0x7f800001
	s_xor_b32 exec_lo, exec_lo, s28
	s_cbranch_execnz .LBB4_4373
.LBB4_3423:                             ;   in Loop: Header=BB4_3166 Depth=2
	s_or_b32 exec_lo, exec_lo, s28
	s_and_saveexec_b32 s28, s12
	s_cbranch_execz .LBB4_3425
.LBB4_3424:                             ;   in Loop: Header=BB4_3166 Depth=2
	v_bfe_u32 v119, v23, 24, 2
	v_bfe_u32 v42, v23, 26, 5
	v_ffbh_u32_e32 v40, v119
	v_cmp_eq_u32_e32 vcc_lo, 0, v42
	v_min_u32_e32 v40, 32, v40
	v_subrev_nc_u32_e32 v41, 29, v40
	v_sub_nc_u32_e32 v40, 30, v40
	v_lshlrev_b32_sdwa v41, v41, v23 dst_sel:DWORD dst_unused:UNUSED_PAD src0_sel:DWORD src1_sel:BYTE_3
	v_cndmask_b32_e32 v40, v42, v40, vcc_lo
	v_and_b32_e32 v41, 3, v41
	v_lshl_add_u32 v40, v40, 23, 0x37800000
	v_cndmask_b32_e32 v119, v119, v41, vcc_lo
	v_and_b32_e32 v41, 0x80000000, v23
	v_lshlrev_b32_e32 v119, 21, v119
	v_or3_b32 v119, v41, v40, v119
.LBB4_3425:                             ;   in Loop: Header=BB4_3166 Depth=2
	s_or_b32 exec_lo, exec_lo, s28
	v_cmp_gt_i16_sdwa s28, v19, v100 src0_sel:BYTE_3 src1_sel:DWORD
	s_mov_b32 s12, 0
	s_and_saveexec_b32 s29, s28
	s_xor_b32 s28, exec_lo, s29
	s_cbranch_execz .LBB4_4374
; %bb.3426:                             ;   in Loop: Header=BB4_3166 Depth=2
	v_cmp_eq_u16_sdwa s40, v19, v101 src0_sel:BYTE_3 src1_sel:DWORD
	s_mov_b32 s12, -1
	s_and_saveexec_b32 s29, s40
; %bb.3427:                             ;   in Loop: Header=BB4_3166 Depth=2
	s_xor_b32 s12, exec_lo, -1
; %bb.3428:                             ;   in Loop: Header=BB4_3166 Depth=2
	s_or_b32 exec_lo, exec_lo, s29
	s_and_b32 s12, s12, exec_lo
	s_or_saveexec_b32 s28, s28
	v_mov_b32_e32 v40, 0x7f800001
	s_xor_b32 exec_lo, exec_lo, s28
	s_cbranch_execnz .LBB4_4375
.LBB4_3429:                             ;   in Loop: Header=BB4_3166 Depth=2
	s_or_b32 exec_lo, exec_lo, s28
	s_and_saveexec_b32 s28, s12
	s_cbranch_execz .LBB4_3431
.LBB4_3430:                             ;   in Loop: Header=BB4_3166 Depth=2
	v_bfe_u32 v40, v19, 24, 2
	v_bfe_u32 v43, v19, 26, 5
	v_ffbh_u32_e32 v41, v40
	v_cmp_eq_u32_e32 vcc_lo, 0, v43
	v_min_u32_e32 v41, 32, v41
	v_subrev_nc_u32_e32 v42, 29, v41
	v_sub_nc_u32_e32 v41, 30, v41
	v_lshlrev_b32_sdwa v42, v42, v19 dst_sel:DWORD dst_unused:UNUSED_PAD src0_sel:DWORD src1_sel:BYTE_3
	v_cndmask_b32_e32 v41, v43, v41, vcc_lo
	v_and_b32_e32 v42, 3, v42
	v_lshl_add_u32 v41, v41, 23, 0x37800000
	v_cndmask_b32_e32 v40, v40, v42, vcc_lo
	v_and_b32_e32 v42, 0x80000000, v19
	v_lshlrev_b32_e32 v40, 21, v40
	v_or3_b32 v40, v42, v41, v40
.LBB4_3431:                             ;   in Loop: Header=BB4_3166 Depth=2
	s_or_b32 exec_lo, exec_lo, s28
	v_max_f32_e32 v40, v40, v40
	v_max_f32_e32 v119, v119, v119
	s_mov_b32 s12, 0
	v_max_f32_e32 v119, v119, v40
.LBB4_3432:                             ;   in Loop: Header=BB4_3166 Depth=2
	s_and_b32 vcc_lo, exec_lo, s12
	s_cbranch_vccz .LBB4_3446
; %bb.3433:                             ;   in Loop: Header=BB4_3166 Depth=2
	v_cmp_gt_i16_sdwa s28, v23, v100 src0_sel:BYTE_3 src1_sel:DWORD
	s_mov_b32 s12, 0
	s_and_saveexec_b32 s29, s28
	s_xor_b32 s28, exec_lo, s29
	s_cbranch_execz .LBB4_4376
; %bb.3434:                             ;   in Loop: Header=BB4_3166 Depth=2
	v_cmp_eq_u16_sdwa s40, v23, v101 src0_sel:BYTE_3 src1_sel:DWORD
	s_mov_b32 s12, -1
	s_and_saveexec_b32 s29, s40
; %bb.3435:                             ;   in Loop: Header=BB4_3166 Depth=2
	s_xor_b32 s12, exec_lo, -1
; %bb.3436:                             ;   in Loop: Header=BB4_3166 Depth=2
	s_or_b32 exec_lo, exec_lo, s29
	s_and_b32 s12, s12, exec_lo
	s_or_saveexec_b32 s28, s28
	v_mov_b32_e32 v119, 0x7f800001
	s_xor_b32 exec_lo, exec_lo, s28
	s_cbranch_execnz .LBB4_4377
.LBB4_3437:                             ;   in Loop: Header=BB4_3166 Depth=2
	s_or_b32 exec_lo, exec_lo, s28
	s_and_saveexec_b32 s28, s12
	s_cbranch_execz .LBB4_3439
.LBB4_3438:                             ;   in Loop: Header=BB4_3166 Depth=2
	v_bfe_u32 v119, v23, 24, 2
	v_bfe_u32 v42, v23, 26, 5
	v_ffbh_u32_e32 v40, v119
	v_cmp_eq_u32_e32 vcc_lo, 0, v42
	v_min_u32_e32 v40, 32, v40
	v_subrev_nc_u32_e32 v41, 29, v40
	v_sub_nc_u32_e32 v40, 30, v40
	v_lshlrev_b32_sdwa v41, v41, v23 dst_sel:DWORD dst_unused:UNUSED_PAD src0_sel:DWORD src1_sel:BYTE_3
	v_cndmask_b32_e32 v40, v42, v40, vcc_lo
	v_and_b32_e32 v23, 0x80000000, v23
	v_and_b32_e32 v41, 3, v41
	v_lshl_add_u32 v40, v40, 23, 0x37800000
	v_cndmask_b32_e32 v119, v119, v41, vcc_lo
	v_lshlrev_b32_e32 v119, 21, v119
	v_or3_b32 v119, v23, v40, v119
.LBB4_3439:                             ;   in Loop: Header=BB4_3166 Depth=2
	s_or_b32 exec_lo, exec_lo, s28
	v_cmp_gt_i16_sdwa s28, v19, v100 src0_sel:BYTE_3 src1_sel:DWORD
	s_mov_b32 s12, 0
	s_and_saveexec_b32 s29, s28
	s_xor_b32 s28, exec_lo, s29
	s_cbranch_execz .LBB4_4378
; %bb.3440:                             ;   in Loop: Header=BB4_3166 Depth=2
	v_cmp_eq_u16_sdwa s40, v19, v101 src0_sel:BYTE_3 src1_sel:DWORD
	s_mov_b32 s12, -1
	s_and_saveexec_b32 s29, s40
; %bb.3441:                             ;   in Loop: Header=BB4_3166 Depth=2
	s_xor_b32 s12, exec_lo, -1
; %bb.3442:                             ;   in Loop: Header=BB4_3166 Depth=2
	s_or_b32 exec_lo, exec_lo, s29
	s_and_b32 s12, s12, exec_lo
	s_or_saveexec_b32 s28, s28
	v_mov_b32_e32 v23, 0x7f800001
	s_xor_b32 exec_lo, exec_lo, s28
	s_cbranch_execnz .LBB4_4379
.LBB4_3443:                             ;   in Loop: Header=BB4_3166 Depth=2
	s_or_b32 exec_lo, exec_lo, s28
	s_and_saveexec_b32 s28, s12
	s_cbranch_execz .LBB4_3445
.LBB4_3444:                             ;   in Loop: Header=BB4_3166 Depth=2
	v_bfe_u32 v23, v19, 24, 2
	v_bfe_u32 v42, v19, 26, 5
	v_ffbh_u32_e32 v40, v23
	v_cmp_eq_u32_e32 vcc_lo, 0, v42
	v_min_u32_e32 v40, 32, v40
	v_subrev_nc_u32_e32 v41, 29, v40
	v_sub_nc_u32_e32 v40, 30, v40
	v_lshlrev_b32_sdwa v41, v41, v19 dst_sel:DWORD dst_unused:UNUSED_PAD src0_sel:DWORD src1_sel:BYTE_3
	v_cndmask_b32_e32 v40, v42, v40, vcc_lo
	v_and_b32_e32 v19, 0x80000000, v19
	v_and_b32_e32 v41, 3, v41
	v_lshl_add_u32 v40, v40, 23, 0x37800000
	v_cndmask_b32_e32 v23, v23, v41, vcc_lo
	v_lshlrev_b32_e32 v23, 21, v23
	v_or3_b32 v23, v19, v40, v23
.LBB4_3445:                             ;   in Loop: Header=BB4_3166 Depth=2
	s_or_b32 exec_lo, exec_lo, s28
	v_max_f32_e32 v19, v23, v23
	v_max_f32_e32 v23, v119, v119
	v_min_f32_e32 v119, v23, v19
.LBB4_3446:                             ;   in Loop: Header=BB4_3166 Depth=2
	v_and_b32_e32 v19, 0x7f800000, v119
	v_cmp_ne_u32_e32 vcc_lo, 0x7f800000, v19
	v_mov_b32_e32 v19, 0x8000
	s_and_saveexec_b32 s28, vcc_lo
	s_cbranch_execz .LBB4_3454
; %bb.3447:                             ;   in Loop: Header=BB4_3166 Depth=2
	v_mov_b32_e32 v19, 0
	s_mov_b32 s29, exec_lo
	v_cmpx_ne_u32_e32 0, v119
	s_cbranch_execz .LBB4_3453
; %bb.3448:                             ;   in Loop: Header=BB4_3166 Depth=2
	v_bfe_u32 v19, v119, 23, 8
	v_and_b32_e32 v23, 0x7fffff, v119
	v_sub_nc_u32_e32 v40, 0x70, v19
	v_cmp_gt_u32_e32 vcc_lo, 0x71, v19
	v_or_b32_e32 v41, 0x800000, v23
	v_cndmask_b32_e32 v40, 0, v40, vcc_lo
	v_cmp_eq_u32_e32 vcc_lo, 0, v19
	v_add_nc_u32_e32 v19, 0xffffff91, v19
	v_cndmask_b32_e64 v40, v40, 0x6f, vcc_lo
	v_cndmask_b32_e32 v23, v41, v23, vcc_lo
	v_cndmask_b32_e64 v19, v19, 0xffffff92, vcc_lo
	v_lshl_add_u32 v41, 0x200000, v40, -1
	v_lshrrev_b32_e32 v42, v40, v23
	v_lshlrev_b32_e64 v44, v40, 0x100000
	v_add_nc_u32_e32 v40, v40, v19
	v_and_b32_e32 v23, v41, v23
	v_bfe_u32 v43, v42, 21, 1
	v_cmp_eq_u32_e64 s12, v23, v44
	v_add_nc_u32_e32 v41, -1, v43
	v_cndmask_b32_e64 v23, 0, v41, s12
	v_lshrrev_b32_e32 v41, 23, v42
	s_mov_b32 s12, exec_lo
	v_add_nc_u32_e32 v23, v23, v42
	v_xor_b32_e32 v41, 1, v41
	v_and_b32_e32 v19, 0x1fffff, v23
	v_add_nc_u32_e32 v23, v19, v42
                                        ; implicit-def: $vgpr19
	v_cmpx_ne_u32_e64 v40, v41
	s_xor_b32 s12, exec_lo, s12
; %bb.3449:                             ;   in Loop: Header=BB4_3166 Depth=2
	v_cmp_lt_u32_e32 vcc_lo, 0xffffff, v23
	v_sub_nc_u32_e32 v19, v40, v41
	v_cndmask_b32_e64 v40, 0, 1, vcc_lo
	v_add_co_ci_u32_e64 v19, null, 0, v19, vcc_lo
	v_lshrrev_b32_e32 v23, v40, v23
; %bb.3450:                             ;   in Loop: Header=BB4_3166 Depth=2
	s_andn2_saveexec_b32 s12, s12
; %bb.3451:                             ;   in Loop: Header=BB4_3166 Depth=2
	v_bfe_u32 v19, v23, 23, 1
; %bb.3452:                             ;   in Loop: Header=BB4_3166 Depth=2
	s_or_b32 exec_lo, exec_lo, s12
	v_lshrrev_b32_e32 v23, 21, v23
	v_min_i32_e32 v40, 31, v19
	v_cmp_gt_i32_e32 vcc_lo, 32, v19
	v_and_b32_sdwa v119, v119, v101 dst_sel:DWORD dst_unused:UNUSED_PAD src0_sel:BYTE_3 src1_sel:DWORD
	v_lshlrev_b32_e32 v40, 2, v40
	v_cndmask_b32_e32 v23, 3, v23, vcc_lo
	v_and_b32_e32 v40, 0xfc, v40
	v_and_b32_e32 v41, 3, v23
	v_or_b32_e32 v19, v19, v23
	v_or3_b32 v119, v119, v40, v41
	v_cmp_ne_u32_e32 vcc_lo, 0, v19
	v_lshlrev_b32_e32 v23, 8, v119
	v_cndmask_b32_e32 v19, 0, v23, vcc_lo
.LBB4_3453:                             ;   in Loop: Header=BB4_3166 Depth=2
	s_or_b32 exec_lo, exec_lo, s29
.LBB4_3454:                             ;   in Loop: Header=BB4_3166 Depth=2
	s_or_b32 exec_lo, exec_lo, s28
	v_cmp_gt_i16_sdwa s28, v24, v100 src0_sel:BYTE_0 src1_sel:DWORD
	s_and_b32 vcc_lo, exec_lo, s27
	s_mov_b32 s12, -1
                                        ; implicit-def: $vgpr119
	s_cbranch_vccz .LBB4_3468
; %bb.3455:                             ;   in Loop: Header=BB4_3166 Depth=2
	s_mov_b32 s12, 0
	s_and_saveexec_b32 s29, s28
	s_xor_b32 s28, exec_lo, s29
	s_cbranch_execz .LBB4_4380
; %bb.3456:                             ;   in Loop: Header=BB4_3166 Depth=2
	v_cmp_eq_u16_sdwa s40, v24, v101 src0_sel:BYTE_0 src1_sel:DWORD
	s_mov_b32 s12, -1
	s_and_saveexec_b32 s29, s40
; %bb.3457:                             ;   in Loop: Header=BB4_3166 Depth=2
	s_xor_b32 s12, exec_lo, -1
; %bb.3458:                             ;   in Loop: Header=BB4_3166 Depth=2
	s_or_b32 exec_lo, exec_lo, s29
	s_and_b32 s12, s12, exec_lo
	s_or_saveexec_b32 s28, s28
	v_mov_b32_e32 v23, 0x7f800001
	s_xor_b32 exec_lo, exec_lo, s28
	s_cbranch_execnz .LBB4_4381
.LBB4_3459:                             ;   in Loop: Header=BB4_3166 Depth=2
	s_or_b32 exec_lo, exec_lo, s28
	s_and_saveexec_b32 s28, s12
	s_cbranch_execz .LBB4_3461
.LBB4_3460:                             ;   in Loop: Header=BB4_3166 Depth=2
	v_and_b32_e32 v23, 3, v24
	v_bfe_u32 v41, v24, 2, 5
	v_lshlrev_b32_e32 v42, 24, v24
	v_ffbh_u32_e32 v119, v23
	v_cmp_eq_u32_e32 vcc_lo, 0, v41
	v_min_u32_e32 v119, 32, v119
	v_subrev_nc_u32_e32 v40, 29, v119
	v_sub_nc_u32_e32 v119, 30, v119
	v_lshlrev_b32_e32 v40, v40, v24
	v_cndmask_b32_e32 v119, v41, v119, vcc_lo
	v_and_b32_e32 v40, 3, v40
	v_lshl_add_u32 v119, v119, 23, 0x37800000
	v_cndmask_b32_e32 v23, v23, v40, vcc_lo
	v_and_b32_e32 v40, 0x80000000, v42
	v_lshlrev_b32_e32 v23, 21, v23
	v_or3_b32 v23, v40, v119, v23
.LBB4_3461:                             ;   in Loop: Header=BB4_3166 Depth=2
	s_or_b32 exec_lo, exec_lo, s28
	v_cmp_gt_i16_sdwa s28, v20, v100 src0_sel:BYTE_0 src1_sel:DWORD
	s_mov_b32 s12, 0
	s_and_saveexec_b32 s29, s28
	s_xor_b32 s28, exec_lo, s29
	s_cbranch_execz .LBB4_4382
; %bb.3462:                             ;   in Loop: Header=BB4_3166 Depth=2
	v_cmp_eq_u16_sdwa s40, v20, v101 src0_sel:BYTE_0 src1_sel:DWORD
	s_mov_b32 s12, -1
	s_and_saveexec_b32 s29, s40
; %bb.3463:                             ;   in Loop: Header=BB4_3166 Depth=2
	s_xor_b32 s12, exec_lo, -1
; %bb.3464:                             ;   in Loop: Header=BB4_3166 Depth=2
	s_or_b32 exec_lo, exec_lo, s29
	s_and_b32 s12, s12, exec_lo
	s_or_saveexec_b32 s28, s28
	v_mov_b32_e32 v119, 0x7f800001
	s_xor_b32 exec_lo, exec_lo, s28
	s_cbranch_execnz .LBB4_4383
.LBB4_3465:                             ;   in Loop: Header=BB4_3166 Depth=2
	s_or_b32 exec_lo, exec_lo, s28
	s_and_saveexec_b32 s28, s12
	s_cbranch_execz .LBB4_3467
.LBB4_3466:                             ;   in Loop: Header=BB4_3166 Depth=2
	v_and_b32_e32 v119, 3, v20
	v_bfe_u32 v42, v20, 2, 5
	v_lshlrev_b32_e32 v43, 24, v20
	v_ffbh_u32_e32 v40, v119
	v_cmp_eq_u32_e32 vcc_lo, 0, v42
	v_min_u32_e32 v40, 32, v40
	v_subrev_nc_u32_e32 v41, 29, v40
	v_sub_nc_u32_e32 v40, 30, v40
	v_lshlrev_b32_e32 v41, v41, v20
	v_cndmask_b32_e32 v40, v42, v40, vcc_lo
	v_and_b32_e32 v41, 3, v41
	v_lshl_add_u32 v40, v40, 23, 0x37800000
	v_cndmask_b32_e32 v119, v119, v41, vcc_lo
	v_and_b32_e32 v41, 0x80000000, v43
	v_lshlrev_b32_e32 v119, 21, v119
	v_or3_b32 v119, v41, v40, v119
.LBB4_3467:                             ;   in Loop: Header=BB4_3166 Depth=2
	s_or_b32 exec_lo, exec_lo, s28
	v_max_f32_e32 v119, v119, v119
	v_max_f32_e32 v23, v23, v23
	s_mov_b32 s12, 0
	v_max_f32_e32 v119, v23, v119
.LBB4_3468:                             ;   in Loop: Header=BB4_3166 Depth=2
	s_and_b32 vcc_lo, exec_lo, s12
	s_cbranch_vccz .LBB4_3482
; %bb.3469:                             ;   in Loop: Header=BB4_3166 Depth=2
	v_cmp_gt_i16_sdwa s28, v24, v100 src0_sel:BYTE_0 src1_sel:DWORD
	s_mov_b32 s12, 0
	s_and_saveexec_b32 s29, s28
	s_xor_b32 s28, exec_lo, s29
	s_cbranch_execz .LBB4_4384
; %bb.3470:                             ;   in Loop: Header=BB4_3166 Depth=2
	v_cmp_eq_u16_sdwa s40, v24, v101 src0_sel:BYTE_0 src1_sel:DWORD
	s_mov_b32 s12, -1
	s_and_saveexec_b32 s29, s40
; %bb.3471:                             ;   in Loop: Header=BB4_3166 Depth=2
	s_xor_b32 s12, exec_lo, -1
; %bb.3472:                             ;   in Loop: Header=BB4_3166 Depth=2
	s_or_b32 exec_lo, exec_lo, s29
	s_and_b32 s12, s12, exec_lo
	s_or_saveexec_b32 s28, s28
	v_mov_b32_e32 v23, 0x7f800001
	s_xor_b32 exec_lo, exec_lo, s28
	s_cbranch_execnz .LBB4_4385
.LBB4_3473:                             ;   in Loop: Header=BB4_3166 Depth=2
	s_or_b32 exec_lo, exec_lo, s28
	s_and_saveexec_b32 s28, s12
	s_cbranch_execz .LBB4_3475
.LBB4_3474:                             ;   in Loop: Header=BB4_3166 Depth=2
	v_and_b32_e32 v23, 3, v24
	v_bfe_u32 v41, v24, 2, 5
	v_lshlrev_b32_e32 v42, 24, v24
	v_ffbh_u32_e32 v119, v23
	v_cmp_eq_u32_e32 vcc_lo, 0, v41
	v_min_u32_e32 v119, 32, v119
	v_subrev_nc_u32_e32 v40, 29, v119
	v_sub_nc_u32_e32 v119, 30, v119
	v_lshlrev_b32_e32 v40, v40, v24
	v_cndmask_b32_e32 v119, v41, v119, vcc_lo
	v_and_b32_e32 v40, 3, v40
	v_lshl_add_u32 v119, v119, 23, 0x37800000
	v_cndmask_b32_e32 v23, v23, v40, vcc_lo
	v_and_b32_e32 v40, 0x80000000, v42
	v_lshlrev_b32_e32 v23, 21, v23
	v_or3_b32 v23, v40, v119, v23
.LBB4_3475:                             ;   in Loop: Header=BB4_3166 Depth=2
	s_or_b32 exec_lo, exec_lo, s28
	v_cmp_gt_i16_sdwa s28, v20, v100 src0_sel:BYTE_0 src1_sel:DWORD
	s_mov_b32 s12, 0
	s_and_saveexec_b32 s29, s28
	s_xor_b32 s28, exec_lo, s29
	s_cbranch_execz .LBB4_4386
; %bb.3476:                             ;   in Loop: Header=BB4_3166 Depth=2
	v_cmp_eq_u16_sdwa s40, v20, v101 src0_sel:BYTE_0 src1_sel:DWORD
	s_mov_b32 s12, -1
	s_and_saveexec_b32 s29, s40
; %bb.3477:                             ;   in Loop: Header=BB4_3166 Depth=2
	s_xor_b32 s12, exec_lo, -1
; %bb.3478:                             ;   in Loop: Header=BB4_3166 Depth=2
	s_or_b32 exec_lo, exec_lo, s29
	s_and_b32 s12, s12, exec_lo
	s_or_saveexec_b32 s28, s28
	v_mov_b32_e32 v119, 0x7f800001
	s_xor_b32 exec_lo, exec_lo, s28
	s_cbranch_execnz .LBB4_4387
.LBB4_3479:                             ;   in Loop: Header=BB4_3166 Depth=2
	s_or_b32 exec_lo, exec_lo, s28
	s_and_saveexec_b32 s28, s12
	s_cbranch_execz .LBB4_3481
.LBB4_3480:                             ;   in Loop: Header=BB4_3166 Depth=2
	v_and_b32_e32 v119, 3, v20
	v_bfe_u32 v42, v20, 2, 5
	v_lshlrev_b32_e32 v43, 24, v20
	v_ffbh_u32_e32 v40, v119
	v_cmp_eq_u32_e32 vcc_lo, 0, v42
	v_min_u32_e32 v40, 32, v40
	v_subrev_nc_u32_e32 v41, 29, v40
	v_sub_nc_u32_e32 v40, 30, v40
	v_lshlrev_b32_e32 v41, v41, v20
	v_cndmask_b32_e32 v40, v42, v40, vcc_lo
	v_and_b32_e32 v41, 3, v41
	v_lshl_add_u32 v40, v40, 23, 0x37800000
	v_cndmask_b32_e32 v119, v119, v41, vcc_lo
	v_and_b32_e32 v41, 0x80000000, v43
	v_lshlrev_b32_e32 v119, 21, v119
	v_or3_b32 v119, v41, v40, v119
.LBB4_3481:                             ;   in Loop: Header=BB4_3166 Depth=2
	s_or_b32 exec_lo, exec_lo, s28
	v_max_f32_e32 v119, v119, v119
	v_max_f32_e32 v23, v23, v23
	v_min_f32_e32 v119, v23, v119
.LBB4_3482:                             ;   in Loop: Header=BB4_3166 Depth=2
	v_and_b32_e32 v23, 0x7f800000, v119
	v_cmp_ne_u32_e32 vcc_lo, 0x7f800000, v23
	v_mov_b32_e32 v23, 0x80
	s_and_saveexec_b32 s28, vcc_lo
	s_cbranch_execz .LBB4_3490
; %bb.3483:                             ;   in Loop: Header=BB4_3166 Depth=2
	v_mov_b32_e32 v23, 0
	s_mov_b32 s29, exec_lo
	v_cmpx_ne_u32_e32 0, v119
	s_cbranch_execz .LBB4_3489
; %bb.3484:                             ;   in Loop: Header=BB4_3166 Depth=2
	v_bfe_u32 v23, v119, 23, 8
	v_and_b32_e32 v40, 0x7fffff, v119
	v_sub_nc_u32_e32 v41, 0x70, v23
	v_cmp_gt_u32_e32 vcc_lo, 0x71, v23
	v_or_b32_e32 v42, 0x800000, v40
	v_cndmask_b32_e32 v41, 0, v41, vcc_lo
	v_cmp_eq_u32_e32 vcc_lo, 0, v23
	v_add_nc_u32_e32 v23, 0xffffff91, v23
	v_cndmask_b32_e64 v41, v41, 0x6f, vcc_lo
	v_cndmask_b32_e32 v40, v42, v40, vcc_lo
	v_cndmask_b32_e64 v23, v23, 0xffffff92, vcc_lo
	v_lshl_add_u32 v42, 0x200000, v41, -1
	v_lshrrev_b32_e32 v43, v41, v40
	v_lshlrev_b32_e64 v45, v41, 0x100000
	v_add_nc_u32_e32 v41, v41, v23
	v_and_b32_e32 v40, v42, v40
	v_bfe_u32 v44, v43, 21, 1
	v_cmp_eq_u32_e64 s12, v40, v45
	v_add_nc_u32_e32 v42, -1, v44
	v_cndmask_b32_e64 v40, 0, v42, s12
	v_lshrrev_b32_e32 v42, 23, v43
	s_mov_b32 s12, exec_lo
	v_add_nc_u32_e32 v40, v40, v43
	v_xor_b32_e32 v42, 1, v42
	v_and_b32_e32 v23, 0x1fffff, v40
	v_add_nc_u32_e32 v40, v23, v43
                                        ; implicit-def: $vgpr23
	v_cmpx_ne_u32_e64 v41, v42
	s_xor_b32 s12, exec_lo, s12
; %bb.3485:                             ;   in Loop: Header=BB4_3166 Depth=2
	v_cmp_lt_u32_e32 vcc_lo, 0xffffff, v40
	v_sub_nc_u32_e32 v23, v41, v42
	v_cndmask_b32_e64 v41, 0, 1, vcc_lo
	v_add_co_ci_u32_e64 v23, null, 0, v23, vcc_lo
	v_lshrrev_b32_e32 v40, v41, v40
; %bb.3486:                             ;   in Loop: Header=BB4_3166 Depth=2
	s_andn2_saveexec_b32 s12, s12
; %bb.3487:                             ;   in Loop: Header=BB4_3166 Depth=2
	v_bfe_u32 v23, v40, 23, 1
; %bb.3488:                             ;   in Loop: Header=BB4_3166 Depth=2
	s_or_b32 exec_lo, exec_lo, s12
	v_lshrrev_b32_e32 v40, 21, v40
	v_min_i32_e32 v41, 31, v23
	v_cmp_gt_i32_e32 vcc_lo, 32, v23
	v_and_b32_sdwa v119, v119, v101 dst_sel:DWORD dst_unused:UNUSED_PAD src0_sel:BYTE_3 src1_sel:DWORD
	v_lshlrev_b32_e32 v41, 2, v41
	v_cndmask_b32_e32 v40, 3, v40, vcc_lo
	v_and_b32_e32 v41, 0xfc, v41
	v_and_b32_e32 v42, 3, v40
	v_or_b32_e32 v23, v23, v40
	v_or3_b32 v119, v41, v119, v42
	v_cmp_ne_u32_e32 vcc_lo, 0, v23
	v_cndmask_b32_e32 v23, 0, v119, vcc_lo
.LBB4_3489:                             ;   in Loop: Header=BB4_3166 Depth=2
	s_or_b32 exec_lo, exec_lo, s29
.LBB4_3490:                             ;   in Loop: Header=BB4_3166 Depth=2
	s_or_b32 exec_lo, exec_lo, s28
	v_cmp_gt_i16_sdwa s28, v24, v100 src0_sel:BYTE_1 src1_sel:DWORD
	s_and_b32 vcc_lo, exec_lo, s27
	s_mov_b32 s12, -1
                                        ; implicit-def: $vgpr40
	s_cbranch_vccz .LBB4_3504
; %bb.3491:                             ;   in Loop: Header=BB4_3166 Depth=2
	s_mov_b32 s12, 0
	s_and_saveexec_b32 s29, s28
	s_xor_b32 s28, exec_lo, s29
	s_cbranch_execz .LBB4_4388
; %bb.3492:                             ;   in Loop: Header=BB4_3166 Depth=2
	v_cmp_eq_u16_sdwa s40, v24, v101 src0_sel:BYTE_1 src1_sel:DWORD
	s_mov_b32 s12, -1
	s_and_saveexec_b32 s29, s40
; %bb.3493:                             ;   in Loop: Header=BB4_3166 Depth=2
	s_xor_b32 s12, exec_lo, -1
; %bb.3494:                             ;   in Loop: Header=BB4_3166 Depth=2
	s_or_b32 exec_lo, exec_lo, s29
	s_and_b32 s12, s12, exec_lo
	s_or_saveexec_b32 s28, s28
	v_mov_b32_e32 v119, 0x7f800001
	s_xor_b32 exec_lo, exec_lo, s28
	s_cbranch_execnz .LBB4_4389
.LBB4_3495:                             ;   in Loop: Header=BB4_3166 Depth=2
	s_or_b32 exec_lo, exec_lo, s28
	s_and_saveexec_b32 s28, s12
	s_cbranch_execz .LBB4_3497
.LBB4_3496:                             ;   in Loop: Header=BB4_3166 Depth=2
	v_and_b32_sdwa v119, v102, v24 dst_sel:DWORD dst_unused:UNUSED_PAD src0_sel:DWORD src1_sel:BYTE_1
	v_and_b32_e32 v40, 3, v119
	v_bfe_u32 v43, v119, 2, 5
	v_ffbh_u32_e32 v41, v40
	v_cmp_eq_u32_e32 vcc_lo, 0, v43
	v_min_u32_e32 v41, 32, v41
	v_subrev_nc_u32_e32 v42, 29, v41
	v_sub_nc_u32_e32 v41, 30, v41
	v_lshlrev_b32_e32 v119, v42, v119
	v_lshlrev_b32_e32 v42, 16, v24
	v_cndmask_b32_e32 v41, v43, v41, vcc_lo
	v_and_b32_e32 v119, 3, v119
	v_lshl_add_u32 v41, v41, 23, 0x37800000
	v_cndmask_b32_e32 v119, v40, v119, vcc_lo
	v_and_b32_e32 v40, 0x80000000, v42
	v_lshlrev_b32_e32 v119, 21, v119
	v_or3_b32 v119, v40, v41, v119
.LBB4_3497:                             ;   in Loop: Header=BB4_3166 Depth=2
	s_or_b32 exec_lo, exec_lo, s28
	v_cmp_gt_i16_sdwa s28, v20, v100 src0_sel:BYTE_1 src1_sel:DWORD
	s_mov_b32 s12, 0
	s_and_saveexec_b32 s29, s28
	s_xor_b32 s28, exec_lo, s29
	s_cbranch_execz .LBB4_4390
; %bb.3498:                             ;   in Loop: Header=BB4_3166 Depth=2
	v_cmp_eq_u16_sdwa s40, v20, v101 src0_sel:BYTE_1 src1_sel:DWORD
	s_mov_b32 s12, -1
	s_and_saveexec_b32 s29, s40
; %bb.3499:                             ;   in Loop: Header=BB4_3166 Depth=2
	s_xor_b32 s12, exec_lo, -1
; %bb.3500:                             ;   in Loop: Header=BB4_3166 Depth=2
	s_or_b32 exec_lo, exec_lo, s29
	s_and_b32 s12, s12, exec_lo
	s_or_saveexec_b32 s28, s28
	v_mov_b32_e32 v40, 0x7f800001
	s_xor_b32 exec_lo, exec_lo, s28
	s_cbranch_execnz .LBB4_4391
.LBB4_3501:                             ;   in Loop: Header=BB4_3166 Depth=2
	s_or_b32 exec_lo, exec_lo, s28
	s_and_saveexec_b32 s28, s12
	s_cbranch_execz .LBB4_3503
.LBB4_3502:                             ;   in Loop: Header=BB4_3166 Depth=2
	v_and_b32_sdwa v40, v102, v20 dst_sel:DWORD dst_unused:UNUSED_PAD src0_sel:DWORD src1_sel:BYTE_1
	v_and_b32_e32 v41, 3, v40
	v_bfe_u32 v44, v40, 2, 5
	v_ffbh_u32_e32 v42, v41
	v_cmp_eq_u32_e32 vcc_lo, 0, v44
	v_min_u32_e32 v42, 32, v42
	v_subrev_nc_u32_e32 v43, 29, v42
	v_sub_nc_u32_e32 v42, 30, v42
	v_lshlrev_b32_e32 v40, v43, v40
	v_lshlrev_b32_e32 v43, 16, v20
	v_cndmask_b32_e32 v42, v44, v42, vcc_lo
	v_and_b32_e32 v40, 3, v40
	v_lshl_add_u32 v42, v42, 23, 0x37800000
	v_cndmask_b32_e32 v40, v41, v40, vcc_lo
	v_and_b32_e32 v41, 0x80000000, v43
	v_lshlrev_b32_e32 v40, 21, v40
	v_or3_b32 v40, v41, v42, v40
.LBB4_3503:                             ;   in Loop: Header=BB4_3166 Depth=2
	s_or_b32 exec_lo, exec_lo, s28
	v_max_f32_e32 v40, v40, v40
	v_max_f32_e32 v119, v119, v119
	s_mov_b32 s12, 0
	v_max_f32_e32 v40, v119, v40
.LBB4_3504:                             ;   in Loop: Header=BB4_3166 Depth=2
	s_and_b32 vcc_lo, exec_lo, s12
	s_cbranch_vccz .LBB4_3518
; %bb.3505:                             ;   in Loop: Header=BB4_3166 Depth=2
	v_cmp_gt_i16_sdwa s28, v24, v100 src0_sel:BYTE_1 src1_sel:DWORD
	s_mov_b32 s12, 0
	s_and_saveexec_b32 s29, s28
	s_xor_b32 s28, exec_lo, s29
	s_cbranch_execz .LBB4_4392
; %bb.3506:                             ;   in Loop: Header=BB4_3166 Depth=2
	v_cmp_eq_u16_sdwa s40, v24, v101 src0_sel:BYTE_1 src1_sel:DWORD
	s_mov_b32 s12, -1
	s_and_saveexec_b32 s29, s40
; %bb.3507:                             ;   in Loop: Header=BB4_3166 Depth=2
	s_xor_b32 s12, exec_lo, -1
; %bb.3508:                             ;   in Loop: Header=BB4_3166 Depth=2
	s_or_b32 exec_lo, exec_lo, s29
	s_and_b32 s12, s12, exec_lo
	s_or_saveexec_b32 s28, s28
	v_mov_b32_e32 v119, 0x7f800001
	s_xor_b32 exec_lo, exec_lo, s28
	s_cbranch_execnz .LBB4_4393
.LBB4_3509:                             ;   in Loop: Header=BB4_3166 Depth=2
	s_or_b32 exec_lo, exec_lo, s28
	s_and_saveexec_b32 s28, s12
	s_cbranch_execz .LBB4_3511
.LBB4_3510:                             ;   in Loop: Header=BB4_3166 Depth=2
	v_and_b32_sdwa v119, v102, v24 dst_sel:DWORD dst_unused:UNUSED_PAD src0_sel:DWORD src1_sel:BYTE_1
	v_and_b32_e32 v40, 3, v119
	v_bfe_u32 v43, v119, 2, 5
	v_ffbh_u32_e32 v41, v40
	v_cmp_eq_u32_e32 vcc_lo, 0, v43
	v_min_u32_e32 v41, 32, v41
	v_subrev_nc_u32_e32 v42, 29, v41
	v_sub_nc_u32_e32 v41, 30, v41
	v_lshlrev_b32_e32 v119, v42, v119
	v_lshlrev_b32_e32 v42, 16, v24
	v_cndmask_b32_e32 v41, v43, v41, vcc_lo
	v_and_b32_e32 v119, 3, v119
	v_lshl_add_u32 v41, v41, 23, 0x37800000
	v_cndmask_b32_e32 v119, v40, v119, vcc_lo
	v_and_b32_e32 v40, 0x80000000, v42
	v_lshlrev_b32_e32 v119, 21, v119
	v_or3_b32 v119, v40, v41, v119
.LBB4_3511:                             ;   in Loop: Header=BB4_3166 Depth=2
	s_or_b32 exec_lo, exec_lo, s28
	v_cmp_gt_i16_sdwa s28, v20, v100 src0_sel:BYTE_1 src1_sel:DWORD
	s_mov_b32 s12, 0
	s_and_saveexec_b32 s29, s28
	s_xor_b32 s28, exec_lo, s29
	s_cbranch_execz .LBB4_4394
; %bb.3512:                             ;   in Loop: Header=BB4_3166 Depth=2
	v_cmp_eq_u16_sdwa s40, v20, v101 src0_sel:BYTE_1 src1_sel:DWORD
	s_mov_b32 s12, -1
	s_and_saveexec_b32 s29, s40
; %bb.3513:                             ;   in Loop: Header=BB4_3166 Depth=2
	s_xor_b32 s12, exec_lo, -1
; %bb.3514:                             ;   in Loop: Header=BB4_3166 Depth=2
	s_or_b32 exec_lo, exec_lo, s29
	s_and_b32 s12, s12, exec_lo
	s_or_saveexec_b32 s28, s28
	v_mov_b32_e32 v40, 0x7f800001
	s_xor_b32 exec_lo, exec_lo, s28
	s_cbranch_execnz .LBB4_4395
.LBB4_3515:                             ;   in Loop: Header=BB4_3166 Depth=2
	s_or_b32 exec_lo, exec_lo, s28
	s_and_saveexec_b32 s28, s12
	s_cbranch_execz .LBB4_3517
.LBB4_3516:                             ;   in Loop: Header=BB4_3166 Depth=2
	v_and_b32_sdwa v40, v102, v20 dst_sel:DWORD dst_unused:UNUSED_PAD src0_sel:DWORD src1_sel:BYTE_1
	v_and_b32_e32 v41, 3, v40
	v_bfe_u32 v44, v40, 2, 5
	v_ffbh_u32_e32 v42, v41
	v_cmp_eq_u32_e32 vcc_lo, 0, v44
	v_min_u32_e32 v42, 32, v42
	v_subrev_nc_u32_e32 v43, 29, v42
	v_sub_nc_u32_e32 v42, 30, v42
	v_lshlrev_b32_e32 v40, v43, v40
	v_lshlrev_b32_e32 v43, 16, v20
	v_cndmask_b32_e32 v42, v44, v42, vcc_lo
	v_and_b32_e32 v40, 3, v40
	v_lshl_add_u32 v42, v42, 23, 0x37800000
	v_cndmask_b32_e32 v40, v41, v40, vcc_lo
	v_and_b32_e32 v41, 0x80000000, v43
	v_lshlrev_b32_e32 v40, 21, v40
	v_or3_b32 v40, v41, v42, v40
.LBB4_3517:                             ;   in Loop: Header=BB4_3166 Depth=2
	s_or_b32 exec_lo, exec_lo, s28
	v_max_f32_e32 v40, v40, v40
	v_max_f32_e32 v119, v119, v119
	v_min_f32_e32 v40, v119, v40
.LBB4_3518:                             ;   in Loop: Header=BB4_3166 Depth=2
	v_and_b32_e32 v119, 0x7f800000, v40
	v_cmp_ne_u32_e32 vcc_lo, 0x7f800000, v119
	v_mov_b32_e32 v119, 0x8000
	s_and_saveexec_b32 s28, vcc_lo
	s_cbranch_execz .LBB4_3526
; %bb.3519:                             ;   in Loop: Header=BB4_3166 Depth=2
	v_mov_b32_e32 v119, 0
	s_mov_b32 s29, exec_lo
	v_cmpx_ne_u32_e32 0, v40
	s_cbranch_execz .LBB4_3525
; %bb.3520:                             ;   in Loop: Header=BB4_3166 Depth=2
	v_bfe_u32 v119, v40, 23, 8
	v_and_b32_e32 v41, 0x7fffff, v40
	v_sub_nc_u32_e32 v42, 0x70, v119
	v_cmp_gt_u32_e32 vcc_lo, 0x71, v119
	v_or_b32_e32 v43, 0x800000, v41
	v_cndmask_b32_e32 v42, 0, v42, vcc_lo
	v_cmp_eq_u32_e32 vcc_lo, 0, v119
	v_add_nc_u32_e32 v119, 0xffffff91, v119
	v_cndmask_b32_e64 v42, v42, 0x6f, vcc_lo
	v_cndmask_b32_e32 v41, v43, v41, vcc_lo
	v_cndmask_b32_e64 v119, v119, 0xffffff92, vcc_lo
	v_lshl_add_u32 v43, 0x200000, v42, -1
	v_lshrrev_b32_e32 v44, v42, v41
	v_lshlrev_b32_e64 v46, v42, 0x100000
	v_add_nc_u32_e32 v42, v42, v119
	v_and_b32_e32 v41, v43, v41
	v_bfe_u32 v45, v44, 21, 1
	v_cmp_eq_u32_e64 s12, v41, v46
	v_add_nc_u32_e32 v43, -1, v45
	v_cndmask_b32_e64 v41, 0, v43, s12
	v_lshrrev_b32_e32 v43, 23, v44
	s_mov_b32 s12, exec_lo
	v_add_nc_u32_e32 v41, v41, v44
	v_xor_b32_e32 v43, 1, v43
	v_and_b32_e32 v119, 0x1fffff, v41
	v_add_nc_u32_e32 v41, v119, v44
                                        ; implicit-def: $vgpr119
	v_cmpx_ne_u32_e64 v42, v43
	s_xor_b32 s12, exec_lo, s12
; %bb.3521:                             ;   in Loop: Header=BB4_3166 Depth=2
	v_cmp_lt_u32_e32 vcc_lo, 0xffffff, v41
	v_sub_nc_u32_e32 v119, v42, v43
	v_cndmask_b32_e64 v42, 0, 1, vcc_lo
	v_add_co_ci_u32_e64 v119, null, 0, v119, vcc_lo
	v_lshrrev_b32_e32 v41, v42, v41
; %bb.3522:                             ;   in Loop: Header=BB4_3166 Depth=2
	s_andn2_saveexec_b32 s12, s12
; %bb.3523:                             ;   in Loop: Header=BB4_3166 Depth=2
	v_bfe_u32 v119, v41, 23, 1
; %bb.3524:                             ;   in Loop: Header=BB4_3166 Depth=2
	s_or_b32 exec_lo, exec_lo, s12
	v_lshrrev_b32_e32 v41, 21, v41
	v_min_i32_e32 v42, 31, v119
	v_cmp_gt_i32_e32 vcc_lo, 32, v119
	v_and_b32_sdwa v40, v40, v101 dst_sel:DWORD dst_unused:UNUSED_PAD src0_sel:BYTE_3 src1_sel:DWORD
	v_lshlrev_b32_e32 v42, 2, v42
	v_cndmask_b32_e32 v41, 3, v41, vcc_lo
	v_and_b32_e32 v42, 0xfc, v42
	v_and_b32_e32 v43, 3, v41
	v_or_b32_e32 v119, v119, v41
	v_or3_b32 v40, v40, v42, v43
	v_cmp_ne_u32_e32 vcc_lo, 0, v119
	v_lshlrev_b32_e32 v40, 8, v40
	v_cndmask_b32_e32 v119, 0, v40, vcc_lo
.LBB4_3525:                             ;   in Loop: Header=BB4_3166 Depth=2
	s_or_b32 exec_lo, exec_lo, s29
.LBB4_3526:                             ;   in Loop: Header=BB4_3166 Depth=2
	s_or_b32 exec_lo, exec_lo, s28
	v_and_b32_sdwa v40, v24, v103 dst_sel:DWORD dst_unused:UNUSED_PAD src0_sel:WORD_1 src1_sel:DWORD
	s_and_b32 vcc_lo, exec_lo, s27
	s_mov_b32 s28, -1
                                        ; implicit-def: $vgpr41
	v_cmp_lt_i16_e64 s12, 0x7f, v40
	s_cbranch_vccz .LBB4_3540
; %bb.3527:                             ;   in Loop: Header=BB4_3166 Depth=2
	s_mov_b32 s28, 0
	s_and_saveexec_b32 s29, s12
	s_xor_b32 s12, exec_lo, s29
	s_cbranch_execz .LBB4_4396
; %bb.3528:                             ;   in Loop: Header=BB4_3166 Depth=2
	s_mov_b32 s28, -1
	s_mov_b32 s29, exec_lo
	v_cmpx_eq_u16_e32 0x80, v40
; %bb.3529:                             ;   in Loop: Header=BB4_3166 Depth=2
	s_xor_b32 s28, exec_lo, -1
; %bb.3530:                             ;   in Loop: Header=BB4_3166 Depth=2
	s_or_b32 exec_lo, exec_lo, s29
	s_and_b32 s28, s28, exec_lo
	s_or_saveexec_b32 s12, s12
	v_mov_b32_e32 v41, 0x7f800001
	s_xor_b32 exec_lo, exec_lo, s12
	s_cbranch_execnz .LBB4_4397
.LBB4_3531:                             ;   in Loop: Header=BB4_3166 Depth=2
	s_or_b32 exec_lo, exec_lo, s12
	s_and_saveexec_b32 s12, s28
	s_cbranch_execz .LBB4_3533
.LBB4_3532:                             ;   in Loop: Header=BB4_3166 Depth=2
	v_bfe_u32 v41, v24, 16, 2
	v_bfe_u32 v44, v24, 18, 5
	v_lshlrev_b32_sdwa v45, v112, v24 dst_sel:DWORD dst_unused:UNUSED_PAD src0_sel:DWORD src1_sel:WORD_1
	v_ffbh_u32_e32 v42, v41
	v_cmp_eq_u32_e32 vcc_lo, 0, v44
	v_min_u32_e32 v42, 32, v42
	v_subrev_nc_u32_e32 v43, 29, v42
	v_sub_nc_u32_e32 v42, 30, v42
	v_lshlrev_b32_sdwa v43, v43, v24 dst_sel:DWORD dst_unused:UNUSED_PAD src0_sel:DWORD src1_sel:WORD_1
	v_cndmask_b32_e32 v42, v44, v42, vcc_lo
	v_and_b32_e32 v43, 3, v43
	v_lshl_add_u32 v42, v42, 23, 0x37800000
	v_cndmask_b32_e32 v41, v41, v43, vcc_lo
	v_and_b32_e32 v43, 0x80000000, v45
	v_lshlrev_b32_e32 v41, 21, v41
	v_or3_b32 v41, v43, v42, v41
.LBB4_3533:                             ;   in Loop: Header=BB4_3166 Depth=2
	s_or_b32 exec_lo, exec_lo, s12
	v_and_b32_sdwa v43, v20, v103 dst_sel:DWORD dst_unused:UNUSED_PAD src0_sel:WORD_1 src1_sel:DWORD
	s_mov_b32 s12, 0
	s_mov_b32 s28, exec_lo
	v_cmpx_lt_i16_e32 0x7f, v43
	s_xor_b32 s28, exec_lo, s28
	s_cbranch_execz .LBB4_4398
; %bb.3534:                             ;   in Loop: Header=BB4_3166 Depth=2
	s_mov_b32 s12, -1
	s_mov_b32 s29, exec_lo
	v_cmpx_eq_u16_e32 0x80, v43
; %bb.3535:                             ;   in Loop: Header=BB4_3166 Depth=2
	s_xor_b32 s12, exec_lo, -1
; %bb.3536:                             ;   in Loop: Header=BB4_3166 Depth=2
	s_or_b32 exec_lo, exec_lo, s29
	s_and_b32 s12, s12, exec_lo
                                        ; implicit-def: $vgpr43
	s_or_saveexec_b32 s28, s28
	v_mov_b32_e32 v42, 0x7f800001
	s_xor_b32 exec_lo, exec_lo, s28
	s_cbranch_execnz .LBB4_4399
.LBB4_3537:                             ;   in Loop: Header=BB4_3166 Depth=2
	s_or_b32 exec_lo, exec_lo, s28
	s_and_saveexec_b32 s28, s12
	s_cbranch_execz .LBB4_3539
.LBB4_3538:                             ;   in Loop: Header=BB4_3166 Depth=2
	v_bfe_u32 v42, v20, 16, 2
	v_bfe_u32 v45, v20, 18, 5
	v_lshlrev_b32_sdwa v46, v112, v20 dst_sel:DWORD dst_unused:UNUSED_PAD src0_sel:DWORD src1_sel:WORD_1
	v_ffbh_u32_e32 v43, v42
	v_cmp_eq_u32_e32 vcc_lo, 0, v45
	v_min_u32_e32 v43, 32, v43
	v_subrev_nc_u32_e32 v44, 29, v43
	v_sub_nc_u32_e32 v43, 30, v43
	v_lshlrev_b32_sdwa v44, v44, v20 dst_sel:DWORD dst_unused:UNUSED_PAD src0_sel:DWORD src1_sel:WORD_1
	v_cndmask_b32_e32 v43, v45, v43, vcc_lo
	v_and_b32_e32 v44, 3, v44
	v_lshl_add_u32 v43, v43, 23, 0x37800000
	v_cndmask_b32_e32 v42, v42, v44, vcc_lo
	v_and_b32_e32 v44, 0x80000000, v46
	v_lshlrev_b32_e32 v42, 21, v42
	v_or3_b32 v42, v44, v43, v42
.LBB4_3539:                             ;   in Loop: Header=BB4_3166 Depth=2
	s_or_b32 exec_lo, exec_lo, s28
	v_max_f32_e32 v42, v42, v42
	v_max_f32_e32 v41, v41, v41
	s_mov_b32 s28, 0
	v_max_f32_e32 v41, v41, v42
.LBB4_3540:                             ;   in Loop: Header=BB4_3166 Depth=2
	s_and_b32 vcc_lo, exec_lo, s28
	s_cbranch_vccz .LBB4_3554
; %bb.3541:                             ;   in Loop: Header=BB4_3166 Depth=2
	s_mov_b32 s12, 0
	s_mov_b32 s28, exec_lo
	v_cmpx_lt_i16_e32 0x7f, v40
	s_xor_b32 s28, exec_lo, s28
	s_cbranch_execz .LBB4_4400
; %bb.3542:                             ;   in Loop: Header=BB4_3166 Depth=2
	s_mov_b32 s12, -1
	s_mov_b32 s29, exec_lo
	v_cmpx_eq_u16_e32 0x80, v40
; %bb.3543:                             ;   in Loop: Header=BB4_3166 Depth=2
	s_xor_b32 s12, exec_lo, -1
; %bb.3544:                             ;   in Loop: Header=BB4_3166 Depth=2
	s_or_b32 exec_lo, exec_lo, s29
	s_and_b32 s12, s12, exec_lo
                                        ; implicit-def: $vgpr40
	s_or_saveexec_b32 s28, s28
	v_mov_b32_e32 v41, 0x7f800001
	s_xor_b32 exec_lo, exec_lo, s28
	s_cbranch_execnz .LBB4_4401
.LBB4_3545:                             ;   in Loop: Header=BB4_3166 Depth=2
	s_or_b32 exec_lo, exec_lo, s28
	s_and_saveexec_b32 s28, s12
	s_cbranch_execz .LBB4_3547
.LBB4_3546:                             ;   in Loop: Header=BB4_3166 Depth=2
	v_bfe_u32 v40, v24, 16, 2
	v_bfe_u32 v43, v24, 18, 5
	v_lshlrev_b32_sdwa v44, v112, v24 dst_sel:DWORD dst_unused:UNUSED_PAD src0_sel:DWORD src1_sel:WORD_1
	v_ffbh_u32_e32 v41, v40
	v_cmp_eq_u32_e32 vcc_lo, 0, v43
	v_min_u32_e32 v41, 32, v41
	v_subrev_nc_u32_e32 v42, 29, v41
	v_sub_nc_u32_e32 v41, 30, v41
	v_lshlrev_b32_sdwa v42, v42, v24 dst_sel:DWORD dst_unused:UNUSED_PAD src0_sel:DWORD src1_sel:WORD_1
	v_cndmask_b32_e32 v41, v43, v41, vcc_lo
	v_and_b32_e32 v42, 3, v42
	v_lshl_add_u32 v41, v41, 23, 0x37800000
	v_cndmask_b32_e32 v40, v40, v42, vcc_lo
	v_and_b32_e32 v42, 0x80000000, v44
	v_lshlrev_b32_e32 v40, 21, v40
	v_or3_b32 v41, v42, v41, v40
.LBB4_3547:                             ;   in Loop: Header=BB4_3166 Depth=2
	s_or_b32 exec_lo, exec_lo, s28
	v_and_b32_sdwa v42, v20, v103 dst_sel:DWORD dst_unused:UNUSED_PAD src0_sel:WORD_1 src1_sel:DWORD
	s_mov_b32 s12, 0
	s_mov_b32 s28, exec_lo
	v_cmpx_lt_i16_e32 0x7f, v42
	s_xor_b32 s28, exec_lo, s28
	s_cbranch_execz .LBB4_4402
; %bb.3548:                             ;   in Loop: Header=BB4_3166 Depth=2
	s_mov_b32 s12, -1
	s_mov_b32 s29, exec_lo
	v_cmpx_eq_u16_e32 0x80, v42
; %bb.3549:                             ;   in Loop: Header=BB4_3166 Depth=2
	s_xor_b32 s12, exec_lo, -1
; %bb.3550:                             ;   in Loop: Header=BB4_3166 Depth=2
	s_or_b32 exec_lo, exec_lo, s29
	s_and_b32 s12, s12, exec_lo
                                        ; implicit-def: $vgpr42
	s_or_saveexec_b32 s28, s28
	v_mov_b32_e32 v40, 0x7f800001
	s_xor_b32 exec_lo, exec_lo, s28
	s_cbranch_execnz .LBB4_4403
.LBB4_3551:                             ;   in Loop: Header=BB4_3166 Depth=2
	s_or_b32 exec_lo, exec_lo, s28
	s_and_saveexec_b32 s28, s12
	s_cbranch_execz .LBB4_3553
.LBB4_3552:                             ;   in Loop: Header=BB4_3166 Depth=2
	v_bfe_u32 v40, v20, 16, 2
	v_bfe_u32 v44, v20, 18, 5
	v_lshlrev_b32_sdwa v45, v112, v20 dst_sel:DWORD dst_unused:UNUSED_PAD src0_sel:DWORD src1_sel:WORD_1
	v_ffbh_u32_e32 v42, v40
	v_cmp_eq_u32_e32 vcc_lo, 0, v44
	v_min_u32_e32 v42, 32, v42
	v_subrev_nc_u32_e32 v43, 29, v42
	v_sub_nc_u32_e32 v42, 30, v42
	v_lshlrev_b32_sdwa v43, v43, v20 dst_sel:DWORD dst_unused:UNUSED_PAD src0_sel:DWORD src1_sel:WORD_1
	v_cndmask_b32_e32 v42, v44, v42, vcc_lo
	v_and_b32_e32 v43, 3, v43
	v_lshl_add_u32 v42, v42, 23, 0x37800000
	v_cndmask_b32_e32 v40, v40, v43, vcc_lo
	v_and_b32_e32 v43, 0x80000000, v45
	v_lshlrev_b32_e32 v40, 21, v40
	v_or3_b32 v40, v43, v42, v40
.LBB4_3553:                             ;   in Loop: Header=BB4_3166 Depth=2
	s_or_b32 exec_lo, exec_lo, s28
	v_max_f32_e32 v40, v40, v40
	v_max_f32_e32 v41, v41, v41
	v_min_f32_e32 v41, v41, v40
.LBB4_3554:                             ;   in Loop: Header=BB4_3166 Depth=2
	v_and_b32_e32 v40, 0x7f800000, v41
	v_cmp_ne_u32_e32 vcc_lo, 0x7f800000, v40
	v_mov_b32_e32 v40, 0x80
	s_and_saveexec_b32 s28, vcc_lo
	s_cbranch_execz .LBB4_3562
; %bb.3555:                             ;   in Loop: Header=BB4_3166 Depth=2
	v_mov_b32_e32 v40, 0
	s_mov_b32 s29, exec_lo
	v_cmpx_ne_u32_e32 0, v41
	s_cbranch_execz .LBB4_3561
; %bb.3556:                             ;   in Loop: Header=BB4_3166 Depth=2
	v_bfe_u32 v40, v41, 23, 8
	v_and_b32_e32 v42, 0x7fffff, v41
	v_sub_nc_u32_e32 v43, 0x70, v40
	v_cmp_gt_u32_e32 vcc_lo, 0x71, v40
	v_or_b32_e32 v44, 0x800000, v42
	v_cndmask_b32_e32 v43, 0, v43, vcc_lo
	v_cmp_eq_u32_e32 vcc_lo, 0, v40
	v_add_nc_u32_e32 v40, 0xffffff91, v40
	v_cndmask_b32_e64 v43, v43, 0x6f, vcc_lo
	v_cndmask_b32_e32 v42, v44, v42, vcc_lo
	v_cndmask_b32_e64 v40, v40, 0xffffff92, vcc_lo
	v_lshl_add_u32 v44, 0x200000, v43, -1
	v_lshrrev_b32_e32 v45, v43, v42
	v_lshlrev_b32_e64 v47, v43, 0x100000
	v_add_nc_u32_e32 v43, v43, v40
	v_and_b32_e32 v42, v44, v42
	v_bfe_u32 v46, v45, 21, 1
	v_cmp_eq_u32_e64 s12, v42, v47
	v_add_nc_u32_e32 v44, -1, v46
	v_cndmask_b32_e64 v42, 0, v44, s12
	v_lshrrev_b32_e32 v44, 23, v45
	s_mov_b32 s12, exec_lo
	v_add_nc_u32_e32 v42, v42, v45
	v_xor_b32_e32 v44, 1, v44
	v_and_b32_e32 v40, 0x1fffff, v42
	v_add_nc_u32_e32 v42, v40, v45
                                        ; implicit-def: $vgpr40
	v_cmpx_ne_u32_e64 v43, v44
	s_xor_b32 s12, exec_lo, s12
; %bb.3557:                             ;   in Loop: Header=BB4_3166 Depth=2
	v_cmp_lt_u32_e32 vcc_lo, 0xffffff, v42
	v_sub_nc_u32_e32 v40, v43, v44
	v_cndmask_b32_e64 v43, 0, 1, vcc_lo
	v_add_co_ci_u32_e64 v40, null, 0, v40, vcc_lo
	v_lshrrev_b32_e32 v42, v43, v42
; %bb.3558:                             ;   in Loop: Header=BB4_3166 Depth=2
	s_andn2_saveexec_b32 s12, s12
; %bb.3559:                             ;   in Loop: Header=BB4_3166 Depth=2
	v_bfe_u32 v40, v42, 23, 1
; %bb.3560:                             ;   in Loop: Header=BB4_3166 Depth=2
	s_or_b32 exec_lo, exec_lo, s12
	v_lshrrev_b32_e32 v42, 21, v42
	v_min_i32_e32 v43, 31, v40
	v_cmp_gt_i32_e32 vcc_lo, 32, v40
	v_and_b32_sdwa v41, v41, v101 dst_sel:DWORD dst_unused:UNUSED_PAD src0_sel:BYTE_3 src1_sel:DWORD
	v_lshlrev_b32_e32 v43, 2, v43
	v_cndmask_b32_e32 v42, 3, v42, vcc_lo
	v_and_b32_e32 v43, 0xfc, v43
	v_and_b32_e32 v44, 3, v42
	v_or_b32_e32 v40, v40, v42
	v_or3_b32 v41, v43, v41, v44
	v_cmp_ne_u32_e32 vcc_lo, 0, v40
	v_cndmask_b32_e32 v40, 0, v41, vcc_lo
.LBB4_3561:                             ;   in Loop: Header=BB4_3166 Depth=2
	s_or_b32 exec_lo, exec_lo, s29
.LBB4_3562:                             ;   in Loop: Header=BB4_3166 Depth=2
	s_or_b32 exec_lo, exec_lo, s28
	v_cmp_gt_i16_sdwa s28, v24, v100 src0_sel:BYTE_3 src1_sel:DWORD
	s_and_b32 vcc_lo, exec_lo, s27
	s_mov_b32 s12, -1
                                        ; implicit-def: $vgpr41
	s_cbranch_vccz .LBB4_3576
; %bb.3563:                             ;   in Loop: Header=BB4_3166 Depth=2
	s_mov_b32 s12, 0
	s_and_saveexec_b32 s29, s28
	s_xor_b32 s28, exec_lo, s29
	s_cbranch_execz .LBB4_4404
; %bb.3564:                             ;   in Loop: Header=BB4_3166 Depth=2
	v_cmp_eq_u16_sdwa s40, v24, v101 src0_sel:BYTE_3 src1_sel:DWORD
	s_mov_b32 s12, -1
	s_and_saveexec_b32 s29, s40
; %bb.3565:                             ;   in Loop: Header=BB4_3166 Depth=2
	s_xor_b32 s12, exec_lo, -1
; %bb.3566:                             ;   in Loop: Header=BB4_3166 Depth=2
	s_or_b32 exec_lo, exec_lo, s29
	s_and_b32 s12, s12, exec_lo
	s_or_saveexec_b32 s28, s28
	v_mov_b32_e32 v41, 0x7f800001
	s_xor_b32 exec_lo, exec_lo, s28
	s_cbranch_execnz .LBB4_4405
.LBB4_3567:                             ;   in Loop: Header=BB4_3166 Depth=2
	s_or_b32 exec_lo, exec_lo, s28
	s_and_saveexec_b32 s28, s12
	s_cbranch_execz .LBB4_3569
.LBB4_3568:                             ;   in Loop: Header=BB4_3166 Depth=2
	v_bfe_u32 v41, v24, 24, 2
	v_bfe_u32 v44, v24, 26, 5
	v_ffbh_u32_e32 v42, v41
	v_cmp_eq_u32_e32 vcc_lo, 0, v44
	v_min_u32_e32 v42, 32, v42
	v_subrev_nc_u32_e32 v43, 29, v42
	v_sub_nc_u32_e32 v42, 30, v42
	v_lshlrev_b32_sdwa v43, v43, v24 dst_sel:DWORD dst_unused:UNUSED_PAD src0_sel:DWORD src1_sel:BYTE_3
	v_cndmask_b32_e32 v42, v44, v42, vcc_lo
	v_and_b32_e32 v43, 3, v43
	v_lshl_add_u32 v42, v42, 23, 0x37800000
	v_cndmask_b32_e32 v41, v41, v43, vcc_lo
	v_and_b32_e32 v43, 0x80000000, v24
	v_lshlrev_b32_e32 v41, 21, v41
	v_or3_b32 v41, v43, v42, v41
.LBB4_3569:                             ;   in Loop: Header=BB4_3166 Depth=2
	s_or_b32 exec_lo, exec_lo, s28
	v_cmp_gt_i16_sdwa s28, v20, v100 src0_sel:BYTE_3 src1_sel:DWORD
	s_mov_b32 s12, 0
	s_and_saveexec_b32 s29, s28
	s_xor_b32 s28, exec_lo, s29
	s_cbranch_execz .LBB4_4406
; %bb.3570:                             ;   in Loop: Header=BB4_3166 Depth=2
	v_cmp_eq_u16_sdwa s40, v20, v101 src0_sel:BYTE_3 src1_sel:DWORD
	s_mov_b32 s12, -1
	s_and_saveexec_b32 s29, s40
; %bb.3571:                             ;   in Loop: Header=BB4_3166 Depth=2
	s_xor_b32 s12, exec_lo, -1
; %bb.3572:                             ;   in Loop: Header=BB4_3166 Depth=2
	s_or_b32 exec_lo, exec_lo, s29
	s_and_b32 s12, s12, exec_lo
	s_or_saveexec_b32 s28, s28
	v_mov_b32_e32 v42, 0x7f800001
	s_xor_b32 exec_lo, exec_lo, s28
	s_cbranch_execnz .LBB4_4407
.LBB4_3573:                             ;   in Loop: Header=BB4_3166 Depth=2
	s_or_b32 exec_lo, exec_lo, s28
	s_and_saveexec_b32 s28, s12
	s_cbranch_execz .LBB4_3575
.LBB4_3574:                             ;   in Loop: Header=BB4_3166 Depth=2
	v_bfe_u32 v42, v20, 24, 2
	v_bfe_u32 v45, v20, 26, 5
	v_ffbh_u32_e32 v43, v42
	v_cmp_eq_u32_e32 vcc_lo, 0, v45
	v_min_u32_e32 v43, 32, v43
	v_subrev_nc_u32_e32 v44, 29, v43
	v_sub_nc_u32_e32 v43, 30, v43
	v_lshlrev_b32_sdwa v44, v44, v20 dst_sel:DWORD dst_unused:UNUSED_PAD src0_sel:DWORD src1_sel:BYTE_3
	v_cndmask_b32_e32 v43, v45, v43, vcc_lo
	v_and_b32_e32 v44, 3, v44
	v_lshl_add_u32 v43, v43, 23, 0x37800000
	v_cndmask_b32_e32 v42, v42, v44, vcc_lo
	v_and_b32_e32 v44, 0x80000000, v20
	v_lshlrev_b32_e32 v42, 21, v42
	v_or3_b32 v42, v44, v43, v42
.LBB4_3575:                             ;   in Loop: Header=BB4_3166 Depth=2
	s_or_b32 exec_lo, exec_lo, s28
	v_max_f32_e32 v42, v42, v42
	v_max_f32_e32 v41, v41, v41
	s_mov_b32 s12, 0
	v_max_f32_e32 v41, v41, v42
.LBB4_3576:                             ;   in Loop: Header=BB4_3166 Depth=2
	s_and_b32 vcc_lo, exec_lo, s12
	s_cbranch_vccz .LBB4_3590
; %bb.3577:                             ;   in Loop: Header=BB4_3166 Depth=2
	v_cmp_gt_i16_sdwa s28, v24, v100 src0_sel:BYTE_3 src1_sel:DWORD
	s_mov_b32 s12, 0
	s_and_saveexec_b32 s29, s28
	s_xor_b32 s28, exec_lo, s29
	s_cbranch_execz .LBB4_4408
; %bb.3578:                             ;   in Loop: Header=BB4_3166 Depth=2
	v_cmp_eq_u16_sdwa s40, v24, v101 src0_sel:BYTE_3 src1_sel:DWORD
	s_mov_b32 s12, -1
	s_and_saveexec_b32 s29, s40
; %bb.3579:                             ;   in Loop: Header=BB4_3166 Depth=2
	s_xor_b32 s12, exec_lo, -1
; %bb.3580:                             ;   in Loop: Header=BB4_3166 Depth=2
	s_or_b32 exec_lo, exec_lo, s29
	s_and_b32 s12, s12, exec_lo
	s_or_saveexec_b32 s28, s28
	v_mov_b32_e32 v41, 0x7f800001
	s_xor_b32 exec_lo, exec_lo, s28
	s_cbranch_execnz .LBB4_4409
.LBB4_3581:                             ;   in Loop: Header=BB4_3166 Depth=2
	s_or_b32 exec_lo, exec_lo, s28
	s_and_saveexec_b32 s28, s12
	s_cbranch_execz .LBB4_3583
.LBB4_3582:                             ;   in Loop: Header=BB4_3166 Depth=2
	v_bfe_u32 v41, v24, 24, 2
	v_bfe_u32 v44, v24, 26, 5
	v_ffbh_u32_e32 v42, v41
	v_cmp_eq_u32_e32 vcc_lo, 0, v44
	v_min_u32_e32 v42, 32, v42
	v_subrev_nc_u32_e32 v43, 29, v42
	v_sub_nc_u32_e32 v42, 30, v42
	v_lshlrev_b32_sdwa v43, v43, v24 dst_sel:DWORD dst_unused:UNUSED_PAD src0_sel:DWORD src1_sel:BYTE_3
	v_cndmask_b32_e32 v42, v44, v42, vcc_lo
	v_and_b32_e32 v24, 0x80000000, v24
	v_and_b32_e32 v43, 3, v43
	v_lshl_add_u32 v42, v42, 23, 0x37800000
	v_cndmask_b32_e32 v41, v41, v43, vcc_lo
	v_lshlrev_b32_e32 v41, 21, v41
	v_or3_b32 v41, v24, v42, v41
.LBB4_3583:                             ;   in Loop: Header=BB4_3166 Depth=2
	s_or_b32 exec_lo, exec_lo, s28
	v_cmp_gt_i16_sdwa s28, v20, v100 src0_sel:BYTE_3 src1_sel:DWORD
	s_mov_b32 s12, 0
	s_and_saveexec_b32 s29, s28
	s_xor_b32 s28, exec_lo, s29
	s_cbranch_execz .LBB4_4410
; %bb.3584:                             ;   in Loop: Header=BB4_3166 Depth=2
	v_cmp_eq_u16_sdwa s40, v20, v101 src0_sel:BYTE_3 src1_sel:DWORD
	s_mov_b32 s12, -1
	s_and_saveexec_b32 s29, s40
; %bb.3585:                             ;   in Loop: Header=BB4_3166 Depth=2
	s_xor_b32 s12, exec_lo, -1
; %bb.3586:                             ;   in Loop: Header=BB4_3166 Depth=2
	s_or_b32 exec_lo, exec_lo, s29
	s_and_b32 s12, s12, exec_lo
	s_or_saveexec_b32 s28, s28
	v_mov_b32_e32 v24, 0x7f800001
	s_xor_b32 exec_lo, exec_lo, s28
	s_cbranch_execnz .LBB4_4411
.LBB4_3587:                             ;   in Loop: Header=BB4_3166 Depth=2
	s_or_b32 exec_lo, exec_lo, s28
	s_and_saveexec_b32 s28, s12
	s_cbranch_execz .LBB4_3589
.LBB4_3588:                             ;   in Loop: Header=BB4_3166 Depth=2
	v_bfe_u32 v24, v20, 24, 2
	v_bfe_u32 v44, v20, 26, 5
	v_ffbh_u32_e32 v42, v24
	v_cmp_eq_u32_e32 vcc_lo, 0, v44
	v_min_u32_e32 v42, 32, v42
	v_subrev_nc_u32_e32 v43, 29, v42
	v_sub_nc_u32_e32 v42, 30, v42
	v_lshlrev_b32_sdwa v43, v43, v20 dst_sel:DWORD dst_unused:UNUSED_PAD src0_sel:DWORD src1_sel:BYTE_3
	v_cndmask_b32_e32 v42, v44, v42, vcc_lo
	v_and_b32_e32 v20, 0x80000000, v20
	v_and_b32_e32 v43, 3, v43
	v_lshl_add_u32 v42, v42, 23, 0x37800000
	v_cndmask_b32_e32 v24, v24, v43, vcc_lo
	v_lshlrev_b32_e32 v24, 21, v24
	v_or3_b32 v24, v20, v42, v24
.LBB4_3589:                             ;   in Loop: Header=BB4_3166 Depth=2
	s_or_b32 exec_lo, exec_lo, s28
	v_max_f32_e32 v20, v24, v24
	v_max_f32_e32 v24, v41, v41
	v_min_f32_e32 v41, v24, v20
.LBB4_3590:                             ;   in Loop: Header=BB4_3166 Depth=2
	v_and_b32_e32 v20, 0x7f800000, v41
	v_cmp_ne_u32_e32 vcc_lo, 0x7f800000, v20
	v_mov_b32_e32 v20, 0x8000
	s_and_saveexec_b32 s28, vcc_lo
	s_cbranch_execz .LBB4_3598
; %bb.3591:                             ;   in Loop: Header=BB4_3166 Depth=2
	v_mov_b32_e32 v20, 0
	s_mov_b32 s29, exec_lo
	v_cmpx_ne_u32_e32 0, v41
	s_cbranch_execz .LBB4_3597
; %bb.3592:                             ;   in Loop: Header=BB4_3166 Depth=2
	v_bfe_u32 v20, v41, 23, 8
	v_and_b32_e32 v24, 0x7fffff, v41
	v_sub_nc_u32_e32 v42, 0x70, v20
	v_cmp_gt_u32_e32 vcc_lo, 0x71, v20
	v_or_b32_e32 v43, 0x800000, v24
	v_cndmask_b32_e32 v42, 0, v42, vcc_lo
	v_cmp_eq_u32_e32 vcc_lo, 0, v20
	v_add_nc_u32_e32 v20, 0xffffff91, v20
	v_cndmask_b32_e64 v42, v42, 0x6f, vcc_lo
	v_cndmask_b32_e32 v24, v43, v24, vcc_lo
	v_cndmask_b32_e64 v20, v20, 0xffffff92, vcc_lo
	v_lshl_add_u32 v43, 0x200000, v42, -1
	v_lshrrev_b32_e32 v44, v42, v24
	v_lshlrev_b32_e64 v46, v42, 0x100000
	v_add_nc_u32_e32 v42, v42, v20
	v_and_b32_e32 v24, v43, v24
	v_bfe_u32 v45, v44, 21, 1
	v_cmp_eq_u32_e64 s12, v24, v46
	v_add_nc_u32_e32 v43, -1, v45
	v_cndmask_b32_e64 v24, 0, v43, s12
	v_lshrrev_b32_e32 v43, 23, v44
	s_mov_b32 s12, exec_lo
	v_add_nc_u32_e32 v24, v24, v44
	v_xor_b32_e32 v43, 1, v43
	v_and_b32_e32 v20, 0x1fffff, v24
	v_add_nc_u32_e32 v24, v20, v44
                                        ; implicit-def: $vgpr20
	v_cmpx_ne_u32_e64 v42, v43
	s_xor_b32 s12, exec_lo, s12
; %bb.3593:                             ;   in Loop: Header=BB4_3166 Depth=2
	v_cmp_lt_u32_e32 vcc_lo, 0xffffff, v24
	v_sub_nc_u32_e32 v20, v42, v43
	v_cndmask_b32_e64 v42, 0, 1, vcc_lo
	v_add_co_ci_u32_e64 v20, null, 0, v20, vcc_lo
	v_lshrrev_b32_e32 v24, v42, v24
; %bb.3594:                             ;   in Loop: Header=BB4_3166 Depth=2
	s_andn2_saveexec_b32 s12, s12
; %bb.3595:                             ;   in Loop: Header=BB4_3166 Depth=2
	v_bfe_u32 v20, v24, 23, 1
; %bb.3596:                             ;   in Loop: Header=BB4_3166 Depth=2
	s_or_b32 exec_lo, exec_lo, s12
	v_lshrrev_b32_e32 v24, 21, v24
	v_min_i32_e32 v42, 31, v20
	v_cmp_gt_i32_e32 vcc_lo, 32, v20
	v_and_b32_sdwa v41, v41, v101 dst_sel:DWORD dst_unused:UNUSED_PAD src0_sel:BYTE_3 src1_sel:DWORD
	v_lshlrev_b32_e32 v42, 2, v42
	v_cndmask_b32_e32 v24, 3, v24, vcc_lo
	v_and_b32_e32 v42, 0xfc, v42
	v_and_b32_e32 v43, 3, v24
	v_or_b32_e32 v20, v20, v24
	v_or3_b32 v41, v41, v42, v43
	v_cmp_ne_u32_e32 vcc_lo, 0, v20
	v_lshlrev_b32_e32 v24, 8, v41
	v_cndmask_b32_e32 v20, 0, v24, vcc_lo
.LBB4_3597:                             ;   in Loop: Header=BB4_3166 Depth=2
	s_or_b32 exec_lo, exec_lo, s29
.LBB4_3598:                             ;   in Loop: Header=BB4_3166 Depth=2
	s_or_b32 exec_lo, exec_lo, s28
	v_cmp_gt_i16_sdwa s28, v25, v100 src0_sel:BYTE_0 src1_sel:DWORD
	s_and_b32 vcc_lo, exec_lo, s27
	s_mov_b32 s12, -1
                                        ; implicit-def: $vgpr41
	s_cbranch_vccz .LBB4_3612
; %bb.3599:                             ;   in Loop: Header=BB4_3166 Depth=2
	s_mov_b32 s12, 0
	s_and_saveexec_b32 s29, s28
	s_xor_b32 s28, exec_lo, s29
	s_cbranch_execz .LBB4_4412
; %bb.3600:                             ;   in Loop: Header=BB4_3166 Depth=2
	v_cmp_eq_u16_sdwa s40, v25, v101 src0_sel:BYTE_0 src1_sel:DWORD
	s_mov_b32 s12, -1
	s_and_saveexec_b32 s29, s40
; %bb.3601:                             ;   in Loop: Header=BB4_3166 Depth=2
	s_xor_b32 s12, exec_lo, -1
; %bb.3602:                             ;   in Loop: Header=BB4_3166 Depth=2
	s_or_b32 exec_lo, exec_lo, s29
	s_and_b32 s12, s12, exec_lo
	s_or_saveexec_b32 s28, s28
	v_mov_b32_e32 v24, 0x7f800001
	s_xor_b32 exec_lo, exec_lo, s28
	s_cbranch_execnz .LBB4_4413
.LBB4_3603:                             ;   in Loop: Header=BB4_3166 Depth=2
	s_or_b32 exec_lo, exec_lo, s28
	s_and_saveexec_b32 s28, s12
	s_cbranch_execz .LBB4_3605
.LBB4_3604:                             ;   in Loop: Header=BB4_3166 Depth=2
	v_and_b32_e32 v24, 3, v25
	v_bfe_u32 v43, v25, 2, 5
	v_lshlrev_b32_e32 v44, 24, v25
	v_ffbh_u32_e32 v41, v24
	v_cmp_eq_u32_e32 vcc_lo, 0, v43
	v_min_u32_e32 v41, 32, v41
	v_subrev_nc_u32_e32 v42, 29, v41
	v_sub_nc_u32_e32 v41, 30, v41
	v_lshlrev_b32_e32 v42, v42, v25
	v_cndmask_b32_e32 v41, v43, v41, vcc_lo
	v_and_b32_e32 v42, 3, v42
	v_lshl_add_u32 v41, v41, 23, 0x37800000
	v_cndmask_b32_e32 v24, v24, v42, vcc_lo
	v_and_b32_e32 v42, 0x80000000, v44
	v_lshlrev_b32_e32 v24, 21, v24
	v_or3_b32 v24, v42, v41, v24
.LBB4_3605:                             ;   in Loop: Header=BB4_3166 Depth=2
	s_or_b32 exec_lo, exec_lo, s28
	v_cmp_gt_i16_sdwa s28, v21, v100 src0_sel:BYTE_0 src1_sel:DWORD
	s_mov_b32 s12, 0
	s_and_saveexec_b32 s29, s28
	s_xor_b32 s28, exec_lo, s29
	s_cbranch_execz .LBB4_4414
; %bb.3606:                             ;   in Loop: Header=BB4_3166 Depth=2
	v_cmp_eq_u16_sdwa s40, v21, v101 src0_sel:BYTE_0 src1_sel:DWORD
	s_mov_b32 s12, -1
	s_and_saveexec_b32 s29, s40
; %bb.3607:                             ;   in Loop: Header=BB4_3166 Depth=2
	s_xor_b32 s12, exec_lo, -1
; %bb.3608:                             ;   in Loop: Header=BB4_3166 Depth=2
	s_or_b32 exec_lo, exec_lo, s29
	s_and_b32 s12, s12, exec_lo
	s_or_saveexec_b32 s28, s28
	v_mov_b32_e32 v41, 0x7f800001
	s_xor_b32 exec_lo, exec_lo, s28
	s_cbranch_execnz .LBB4_4415
.LBB4_3609:                             ;   in Loop: Header=BB4_3166 Depth=2
	s_or_b32 exec_lo, exec_lo, s28
	s_and_saveexec_b32 s28, s12
	s_cbranch_execz .LBB4_3611
.LBB4_3610:                             ;   in Loop: Header=BB4_3166 Depth=2
	v_and_b32_e32 v41, 3, v21
	v_bfe_u32 v44, v21, 2, 5
	v_lshlrev_b32_e32 v45, 24, v21
	v_ffbh_u32_e32 v42, v41
	v_cmp_eq_u32_e32 vcc_lo, 0, v44
	v_min_u32_e32 v42, 32, v42
	v_subrev_nc_u32_e32 v43, 29, v42
	v_sub_nc_u32_e32 v42, 30, v42
	v_lshlrev_b32_e32 v43, v43, v21
	v_cndmask_b32_e32 v42, v44, v42, vcc_lo
	v_and_b32_e32 v43, 3, v43
	v_lshl_add_u32 v42, v42, 23, 0x37800000
	v_cndmask_b32_e32 v41, v41, v43, vcc_lo
	v_and_b32_e32 v43, 0x80000000, v45
	v_lshlrev_b32_e32 v41, 21, v41
	v_or3_b32 v41, v43, v42, v41
.LBB4_3611:                             ;   in Loop: Header=BB4_3166 Depth=2
	s_or_b32 exec_lo, exec_lo, s28
	v_max_f32_e32 v41, v41, v41
	v_max_f32_e32 v24, v24, v24
	s_mov_b32 s12, 0
	v_max_f32_e32 v41, v24, v41
.LBB4_3612:                             ;   in Loop: Header=BB4_3166 Depth=2
	s_and_b32 vcc_lo, exec_lo, s12
	s_cbranch_vccz .LBB4_3626
; %bb.3613:                             ;   in Loop: Header=BB4_3166 Depth=2
	v_cmp_gt_i16_sdwa s28, v25, v100 src0_sel:BYTE_0 src1_sel:DWORD
	s_mov_b32 s12, 0
	s_and_saveexec_b32 s29, s28
	s_xor_b32 s28, exec_lo, s29
	s_cbranch_execz .LBB4_4416
; %bb.3614:                             ;   in Loop: Header=BB4_3166 Depth=2
	v_cmp_eq_u16_sdwa s40, v25, v101 src0_sel:BYTE_0 src1_sel:DWORD
	s_mov_b32 s12, -1
	s_and_saveexec_b32 s29, s40
; %bb.3615:                             ;   in Loop: Header=BB4_3166 Depth=2
	s_xor_b32 s12, exec_lo, -1
; %bb.3616:                             ;   in Loop: Header=BB4_3166 Depth=2
	s_or_b32 exec_lo, exec_lo, s29
	s_and_b32 s12, s12, exec_lo
	s_or_saveexec_b32 s28, s28
	v_mov_b32_e32 v24, 0x7f800001
	s_xor_b32 exec_lo, exec_lo, s28
	s_cbranch_execnz .LBB4_4417
.LBB4_3617:                             ;   in Loop: Header=BB4_3166 Depth=2
	s_or_b32 exec_lo, exec_lo, s28
	s_and_saveexec_b32 s28, s12
	s_cbranch_execz .LBB4_3619
.LBB4_3618:                             ;   in Loop: Header=BB4_3166 Depth=2
	v_and_b32_e32 v24, 3, v25
	v_bfe_u32 v43, v25, 2, 5
	v_lshlrev_b32_e32 v44, 24, v25
	v_ffbh_u32_e32 v41, v24
	v_cmp_eq_u32_e32 vcc_lo, 0, v43
	v_min_u32_e32 v41, 32, v41
	v_subrev_nc_u32_e32 v42, 29, v41
	v_sub_nc_u32_e32 v41, 30, v41
	v_lshlrev_b32_e32 v42, v42, v25
	v_cndmask_b32_e32 v41, v43, v41, vcc_lo
	v_and_b32_e32 v42, 3, v42
	v_lshl_add_u32 v41, v41, 23, 0x37800000
	v_cndmask_b32_e32 v24, v24, v42, vcc_lo
	v_and_b32_e32 v42, 0x80000000, v44
	v_lshlrev_b32_e32 v24, 21, v24
	v_or3_b32 v24, v42, v41, v24
.LBB4_3619:                             ;   in Loop: Header=BB4_3166 Depth=2
	s_or_b32 exec_lo, exec_lo, s28
	v_cmp_gt_i16_sdwa s28, v21, v100 src0_sel:BYTE_0 src1_sel:DWORD
	s_mov_b32 s12, 0
	s_and_saveexec_b32 s29, s28
	s_xor_b32 s28, exec_lo, s29
	s_cbranch_execz .LBB4_4418
; %bb.3620:                             ;   in Loop: Header=BB4_3166 Depth=2
	v_cmp_eq_u16_sdwa s40, v21, v101 src0_sel:BYTE_0 src1_sel:DWORD
	s_mov_b32 s12, -1
	s_and_saveexec_b32 s29, s40
; %bb.3621:                             ;   in Loop: Header=BB4_3166 Depth=2
	s_xor_b32 s12, exec_lo, -1
; %bb.3622:                             ;   in Loop: Header=BB4_3166 Depth=2
	s_or_b32 exec_lo, exec_lo, s29
	s_and_b32 s12, s12, exec_lo
	s_or_saveexec_b32 s28, s28
	v_mov_b32_e32 v41, 0x7f800001
	s_xor_b32 exec_lo, exec_lo, s28
	s_cbranch_execnz .LBB4_4419
.LBB4_3623:                             ;   in Loop: Header=BB4_3166 Depth=2
	s_or_b32 exec_lo, exec_lo, s28
	s_and_saveexec_b32 s28, s12
	s_cbranch_execz .LBB4_3625
.LBB4_3624:                             ;   in Loop: Header=BB4_3166 Depth=2
	v_and_b32_e32 v41, 3, v21
	v_bfe_u32 v44, v21, 2, 5
	v_lshlrev_b32_e32 v45, 24, v21
	v_ffbh_u32_e32 v42, v41
	v_cmp_eq_u32_e32 vcc_lo, 0, v44
	v_min_u32_e32 v42, 32, v42
	v_subrev_nc_u32_e32 v43, 29, v42
	v_sub_nc_u32_e32 v42, 30, v42
	v_lshlrev_b32_e32 v43, v43, v21
	v_cndmask_b32_e32 v42, v44, v42, vcc_lo
	v_and_b32_e32 v43, 3, v43
	v_lshl_add_u32 v42, v42, 23, 0x37800000
	v_cndmask_b32_e32 v41, v41, v43, vcc_lo
	v_and_b32_e32 v43, 0x80000000, v45
	v_lshlrev_b32_e32 v41, 21, v41
	v_or3_b32 v41, v43, v42, v41
.LBB4_3625:                             ;   in Loop: Header=BB4_3166 Depth=2
	s_or_b32 exec_lo, exec_lo, s28
	v_max_f32_e32 v41, v41, v41
	v_max_f32_e32 v24, v24, v24
	v_min_f32_e32 v41, v24, v41
.LBB4_3626:                             ;   in Loop: Header=BB4_3166 Depth=2
	v_and_b32_e32 v24, 0x7f800000, v41
	v_cmp_ne_u32_e32 vcc_lo, 0x7f800000, v24
	v_mov_b32_e32 v24, 0x80
	s_and_saveexec_b32 s28, vcc_lo
	s_cbranch_execz .LBB4_3634
; %bb.3627:                             ;   in Loop: Header=BB4_3166 Depth=2
	v_mov_b32_e32 v24, 0
	s_mov_b32 s29, exec_lo
	v_cmpx_ne_u32_e32 0, v41
	s_cbranch_execz .LBB4_3633
; %bb.3628:                             ;   in Loop: Header=BB4_3166 Depth=2
	v_bfe_u32 v24, v41, 23, 8
	v_and_b32_e32 v42, 0x7fffff, v41
	v_sub_nc_u32_e32 v43, 0x70, v24
	v_cmp_gt_u32_e32 vcc_lo, 0x71, v24
	v_or_b32_e32 v44, 0x800000, v42
	v_cndmask_b32_e32 v43, 0, v43, vcc_lo
	v_cmp_eq_u32_e32 vcc_lo, 0, v24
	v_add_nc_u32_e32 v24, 0xffffff91, v24
	v_cndmask_b32_e64 v43, v43, 0x6f, vcc_lo
	v_cndmask_b32_e32 v42, v44, v42, vcc_lo
	v_cndmask_b32_e64 v24, v24, 0xffffff92, vcc_lo
	v_lshl_add_u32 v44, 0x200000, v43, -1
	v_lshrrev_b32_e32 v45, v43, v42
	v_lshlrev_b32_e64 v47, v43, 0x100000
	v_add_nc_u32_e32 v43, v43, v24
	v_and_b32_e32 v42, v44, v42
	v_bfe_u32 v46, v45, 21, 1
	v_cmp_eq_u32_e64 s12, v42, v47
	v_add_nc_u32_e32 v44, -1, v46
	v_cndmask_b32_e64 v42, 0, v44, s12
	v_lshrrev_b32_e32 v44, 23, v45
	s_mov_b32 s12, exec_lo
	v_add_nc_u32_e32 v42, v42, v45
	v_xor_b32_e32 v44, 1, v44
	v_and_b32_e32 v24, 0x1fffff, v42
	v_add_nc_u32_e32 v42, v24, v45
                                        ; implicit-def: $vgpr24
	v_cmpx_ne_u32_e64 v43, v44
	s_xor_b32 s12, exec_lo, s12
; %bb.3629:                             ;   in Loop: Header=BB4_3166 Depth=2
	v_cmp_lt_u32_e32 vcc_lo, 0xffffff, v42
	v_sub_nc_u32_e32 v24, v43, v44
	v_cndmask_b32_e64 v43, 0, 1, vcc_lo
	v_add_co_ci_u32_e64 v24, null, 0, v24, vcc_lo
	v_lshrrev_b32_e32 v42, v43, v42
; %bb.3630:                             ;   in Loop: Header=BB4_3166 Depth=2
	s_andn2_saveexec_b32 s12, s12
; %bb.3631:                             ;   in Loop: Header=BB4_3166 Depth=2
	v_bfe_u32 v24, v42, 23, 1
; %bb.3632:                             ;   in Loop: Header=BB4_3166 Depth=2
	s_or_b32 exec_lo, exec_lo, s12
	v_lshrrev_b32_e32 v42, 21, v42
	v_min_i32_e32 v43, 31, v24
	v_cmp_gt_i32_e32 vcc_lo, 32, v24
	v_and_b32_sdwa v41, v41, v101 dst_sel:DWORD dst_unused:UNUSED_PAD src0_sel:BYTE_3 src1_sel:DWORD
	v_lshlrev_b32_e32 v43, 2, v43
	v_cndmask_b32_e32 v42, 3, v42, vcc_lo
	v_and_b32_e32 v43, 0xfc, v43
	v_and_b32_e32 v44, 3, v42
	v_or_b32_e32 v24, v24, v42
	v_or3_b32 v41, v43, v41, v44
	v_cmp_ne_u32_e32 vcc_lo, 0, v24
	v_cndmask_b32_e32 v24, 0, v41, vcc_lo
.LBB4_3633:                             ;   in Loop: Header=BB4_3166 Depth=2
	s_or_b32 exec_lo, exec_lo, s29
.LBB4_3634:                             ;   in Loop: Header=BB4_3166 Depth=2
	s_or_b32 exec_lo, exec_lo, s28
	v_cmp_gt_i16_sdwa s28, v25, v100 src0_sel:BYTE_1 src1_sel:DWORD
	s_and_b32 vcc_lo, exec_lo, s27
	s_mov_b32 s12, -1
                                        ; implicit-def: $vgpr42
	s_cbranch_vccz .LBB4_3648
; %bb.3635:                             ;   in Loop: Header=BB4_3166 Depth=2
	s_mov_b32 s12, 0
	s_and_saveexec_b32 s29, s28
	s_xor_b32 s28, exec_lo, s29
	s_cbranch_execz .LBB4_4420
; %bb.3636:                             ;   in Loop: Header=BB4_3166 Depth=2
	v_cmp_eq_u16_sdwa s40, v25, v101 src0_sel:BYTE_1 src1_sel:DWORD
	s_mov_b32 s12, -1
	s_and_saveexec_b32 s29, s40
; %bb.3637:                             ;   in Loop: Header=BB4_3166 Depth=2
	s_xor_b32 s12, exec_lo, -1
; %bb.3638:                             ;   in Loop: Header=BB4_3166 Depth=2
	s_or_b32 exec_lo, exec_lo, s29
	s_and_b32 s12, s12, exec_lo
	s_or_saveexec_b32 s28, s28
	v_mov_b32_e32 v41, 0x7f800001
	s_xor_b32 exec_lo, exec_lo, s28
	s_cbranch_execnz .LBB4_4421
.LBB4_3639:                             ;   in Loop: Header=BB4_3166 Depth=2
	s_or_b32 exec_lo, exec_lo, s28
	s_and_saveexec_b32 s28, s12
	s_cbranch_execz .LBB4_3641
.LBB4_3640:                             ;   in Loop: Header=BB4_3166 Depth=2
	v_and_b32_sdwa v41, v102, v25 dst_sel:DWORD dst_unused:UNUSED_PAD src0_sel:DWORD src1_sel:BYTE_1
	v_and_b32_e32 v42, 3, v41
	v_bfe_u32 v45, v41, 2, 5
	v_ffbh_u32_e32 v43, v42
	v_cmp_eq_u32_e32 vcc_lo, 0, v45
	v_min_u32_e32 v43, 32, v43
	v_subrev_nc_u32_e32 v44, 29, v43
	v_sub_nc_u32_e32 v43, 30, v43
	v_lshlrev_b32_e32 v41, v44, v41
	v_lshlrev_b32_e32 v44, 16, v25
	v_cndmask_b32_e32 v43, v45, v43, vcc_lo
	v_and_b32_e32 v41, 3, v41
	v_lshl_add_u32 v43, v43, 23, 0x37800000
	v_cndmask_b32_e32 v41, v42, v41, vcc_lo
	v_and_b32_e32 v42, 0x80000000, v44
	v_lshlrev_b32_e32 v41, 21, v41
	v_or3_b32 v41, v42, v43, v41
.LBB4_3641:                             ;   in Loop: Header=BB4_3166 Depth=2
	s_or_b32 exec_lo, exec_lo, s28
	v_cmp_gt_i16_sdwa s28, v21, v100 src0_sel:BYTE_1 src1_sel:DWORD
	s_mov_b32 s12, 0
	s_and_saveexec_b32 s29, s28
	s_xor_b32 s28, exec_lo, s29
	s_cbranch_execz .LBB4_4422
; %bb.3642:                             ;   in Loop: Header=BB4_3166 Depth=2
	v_cmp_eq_u16_sdwa s40, v21, v101 src0_sel:BYTE_1 src1_sel:DWORD
	s_mov_b32 s12, -1
	s_and_saveexec_b32 s29, s40
; %bb.3643:                             ;   in Loop: Header=BB4_3166 Depth=2
	s_xor_b32 s12, exec_lo, -1
; %bb.3644:                             ;   in Loop: Header=BB4_3166 Depth=2
	s_or_b32 exec_lo, exec_lo, s29
	s_and_b32 s12, s12, exec_lo
	s_or_saveexec_b32 s28, s28
	v_mov_b32_e32 v42, 0x7f800001
	s_xor_b32 exec_lo, exec_lo, s28
	s_cbranch_execnz .LBB4_4423
.LBB4_3645:                             ;   in Loop: Header=BB4_3166 Depth=2
	s_or_b32 exec_lo, exec_lo, s28
	s_and_saveexec_b32 s28, s12
	s_cbranch_execz .LBB4_3647
.LBB4_3646:                             ;   in Loop: Header=BB4_3166 Depth=2
	v_and_b32_sdwa v42, v102, v21 dst_sel:DWORD dst_unused:UNUSED_PAD src0_sel:DWORD src1_sel:BYTE_1
	v_and_b32_e32 v43, 3, v42
	v_bfe_u32 v46, v42, 2, 5
	v_ffbh_u32_e32 v44, v43
	v_cmp_eq_u32_e32 vcc_lo, 0, v46
	v_min_u32_e32 v44, 32, v44
	v_subrev_nc_u32_e32 v45, 29, v44
	v_sub_nc_u32_e32 v44, 30, v44
	v_lshlrev_b32_e32 v42, v45, v42
	v_lshlrev_b32_e32 v45, 16, v21
	v_cndmask_b32_e32 v44, v46, v44, vcc_lo
	v_and_b32_e32 v42, 3, v42
	v_lshl_add_u32 v44, v44, 23, 0x37800000
	v_cndmask_b32_e32 v42, v43, v42, vcc_lo
	v_and_b32_e32 v43, 0x80000000, v45
	v_lshlrev_b32_e32 v42, 21, v42
	v_or3_b32 v42, v43, v44, v42
.LBB4_3647:                             ;   in Loop: Header=BB4_3166 Depth=2
	s_or_b32 exec_lo, exec_lo, s28
	v_max_f32_e32 v42, v42, v42
	v_max_f32_e32 v41, v41, v41
	s_mov_b32 s12, 0
	v_max_f32_e32 v42, v41, v42
.LBB4_3648:                             ;   in Loop: Header=BB4_3166 Depth=2
	s_and_b32 vcc_lo, exec_lo, s12
	s_cbranch_vccz .LBB4_3662
; %bb.3649:                             ;   in Loop: Header=BB4_3166 Depth=2
	v_cmp_gt_i16_sdwa s28, v25, v100 src0_sel:BYTE_1 src1_sel:DWORD
	s_mov_b32 s12, 0
	s_and_saveexec_b32 s29, s28
	s_xor_b32 s28, exec_lo, s29
	s_cbranch_execz .LBB4_4424
; %bb.3650:                             ;   in Loop: Header=BB4_3166 Depth=2
	v_cmp_eq_u16_sdwa s40, v25, v101 src0_sel:BYTE_1 src1_sel:DWORD
	s_mov_b32 s12, -1
	s_and_saveexec_b32 s29, s40
; %bb.3651:                             ;   in Loop: Header=BB4_3166 Depth=2
	s_xor_b32 s12, exec_lo, -1
; %bb.3652:                             ;   in Loop: Header=BB4_3166 Depth=2
	s_or_b32 exec_lo, exec_lo, s29
	s_and_b32 s12, s12, exec_lo
	s_or_saveexec_b32 s28, s28
	v_mov_b32_e32 v41, 0x7f800001
	s_xor_b32 exec_lo, exec_lo, s28
	s_cbranch_execnz .LBB4_4425
.LBB4_3653:                             ;   in Loop: Header=BB4_3166 Depth=2
	s_or_b32 exec_lo, exec_lo, s28
	s_and_saveexec_b32 s28, s12
	s_cbranch_execz .LBB4_3655
.LBB4_3654:                             ;   in Loop: Header=BB4_3166 Depth=2
	v_and_b32_sdwa v41, v102, v25 dst_sel:DWORD dst_unused:UNUSED_PAD src0_sel:DWORD src1_sel:BYTE_1
	v_and_b32_e32 v42, 3, v41
	v_bfe_u32 v45, v41, 2, 5
	v_ffbh_u32_e32 v43, v42
	v_cmp_eq_u32_e32 vcc_lo, 0, v45
	v_min_u32_e32 v43, 32, v43
	v_subrev_nc_u32_e32 v44, 29, v43
	v_sub_nc_u32_e32 v43, 30, v43
	v_lshlrev_b32_e32 v41, v44, v41
	v_lshlrev_b32_e32 v44, 16, v25
	v_cndmask_b32_e32 v43, v45, v43, vcc_lo
	v_and_b32_e32 v41, 3, v41
	v_lshl_add_u32 v43, v43, 23, 0x37800000
	v_cndmask_b32_e32 v41, v42, v41, vcc_lo
	v_and_b32_e32 v42, 0x80000000, v44
	v_lshlrev_b32_e32 v41, 21, v41
	v_or3_b32 v41, v42, v43, v41
.LBB4_3655:                             ;   in Loop: Header=BB4_3166 Depth=2
	s_or_b32 exec_lo, exec_lo, s28
	v_cmp_gt_i16_sdwa s28, v21, v100 src0_sel:BYTE_1 src1_sel:DWORD
	s_mov_b32 s12, 0
	s_and_saveexec_b32 s29, s28
	s_xor_b32 s28, exec_lo, s29
	s_cbranch_execz .LBB4_4426
; %bb.3656:                             ;   in Loop: Header=BB4_3166 Depth=2
	v_cmp_eq_u16_sdwa s40, v21, v101 src0_sel:BYTE_1 src1_sel:DWORD
	s_mov_b32 s12, -1
	s_and_saveexec_b32 s29, s40
; %bb.3657:                             ;   in Loop: Header=BB4_3166 Depth=2
	s_xor_b32 s12, exec_lo, -1
; %bb.3658:                             ;   in Loop: Header=BB4_3166 Depth=2
	s_or_b32 exec_lo, exec_lo, s29
	s_and_b32 s12, s12, exec_lo
	s_or_saveexec_b32 s28, s28
	v_mov_b32_e32 v42, 0x7f800001
	s_xor_b32 exec_lo, exec_lo, s28
	s_cbranch_execnz .LBB4_4427
.LBB4_3659:                             ;   in Loop: Header=BB4_3166 Depth=2
	s_or_b32 exec_lo, exec_lo, s28
	s_and_saveexec_b32 s28, s12
	s_cbranch_execz .LBB4_3661
.LBB4_3660:                             ;   in Loop: Header=BB4_3166 Depth=2
	v_and_b32_sdwa v42, v102, v21 dst_sel:DWORD dst_unused:UNUSED_PAD src0_sel:DWORD src1_sel:BYTE_1
	v_and_b32_e32 v43, 3, v42
	v_bfe_u32 v46, v42, 2, 5
	v_ffbh_u32_e32 v44, v43
	v_cmp_eq_u32_e32 vcc_lo, 0, v46
	v_min_u32_e32 v44, 32, v44
	v_subrev_nc_u32_e32 v45, 29, v44
	v_sub_nc_u32_e32 v44, 30, v44
	v_lshlrev_b32_e32 v42, v45, v42
	v_lshlrev_b32_e32 v45, 16, v21
	v_cndmask_b32_e32 v44, v46, v44, vcc_lo
	v_and_b32_e32 v42, 3, v42
	v_lshl_add_u32 v44, v44, 23, 0x37800000
	v_cndmask_b32_e32 v42, v43, v42, vcc_lo
	v_and_b32_e32 v43, 0x80000000, v45
	v_lshlrev_b32_e32 v42, 21, v42
	v_or3_b32 v42, v43, v44, v42
.LBB4_3661:                             ;   in Loop: Header=BB4_3166 Depth=2
	s_or_b32 exec_lo, exec_lo, s28
	v_max_f32_e32 v42, v42, v42
	v_max_f32_e32 v41, v41, v41
	v_min_f32_e32 v42, v41, v42
.LBB4_3662:                             ;   in Loop: Header=BB4_3166 Depth=2
	v_and_b32_e32 v41, 0x7f800000, v42
	v_cmp_ne_u32_e32 vcc_lo, 0x7f800000, v41
	v_mov_b32_e32 v41, 0x8000
	s_and_saveexec_b32 s28, vcc_lo
	s_cbranch_execz .LBB4_3670
; %bb.3663:                             ;   in Loop: Header=BB4_3166 Depth=2
	v_mov_b32_e32 v41, 0
	s_mov_b32 s29, exec_lo
	v_cmpx_ne_u32_e32 0, v42
	s_cbranch_execz .LBB4_3669
; %bb.3664:                             ;   in Loop: Header=BB4_3166 Depth=2
	v_bfe_u32 v41, v42, 23, 8
	v_and_b32_e32 v43, 0x7fffff, v42
	v_sub_nc_u32_e32 v44, 0x70, v41
	v_cmp_gt_u32_e32 vcc_lo, 0x71, v41
	v_or_b32_e32 v45, 0x800000, v43
	v_cndmask_b32_e32 v44, 0, v44, vcc_lo
	v_cmp_eq_u32_e32 vcc_lo, 0, v41
	v_add_nc_u32_e32 v41, 0xffffff91, v41
	v_cndmask_b32_e64 v44, v44, 0x6f, vcc_lo
	v_cndmask_b32_e32 v43, v45, v43, vcc_lo
	v_cndmask_b32_e64 v41, v41, 0xffffff92, vcc_lo
	v_lshl_add_u32 v45, 0x200000, v44, -1
	v_lshrrev_b32_e32 v46, v44, v43
	v_lshlrev_b32_e64 v56, v44, 0x100000
	v_add_nc_u32_e32 v44, v44, v41
	v_and_b32_e32 v43, v45, v43
	v_bfe_u32 v47, v46, 21, 1
	v_cmp_eq_u32_e64 s12, v43, v56
	v_add_nc_u32_e32 v45, -1, v47
	v_cndmask_b32_e64 v43, 0, v45, s12
	v_lshrrev_b32_e32 v45, 23, v46
	s_mov_b32 s12, exec_lo
	v_add_nc_u32_e32 v43, v43, v46
	v_xor_b32_e32 v45, 1, v45
	v_and_b32_e32 v41, 0x1fffff, v43
	v_add_nc_u32_e32 v43, v41, v46
                                        ; implicit-def: $vgpr41
	v_cmpx_ne_u32_e64 v44, v45
	s_xor_b32 s12, exec_lo, s12
; %bb.3665:                             ;   in Loop: Header=BB4_3166 Depth=2
	v_cmp_lt_u32_e32 vcc_lo, 0xffffff, v43
	v_sub_nc_u32_e32 v41, v44, v45
	v_cndmask_b32_e64 v44, 0, 1, vcc_lo
	v_add_co_ci_u32_e64 v41, null, 0, v41, vcc_lo
	v_lshrrev_b32_e32 v43, v44, v43
; %bb.3666:                             ;   in Loop: Header=BB4_3166 Depth=2
	s_andn2_saveexec_b32 s12, s12
; %bb.3667:                             ;   in Loop: Header=BB4_3166 Depth=2
	v_bfe_u32 v41, v43, 23, 1
; %bb.3668:                             ;   in Loop: Header=BB4_3166 Depth=2
	s_or_b32 exec_lo, exec_lo, s12
	v_lshrrev_b32_e32 v43, 21, v43
	v_min_i32_e32 v44, 31, v41
	v_cmp_gt_i32_e32 vcc_lo, 32, v41
	v_and_b32_sdwa v42, v42, v101 dst_sel:DWORD dst_unused:UNUSED_PAD src0_sel:BYTE_3 src1_sel:DWORD
	v_lshlrev_b32_e32 v44, 2, v44
	v_cndmask_b32_e32 v43, 3, v43, vcc_lo
	v_and_b32_e32 v44, 0xfc, v44
	v_and_b32_e32 v45, 3, v43
	v_or_b32_e32 v41, v41, v43
	v_or3_b32 v42, v42, v44, v45
	v_cmp_ne_u32_e32 vcc_lo, 0, v41
	v_lshlrev_b32_e32 v42, 8, v42
	v_cndmask_b32_e32 v41, 0, v42, vcc_lo
.LBB4_3669:                             ;   in Loop: Header=BB4_3166 Depth=2
	s_or_b32 exec_lo, exec_lo, s29
.LBB4_3670:                             ;   in Loop: Header=BB4_3166 Depth=2
	s_or_b32 exec_lo, exec_lo, s28
	v_and_b32_sdwa v42, v25, v103 dst_sel:DWORD dst_unused:UNUSED_PAD src0_sel:WORD_1 src1_sel:DWORD
	s_and_b32 vcc_lo, exec_lo, s27
	s_mov_b32 s28, -1
                                        ; implicit-def: $vgpr43
	v_cmp_lt_i16_e64 s12, 0x7f, v42
	s_cbranch_vccz .LBB4_3684
; %bb.3671:                             ;   in Loop: Header=BB4_3166 Depth=2
	s_mov_b32 s28, 0
	s_and_saveexec_b32 s29, s12
	s_xor_b32 s12, exec_lo, s29
	s_cbranch_execz .LBB4_4428
; %bb.3672:                             ;   in Loop: Header=BB4_3166 Depth=2
	s_mov_b32 s28, -1
	s_mov_b32 s29, exec_lo
	v_cmpx_eq_u16_e32 0x80, v42
; %bb.3673:                             ;   in Loop: Header=BB4_3166 Depth=2
	s_xor_b32 s28, exec_lo, -1
; %bb.3674:                             ;   in Loop: Header=BB4_3166 Depth=2
	s_or_b32 exec_lo, exec_lo, s29
	s_and_b32 s28, s28, exec_lo
	s_or_saveexec_b32 s12, s12
	v_mov_b32_e32 v43, 0x7f800001
	s_xor_b32 exec_lo, exec_lo, s12
	s_cbranch_execnz .LBB4_4429
.LBB4_3675:                             ;   in Loop: Header=BB4_3166 Depth=2
	s_or_b32 exec_lo, exec_lo, s12
	s_and_saveexec_b32 s12, s28
	s_cbranch_execz .LBB4_3677
.LBB4_3676:                             ;   in Loop: Header=BB4_3166 Depth=2
	v_bfe_u32 v43, v25, 16, 2
	v_bfe_u32 v46, v25, 18, 5
	v_lshlrev_b32_sdwa v47, v112, v25 dst_sel:DWORD dst_unused:UNUSED_PAD src0_sel:DWORD src1_sel:WORD_1
	v_ffbh_u32_e32 v44, v43
	v_cmp_eq_u32_e32 vcc_lo, 0, v46
	v_min_u32_e32 v44, 32, v44
	v_subrev_nc_u32_e32 v45, 29, v44
	v_sub_nc_u32_e32 v44, 30, v44
	v_lshlrev_b32_sdwa v45, v45, v25 dst_sel:DWORD dst_unused:UNUSED_PAD src0_sel:DWORD src1_sel:WORD_1
	v_cndmask_b32_e32 v44, v46, v44, vcc_lo
	v_and_b32_e32 v45, 3, v45
	v_lshl_add_u32 v44, v44, 23, 0x37800000
	v_cndmask_b32_e32 v43, v43, v45, vcc_lo
	v_and_b32_e32 v45, 0x80000000, v47
	v_lshlrev_b32_e32 v43, 21, v43
	v_or3_b32 v43, v45, v44, v43
.LBB4_3677:                             ;   in Loop: Header=BB4_3166 Depth=2
	s_or_b32 exec_lo, exec_lo, s12
	v_and_b32_sdwa v45, v21, v103 dst_sel:DWORD dst_unused:UNUSED_PAD src0_sel:WORD_1 src1_sel:DWORD
	s_mov_b32 s12, 0
	s_mov_b32 s28, exec_lo
	v_cmpx_lt_i16_e32 0x7f, v45
	s_xor_b32 s28, exec_lo, s28
	s_cbranch_execz .LBB4_4430
; %bb.3678:                             ;   in Loop: Header=BB4_3166 Depth=2
	s_mov_b32 s12, -1
	s_mov_b32 s29, exec_lo
	v_cmpx_eq_u16_e32 0x80, v45
; %bb.3679:                             ;   in Loop: Header=BB4_3166 Depth=2
	s_xor_b32 s12, exec_lo, -1
; %bb.3680:                             ;   in Loop: Header=BB4_3166 Depth=2
	s_or_b32 exec_lo, exec_lo, s29
	s_and_b32 s12, s12, exec_lo
                                        ; implicit-def: $vgpr45
	s_or_saveexec_b32 s28, s28
	v_mov_b32_e32 v44, 0x7f800001
	s_xor_b32 exec_lo, exec_lo, s28
	s_cbranch_execnz .LBB4_4431
.LBB4_3681:                             ;   in Loop: Header=BB4_3166 Depth=2
	s_or_b32 exec_lo, exec_lo, s28
	s_and_saveexec_b32 s28, s12
	s_cbranch_execz .LBB4_3683
.LBB4_3682:                             ;   in Loop: Header=BB4_3166 Depth=2
	v_bfe_u32 v44, v21, 16, 2
	v_bfe_u32 v47, v21, 18, 5
	v_lshlrev_b32_sdwa v56, v112, v21 dst_sel:DWORD dst_unused:UNUSED_PAD src0_sel:DWORD src1_sel:WORD_1
	v_ffbh_u32_e32 v45, v44
	v_cmp_eq_u32_e32 vcc_lo, 0, v47
	v_min_u32_e32 v45, 32, v45
	v_subrev_nc_u32_e32 v46, 29, v45
	v_sub_nc_u32_e32 v45, 30, v45
	v_lshlrev_b32_sdwa v46, v46, v21 dst_sel:DWORD dst_unused:UNUSED_PAD src0_sel:DWORD src1_sel:WORD_1
	v_cndmask_b32_e32 v45, v47, v45, vcc_lo
	v_and_b32_e32 v46, 3, v46
	v_lshl_add_u32 v45, v45, 23, 0x37800000
	v_cndmask_b32_e32 v44, v44, v46, vcc_lo
	v_and_b32_e32 v46, 0x80000000, v56
	v_lshlrev_b32_e32 v44, 21, v44
	v_or3_b32 v44, v46, v45, v44
.LBB4_3683:                             ;   in Loop: Header=BB4_3166 Depth=2
	s_or_b32 exec_lo, exec_lo, s28
	v_max_f32_e32 v44, v44, v44
	v_max_f32_e32 v43, v43, v43
	s_mov_b32 s28, 0
	v_max_f32_e32 v43, v43, v44
.LBB4_3684:                             ;   in Loop: Header=BB4_3166 Depth=2
	s_and_b32 vcc_lo, exec_lo, s28
	s_cbranch_vccz .LBB4_3698
; %bb.3685:                             ;   in Loop: Header=BB4_3166 Depth=2
	s_mov_b32 s12, 0
	s_mov_b32 s28, exec_lo
	v_cmpx_lt_i16_e32 0x7f, v42
	s_xor_b32 s28, exec_lo, s28
	s_cbranch_execz .LBB4_4432
; %bb.3686:                             ;   in Loop: Header=BB4_3166 Depth=2
	s_mov_b32 s12, -1
	s_mov_b32 s29, exec_lo
	v_cmpx_eq_u16_e32 0x80, v42
; %bb.3687:                             ;   in Loop: Header=BB4_3166 Depth=2
	s_xor_b32 s12, exec_lo, -1
; %bb.3688:                             ;   in Loop: Header=BB4_3166 Depth=2
	s_or_b32 exec_lo, exec_lo, s29
	s_and_b32 s12, s12, exec_lo
                                        ; implicit-def: $vgpr42
	s_or_saveexec_b32 s28, s28
	v_mov_b32_e32 v43, 0x7f800001
	s_xor_b32 exec_lo, exec_lo, s28
	s_cbranch_execnz .LBB4_4433
.LBB4_3689:                             ;   in Loop: Header=BB4_3166 Depth=2
	s_or_b32 exec_lo, exec_lo, s28
	s_and_saveexec_b32 s28, s12
	s_cbranch_execz .LBB4_3691
.LBB4_3690:                             ;   in Loop: Header=BB4_3166 Depth=2
	v_bfe_u32 v42, v25, 16, 2
	v_bfe_u32 v45, v25, 18, 5
	v_lshlrev_b32_sdwa v46, v112, v25 dst_sel:DWORD dst_unused:UNUSED_PAD src0_sel:DWORD src1_sel:WORD_1
	v_ffbh_u32_e32 v43, v42
	v_cmp_eq_u32_e32 vcc_lo, 0, v45
	v_min_u32_e32 v43, 32, v43
	v_subrev_nc_u32_e32 v44, 29, v43
	v_sub_nc_u32_e32 v43, 30, v43
	v_lshlrev_b32_sdwa v44, v44, v25 dst_sel:DWORD dst_unused:UNUSED_PAD src0_sel:DWORD src1_sel:WORD_1
	v_cndmask_b32_e32 v43, v45, v43, vcc_lo
	v_and_b32_e32 v44, 3, v44
	v_lshl_add_u32 v43, v43, 23, 0x37800000
	v_cndmask_b32_e32 v42, v42, v44, vcc_lo
	v_and_b32_e32 v44, 0x80000000, v46
	v_lshlrev_b32_e32 v42, 21, v42
	v_or3_b32 v43, v44, v43, v42
.LBB4_3691:                             ;   in Loop: Header=BB4_3166 Depth=2
	s_or_b32 exec_lo, exec_lo, s28
	v_and_b32_sdwa v44, v21, v103 dst_sel:DWORD dst_unused:UNUSED_PAD src0_sel:WORD_1 src1_sel:DWORD
	s_mov_b32 s12, 0
	s_mov_b32 s28, exec_lo
	v_cmpx_lt_i16_e32 0x7f, v44
	s_xor_b32 s28, exec_lo, s28
	s_cbranch_execz .LBB4_4434
; %bb.3692:                             ;   in Loop: Header=BB4_3166 Depth=2
	s_mov_b32 s12, -1
	s_mov_b32 s29, exec_lo
	v_cmpx_eq_u16_e32 0x80, v44
; %bb.3693:                             ;   in Loop: Header=BB4_3166 Depth=2
	s_xor_b32 s12, exec_lo, -1
; %bb.3694:                             ;   in Loop: Header=BB4_3166 Depth=2
	s_or_b32 exec_lo, exec_lo, s29
	s_and_b32 s12, s12, exec_lo
                                        ; implicit-def: $vgpr44
	s_or_saveexec_b32 s28, s28
	v_mov_b32_e32 v42, 0x7f800001
	s_xor_b32 exec_lo, exec_lo, s28
	s_cbranch_execnz .LBB4_4435
.LBB4_3695:                             ;   in Loop: Header=BB4_3166 Depth=2
	s_or_b32 exec_lo, exec_lo, s28
	s_and_saveexec_b32 s28, s12
	s_cbranch_execz .LBB4_3697
.LBB4_3696:                             ;   in Loop: Header=BB4_3166 Depth=2
	v_bfe_u32 v42, v21, 16, 2
	v_bfe_u32 v46, v21, 18, 5
	v_lshlrev_b32_sdwa v47, v112, v21 dst_sel:DWORD dst_unused:UNUSED_PAD src0_sel:DWORD src1_sel:WORD_1
	v_ffbh_u32_e32 v44, v42
	v_cmp_eq_u32_e32 vcc_lo, 0, v46
	v_min_u32_e32 v44, 32, v44
	v_subrev_nc_u32_e32 v45, 29, v44
	v_sub_nc_u32_e32 v44, 30, v44
	v_lshlrev_b32_sdwa v45, v45, v21 dst_sel:DWORD dst_unused:UNUSED_PAD src0_sel:DWORD src1_sel:WORD_1
	v_cndmask_b32_e32 v44, v46, v44, vcc_lo
	v_and_b32_e32 v45, 3, v45
	v_lshl_add_u32 v44, v44, 23, 0x37800000
	v_cndmask_b32_e32 v42, v42, v45, vcc_lo
	v_and_b32_e32 v45, 0x80000000, v47
	v_lshlrev_b32_e32 v42, 21, v42
	v_or3_b32 v42, v45, v44, v42
.LBB4_3697:                             ;   in Loop: Header=BB4_3166 Depth=2
	s_or_b32 exec_lo, exec_lo, s28
	v_max_f32_e32 v42, v42, v42
	v_max_f32_e32 v43, v43, v43
	v_min_f32_e32 v43, v43, v42
.LBB4_3698:                             ;   in Loop: Header=BB4_3166 Depth=2
	v_and_b32_e32 v42, 0x7f800000, v43
	v_cmp_ne_u32_e32 vcc_lo, 0x7f800000, v42
	v_mov_b32_e32 v42, 0x80
	s_and_saveexec_b32 s28, vcc_lo
	s_cbranch_execz .LBB4_3706
; %bb.3699:                             ;   in Loop: Header=BB4_3166 Depth=2
	v_mov_b32_e32 v42, 0
	s_mov_b32 s29, exec_lo
	v_cmpx_ne_u32_e32 0, v43
	s_cbranch_execz .LBB4_3705
; %bb.3700:                             ;   in Loop: Header=BB4_3166 Depth=2
	v_bfe_u32 v42, v43, 23, 8
	v_and_b32_e32 v44, 0x7fffff, v43
	v_sub_nc_u32_e32 v45, 0x70, v42
	v_cmp_gt_u32_e32 vcc_lo, 0x71, v42
	v_or_b32_e32 v46, 0x800000, v44
	v_cndmask_b32_e32 v45, 0, v45, vcc_lo
	v_cmp_eq_u32_e32 vcc_lo, 0, v42
	v_add_nc_u32_e32 v42, 0xffffff91, v42
	v_cndmask_b32_e64 v45, v45, 0x6f, vcc_lo
	v_cndmask_b32_e32 v44, v46, v44, vcc_lo
	v_cndmask_b32_e64 v42, v42, 0xffffff92, vcc_lo
	v_lshl_add_u32 v46, 0x200000, v45, -1
	v_lshrrev_b32_e32 v47, v45, v44
	v_lshlrev_b32_e64 v57, v45, 0x100000
	v_add_nc_u32_e32 v45, v45, v42
	v_and_b32_e32 v44, v46, v44
	v_bfe_u32 v56, v47, 21, 1
	v_cmp_eq_u32_e64 s12, v44, v57
	v_add_nc_u32_e32 v46, -1, v56
	v_cndmask_b32_e64 v44, 0, v46, s12
	v_lshrrev_b32_e32 v46, 23, v47
	s_mov_b32 s12, exec_lo
	v_add_nc_u32_e32 v44, v44, v47
	v_xor_b32_e32 v46, 1, v46
	v_and_b32_e32 v42, 0x1fffff, v44
	v_add_nc_u32_e32 v44, v42, v47
                                        ; implicit-def: $vgpr42
	v_cmpx_ne_u32_e64 v45, v46
	s_xor_b32 s12, exec_lo, s12
; %bb.3701:                             ;   in Loop: Header=BB4_3166 Depth=2
	v_cmp_lt_u32_e32 vcc_lo, 0xffffff, v44
	v_sub_nc_u32_e32 v42, v45, v46
	v_cndmask_b32_e64 v45, 0, 1, vcc_lo
	v_add_co_ci_u32_e64 v42, null, 0, v42, vcc_lo
	v_lshrrev_b32_e32 v44, v45, v44
; %bb.3702:                             ;   in Loop: Header=BB4_3166 Depth=2
	s_andn2_saveexec_b32 s12, s12
; %bb.3703:                             ;   in Loop: Header=BB4_3166 Depth=2
	v_bfe_u32 v42, v44, 23, 1
; %bb.3704:                             ;   in Loop: Header=BB4_3166 Depth=2
	s_or_b32 exec_lo, exec_lo, s12
	v_lshrrev_b32_e32 v44, 21, v44
	v_min_i32_e32 v45, 31, v42
	v_cmp_gt_i32_e32 vcc_lo, 32, v42
	v_and_b32_sdwa v43, v43, v101 dst_sel:DWORD dst_unused:UNUSED_PAD src0_sel:BYTE_3 src1_sel:DWORD
	v_lshlrev_b32_e32 v45, 2, v45
	v_cndmask_b32_e32 v44, 3, v44, vcc_lo
	v_and_b32_e32 v45, 0xfc, v45
	v_and_b32_e32 v46, 3, v44
	v_or_b32_e32 v42, v42, v44
	v_or3_b32 v43, v45, v43, v46
	v_cmp_ne_u32_e32 vcc_lo, 0, v42
	v_cndmask_b32_e32 v42, 0, v43, vcc_lo
.LBB4_3705:                             ;   in Loop: Header=BB4_3166 Depth=2
	s_or_b32 exec_lo, exec_lo, s29
.LBB4_3706:                             ;   in Loop: Header=BB4_3166 Depth=2
	s_or_b32 exec_lo, exec_lo, s28
	v_cmp_gt_i16_sdwa s28, v25, v100 src0_sel:BYTE_3 src1_sel:DWORD
	s_and_b32 vcc_lo, exec_lo, s27
	s_mov_b32 s12, -1
                                        ; implicit-def: $vgpr43
	s_cbranch_vccz .LBB4_3720
; %bb.3707:                             ;   in Loop: Header=BB4_3166 Depth=2
	s_mov_b32 s12, 0
	s_and_saveexec_b32 s29, s28
	s_xor_b32 s28, exec_lo, s29
	s_cbranch_execz .LBB4_4436
; %bb.3708:                             ;   in Loop: Header=BB4_3166 Depth=2
	v_cmp_eq_u16_sdwa s40, v25, v101 src0_sel:BYTE_3 src1_sel:DWORD
	s_mov_b32 s12, -1
	s_and_saveexec_b32 s29, s40
; %bb.3709:                             ;   in Loop: Header=BB4_3166 Depth=2
	s_xor_b32 s12, exec_lo, -1
; %bb.3710:                             ;   in Loop: Header=BB4_3166 Depth=2
	s_or_b32 exec_lo, exec_lo, s29
	s_and_b32 s12, s12, exec_lo
	s_or_saveexec_b32 s28, s28
	v_mov_b32_e32 v43, 0x7f800001
	s_xor_b32 exec_lo, exec_lo, s28
	s_cbranch_execnz .LBB4_4437
.LBB4_3711:                             ;   in Loop: Header=BB4_3166 Depth=2
	s_or_b32 exec_lo, exec_lo, s28
	s_and_saveexec_b32 s28, s12
	s_cbranch_execz .LBB4_3713
.LBB4_3712:                             ;   in Loop: Header=BB4_3166 Depth=2
	v_bfe_u32 v43, v25, 24, 2
	v_bfe_u32 v46, v25, 26, 5
	v_ffbh_u32_e32 v44, v43
	v_cmp_eq_u32_e32 vcc_lo, 0, v46
	v_min_u32_e32 v44, 32, v44
	v_subrev_nc_u32_e32 v45, 29, v44
	v_sub_nc_u32_e32 v44, 30, v44
	v_lshlrev_b32_sdwa v45, v45, v25 dst_sel:DWORD dst_unused:UNUSED_PAD src0_sel:DWORD src1_sel:BYTE_3
	v_cndmask_b32_e32 v44, v46, v44, vcc_lo
	v_and_b32_e32 v45, 3, v45
	v_lshl_add_u32 v44, v44, 23, 0x37800000
	v_cndmask_b32_e32 v43, v43, v45, vcc_lo
	v_and_b32_e32 v45, 0x80000000, v25
	v_lshlrev_b32_e32 v43, 21, v43
	v_or3_b32 v43, v45, v44, v43
.LBB4_3713:                             ;   in Loop: Header=BB4_3166 Depth=2
	s_or_b32 exec_lo, exec_lo, s28
	v_cmp_gt_i16_sdwa s28, v21, v100 src0_sel:BYTE_3 src1_sel:DWORD
	s_mov_b32 s12, 0
	s_and_saveexec_b32 s29, s28
	s_xor_b32 s28, exec_lo, s29
	s_cbranch_execz .LBB4_4438
; %bb.3714:                             ;   in Loop: Header=BB4_3166 Depth=2
	v_cmp_eq_u16_sdwa s40, v21, v101 src0_sel:BYTE_3 src1_sel:DWORD
	s_mov_b32 s12, -1
	s_and_saveexec_b32 s29, s40
; %bb.3715:                             ;   in Loop: Header=BB4_3166 Depth=2
	s_xor_b32 s12, exec_lo, -1
; %bb.3716:                             ;   in Loop: Header=BB4_3166 Depth=2
	s_or_b32 exec_lo, exec_lo, s29
	s_and_b32 s12, s12, exec_lo
	s_or_saveexec_b32 s28, s28
	v_mov_b32_e32 v44, 0x7f800001
	s_xor_b32 exec_lo, exec_lo, s28
	s_cbranch_execnz .LBB4_4439
.LBB4_3717:                             ;   in Loop: Header=BB4_3166 Depth=2
	s_or_b32 exec_lo, exec_lo, s28
	s_and_saveexec_b32 s28, s12
	s_cbranch_execz .LBB4_3719
.LBB4_3718:                             ;   in Loop: Header=BB4_3166 Depth=2
	v_bfe_u32 v44, v21, 24, 2
	v_bfe_u32 v47, v21, 26, 5
	v_ffbh_u32_e32 v45, v44
	v_cmp_eq_u32_e32 vcc_lo, 0, v47
	v_min_u32_e32 v45, 32, v45
	v_subrev_nc_u32_e32 v46, 29, v45
	v_sub_nc_u32_e32 v45, 30, v45
	v_lshlrev_b32_sdwa v46, v46, v21 dst_sel:DWORD dst_unused:UNUSED_PAD src0_sel:DWORD src1_sel:BYTE_3
	v_cndmask_b32_e32 v45, v47, v45, vcc_lo
	v_and_b32_e32 v46, 3, v46
	v_lshl_add_u32 v45, v45, 23, 0x37800000
	v_cndmask_b32_e32 v44, v44, v46, vcc_lo
	v_and_b32_e32 v46, 0x80000000, v21
	v_lshlrev_b32_e32 v44, 21, v44
	v_or3_b32 v44, v46, v45, v44
.LBB4_3719:                             ;   in Loop: Header=BB4_3166 Depth=2
	s_or_b32 exec_lo, exec_lo, s28
	v_max_f32_e32 v44, v44, v44
	v_max_f32_e32 v43, v43, v43
	s_mov_b32 s12, 0
	v_max_f32_e32 v43, v43, v44
.LBB4_3720:                             ;   in Loop: Header=BB4_3166 Depth=2
	s_and_b32 vcc_lo, exec_lo, s12
	s_cbranch_vccz .LBB4_3734
; %bb.3721:                             ;   in Loop: Header=BB4_3166 Depth=2
	v_cmp_gt_i16_sdwa s28, v25, v100 src0_sel:BYTE_3 src1_sel:DWORD
	s_mov_b32 s12, 0
	s_and_saveexec_b32 s29, s28
	s_xor_b32 s28, exec_lo, s29
	s_cbranch_execz .LBB4_4440
; %bb.3722:                             ;   in Loop: Header=BB4_3166 Depth=2
	v_cmp_eq_u16_sdwa s40, v25, v101 src0_sel:BYTE_3 src1_sel:DWORD
	s_mov_b32 s12, -1
	s_and_saveexec_b32 s29, s40
; %bb.3723:                             ;   in Loop: Header=BB4_3166 Depth=2
	s_xor_b32 s12, exec_lo, -1
; %bb.3724:                             ;   in Loop: Header=BB4_3166 Depth=2
	s_or_b32 exec_lo, exec_lo, s29
	s_and_b32 s12, s12, exec_lo
	s_or_saveexec_b32 s28, s28
	v_mov_b32_e32 v43, 0x7f800001
	s_xor_b32 exec_lo, exec_lo, s28
	s_cbranch_execnz .LBB4_4441
.LBB4_3725:                             ;   in Loop: Header=BB4_3166 Depth=2
	s_or_b32 exec_lo, exec_lo, s28
	s_and_saveexec_b32 s28, s12
	s_cbranch_execz .LBB4_3727
.LBB4_3726:                             ;   in Loop: Header=BB4_3166 Depth=2
	v_bfe_u32 v43, v25, 24, 2
	v_bfe_u32 v46, v25, 26, 5
	v_ffbh_u32_e32 v44, v43
	v_cmp_eq_u32_e32 vcc_lo, 0, v46
	v_min_u32_e32 v44, 32, v44
	v_subrev_nc_u32_e32 v45, 29, v44
	v_sub_nc_u32_e32 v44, 30, v44
	v_lshlrev_b32_sdwa v45, v45, v25 dst_sel:DWORD dst_unused:UNUSED_PAD src0_sel:DWORD src1_sel:BYTE_3
	v_cndmask_b32_e32 v44, v46, v44, vcc_lo
	v_and_b32_e32 v25, 0x80000000, v25
	v_and_b32_e32 v45, 3, v45
	v_lshl_add_u32 v44, v44, 23, 0x37800000
	v_cndmask_b32_e32 v43, v43, v45, vcc_lo
	v_lshlrev_b32_e32 v43, 21, v43
	v_or3_b32 v43, v25, v44, v43
.LBB4_3727:                             ;   in Loop: Header=BB4_3166 Depth=2
	s_or_b32 exec_lo, exec_lo, s28
	v_cmp_gt_i16_sdwa s28, v21, v100 src0_sel:BYTE_3 src1_sel:DWORD
	s_mov_b32 s12, 0
	s_and_saveexec_b32 s29, s28
	s_xor_b32 s28, exec_lo, s29
	s_cbranch_execz .LBB4_4442
; %bb.3728:                             ;   in Loop: Header=BB4_3166 Depth=2
	v_cmp_eq_u16_sdwa s40, v21, v101 src0_sel:BYTE_3 src1_sel:DWORD
	s_mov_b32 s12, -1
	s_and_saveexec_b32 s29, s40
; %bb.3729:                             ;   in Loop: Header=BB4_3166 Depth=2
	s_xor_b32 s12, exec_lo, -1
; %bb.3730:                             ;   in Loop: Header=BB4_3166 Depth=2
	s_or_b32 exec_lo, exec_lo, s29
	s_and_b32 s12, s12, exec_lo
	s_or_saveexec_b32 s28, s28
	v_mov_b32_e32 v25, 0x7f800001
	s_xor_b32 exec_lo, exec_lo, s28
	s_cbranch_execnz .LBB4_4443
.LBB4_3731:                             ;   in Loop: Header=BB4_3166 Depth=2
	s_or_b32 exec_lo, exec_lo, s28
	s_and_saveexec_b32 s28, s12
	s_cbranch_execz .LBB4_3733
.LBB4_3732:                             ;   in Loop: Header=BB4_3166 Depth=2
	v_bfe_u32 v25, v21, 24, 2
	v_bfe_u32 v46, v21, 26, 5
	v_ffbh_u32_e32 v44, v25
	v_cmp_eq_u32_e32 vcc_lo, 0, v46
	v_min_u32_e32 v44, 32, v44
	v_subrev_nc_u32_e32 v45, 29, v44
	v_sub_nc_u32_e32 v44, 30, v44
	v_lshlrev_b32_sdwa v45, v45, v21 dst_sel:DWORD dst_unused:UNUSED_PAD src0_sel:DWORD src1_sel:BYTE_3
	v_cndmask_b32_e32 v44, v46, v44, vcc_lo
	v_and_b32_e32 v21, 0x80000000, v21
	v_and_b32_e32 v45, 3, v45
	v_lshl_add_u32 v44, v44, 23, 0x37800000
	v_cndmask_b32_e32 v25, v25, v45, vcc_lo
	v_lshlrev_b32_e32 v25, 21, v25
	v_or3_b32 v25, v21, v44, v25
.LBB4_3733:                             ;   in Loop: Header=BB4_3166 Depth=2
	s_or_b32 exec_lo, exec_lo, s28
	v_max_f32_e32 v21, v25, v25
	v_max_f32_e32 v25, v43, v43
	v_min_f32_e32 v43, v25, v21
.LBB4_3734:                             ;   in Loop: Header=BB4_3166 Depth=2
	v_and_b32_e32 v21, 0x7f800000, v43
	v_cmp_ne_u32_e32 vcc_lo, 0x7f800000, v21
	v_mov_b32_e32 v21, 0x8000
	s_and_saveexec_b32 s28, vcc_lo
	s_cbranch_execz .LBB4_3742
; %bb.3735:                             ;   in Loop: Header=BB4_3166 Depth=2
	v_mov_b32_e32 v21, 0
	s_mov_b32 s29, exec_lo
	v_cmpx_ne_u32_e32 0, v43
	s_cbranch_execz .LBB4_3741
; %bb.3736:                             ;   in Loop: Header=BB4_3166 Depth=2
	v_bfe_u32 v21, v43, 23, 8
	v_and_b32_e32 v25, 0x7fffff, v43
	v_sub_nc_u32_e32 v44, 0x70, v21
	v_cmp_gt_u32_e32 vcc_lo, 0x71, v21
	v_or_b32_e32 v45, 0x800000, v25
	v_cndmask_b32_e32 v44, 0, v44, vcc_lo
	v_cmp_eq_u32_e32 vcc_lo, 0, v21
	v_add_nc_u32_e32 v21, 0xffffff91, v21
	v_cndmask_b32_e64 v44, v44, 0x6f, vcc_lo
	v_cndmask_b32_e32 v25, v45, v25, vcc_lo
	v_cndmask_b32_e64 v21, v21, 0xffffff92, vcc_lo
	v_lshl_add_u32 v45, 0x200000, v44, -1
	v_lshrrev_b32_e32 v46, v44, v25
	v_lshlrev_b32_e64 v56, v44, 0x100000
	v_add_nc_u32_e32 v44, v44, v21
	v_and_b32_e32 v25, v45, v25
	v_bfe_u32 v47, v46, 21, 1
	v_cmp_eq_u32_e64 s12, v25, v56
	v_add_nc_u32_e32 v45, -1, v47
	v_cndmask_b32_e64 v25, 0, v45, s12
	v_lshrrev_b32_e32 v45, 23, v46
	s_mov_b32 s12, exec_lo
	v_add_nc_u32_e32 v25, v25, v46
	v_xor_b32_e32 v45, 1, v45
	v_and_b32_e32 v21, 0x1fffff, v25
	v_add_nc_u32_e32 v25, v21, v46
                                        ; implicit-def: $vgpr21
	v_cmpx_ne_u32_e64 v44, v45
	s_xor_b32 s12, exec_lo, s12
; %bb.3737:                             ;   in Loop: Header=BB4_3166 Depth=2
	v_cmp_lt_u32_e32 vcc_lo, 0xffffff, v25
	v_sub_nc_u32_e32 v21, v44, v45
	v_cndmask_b32_e64 v44, 0, 1, vcc_lo
	v_add_co_ci_u32_e64 v21, null, 0, v21, vcc_lo
	v_lshrrev_b32_e32 v25, v44, v25
; %bb.3738:                             ;   in Loop: Header=BB4_3166 Depth=2
	s_andn2_saveexec_b32 s12, s12
; %bb.3739:                             ;   in Loop: Header=BB4_3166 Depth=2
	v_bfe_u32 v21, v25, 23, 1
; %bb.3740:                             ;   in Loop: Header=BB4_3166 Depth=2
	s_or_b32 exec_lo, exec_lo, s12
	v_lshrrev_b32_e32 v25, 21, v25
	v_min_i32_e32 v44, 31, v21
	v_cmp_gt_i32_e32 vcc_lo, 32, v21
	v_and_b32_sdwa v43, v43, v101 dst_sel:DWORD dst_unused:UNUSED_PAD src0_sel:BYTE_3 src1_sel:DWORD
	v_lshlrev_b32_e32 v44, 2, v44
	v_cndmask_b32_e32 v25, 3, v25, vcc_lo
	v_and_b32_e32 v44, 0xfc, v44
	v_and_b32_e32 v45, 3, v25
	v_or_b32_e32 v21, v21, v25
	v_or3_b32 v43, v43, v44, v45
	v_cmp_ne_u32_e32 vcc_lo, 0, v21
	v_lshlrev_b32_e32 v25, 8, v43
	v_cndmask_b32_e32 v21, 0, v25, vcc_lo
.LBB4_3741:                             ;   in Loop: Header=BB4_3166 Depth=2
	s_or_b32 exec_lo, exec_lo, s29
.LBB4_3742:                             ;   in Loop: Header=BB4_3166 Depth=2
	s_or_b32 exec_lo, exec_lo, s28
	v_cmp_gt_i16_sdwa s28, v14, v100 src0_sel:BYTE_0 src1_sel:DWORD
	s_andn2_b32 vcc_lo, exec_lo, s27
	s_mov_b32 s12, -1
                                        ; implicit-def: $vgpr43
	s_cbranch_vccnz .LBB4_3756
; %bb.3743:                             ;   in Loop: Header=BB4_3166 Depth=2
	s_mov_b32 s12, 0
	s_and_saveexec_b32 s29, s28
	s_xor_b32 s28, exec_lo, s29
	s_cbranch_execz .LBB4_4444
; %bb.3744:                             ;   in Loop: Header=BB4_3166 Depth=2
	v_cmp_eq_u16_sdwa s40, v14, v101 src0_sel:BYTE_0 src1_sel:DWORD
	s_mov_b32 s12, -1
	s_and_saveexec_b32 s29, s40
; %bb.3745:                             ;   in Loop: Header=BB4_3166 Depth=2
	s_xor_b32 s12, exec_lo, -1
; %bb.3746:                             ;   in Loop: Header=BB4_3166 Depth=2
	s_or_b32 exec_lo, exec_lo, s29
	s_and_b32 s12, s12, exec_lo
	s_or_saveexec_b32 s28, s28
	v_mov_b32_e32 v25, 0x7f800001
	s_xor_b32 exec_lo, exec_lo, s28
	s_cbranch_execnz .LBB4_4445
.LBB4_3747:                             ;   in Loop: Header=BB4_3166 Depth=2
	s_or_b32 exec_lo, exec_lo, s28
	s_and_saveexec_b32 s28, s12
	s_cbranch_execz .LBB4_3749
.LBB4_3748:                             ;   in Loop: Header=BB4_3166 Depth=2
	v_and_b32_e32 v25, 3, v14
	v_bfe_u32 v45, v14, 2, 5
	v_lshlrev_b32_e32 v46, 24, v14
	v_ffbh_u32_e32 v43, v25
	v_cmp_eq_u32_e32 vcc_lo, 0, v45
	v_min_u32_e32 v43, 32, v43
	v_subrev_nc_u32_e32 v44, 29, v43
	v_sub_nc_u32_e32 v43, 30, v43
	v_lshlrev_b32_e32 v44, v44, v14
	v_cndmask_b32_e32 v43, v45, v43, vcc_lo
	v_and_b32_e32 v44, 3, v44
	v_lshl_add_u32 v43, v43, 23, 0x37800000
	v_cndmask_b32_e32 v25, v25, v44, vcc_lo
	v_and_b32_e32 v44, 0x80000000, v46
	v_lshlrev_b32_e32 v25, 21, v25
	v_or3_b32 v25, v44, v43, v25
.LBB4_3749:                             ;   in Loop: Header=BB4_3166 Depth=2
	s_or_b32 exec_lo, exec_lo, s28
	s_waitcnt vmcnt(0)
	v_cmp_gt_i16_sdwa s28, v10, v100 src0_sel:BYTE_0 src1_sel:DWORD
	s_mov_b32 s12, 0
	s_and_saveexec_b32 s29, s28
	s_xor_b32 s28, exec_lo, s29
	s_cbranch_execz .LBB4_4446
; %bb.3750:                             ;   in Loop: Header=BB4_3166 Depth=2
	v_cmp_eq_u16_sdwa s40, v10, v101 src0_sel:BYTE_0 src1_sel:DWORD
	s_mov_b32 s12, -1
	s_and_saveexec_b32 s29, s40
; %bb.3751:                             ;   in Loop: Header=BB4_3166 Depth=2
	s_xor_b32 s12, exec_lo, -1
; %bb.3752:                             ;   in Loop: Header=BB4_3166 Depth=2
	s_or_b32 exec_lo, exec_lo, s29
	s_and_b32 s12, s12, exec_lo
	s_or_saveexec_b32 s28, s28
	v_mov_b32_e32 v43, 0x7f800001
	s_xor_b32 exec_lo, exec_lo, s28
	s_cbranch_execnz .LBB4_4447
.LBB4_3753:                             ;   in Loop: Header=BB4_3166 Depth=2
	s_or_b32 exec_lo, exec_lo, s28
	s_and_saveexec_b32 s28, s12
	s_cbranch_execz .LBB4_3755
.LBB4_3754:                             ;   in Loop: Header=BB4_3166 Depth=2
	v_and_b32_e32 v43, 3, v10
	v_bfe_u32 v46, v10, 2, 5
	v_lshlrev_b32_e32 v47, 24, v10
	v_ffbh_u32_e32 v44, v43
	v_cmp_eq_u32_e32 vcc_lo, 0, v46
	v_min_u32_e32 v44, 32, v44
	v_subrev_nc_u32_e32 v45, 29, v44
	v_sub_nc_u32_e32 v44, 30, v44
	v_lshlrev_b32_e32 v45, v45, v10
	v_cndmask_b32_e32 v44, v46, v44, vcc_lo
	v_and_b32_e32 v45, 3, v45
	v_lshl_add_u32 v44, v44, 23, 0x37800000
	v_cndmask_b32_e32 v43, v43, v45, vcc_lo
	v_and_b32_e32 v45, 0x80000000, v47
	v_lshlrev_b32_e32 v43, 21, v43
	v_or3_b32 v43, v45, v44, v43
.LBB4_3755:                             ;   in Loop: Header=BB4_3166 Depth=2
	s_or_b32 exec_lo, exec_lo, s28
	v_max_f32_e32 v43, v43, v43
	v_max_f32_e32 v25, v25, v25
	s_mov_b32 s12, 0
	v_max_f32_e32 v43, v25, v43
.LBB4_3756:                             ;   in Loop: Header=BB4_3166 Depth=2
	s_and_b32 vcc_lo, exec_lo, s12
	s_cbranch_vccz .LBB4_3770
; %bb.3757:                             ;   in Loop: Header=BB4_3166 Depth=2
	v_cmp_gt_i16_sdwa s28, v14, v100 src0_sel:BYTE_0 src1_sel:DWORD
	s_mov_b32 s12, 0
	s_and_saveexec_b32 s29, s28
	s_xor_b32 s28, exec_lo, s29
	s_cbranch_execz .LBB4_4448
; %bb.3758:                             ;   in Loop: Header=BB4_3166 Depth=2
	v_cmp_eq_u16_sdwa s40, v14, v101 src0_sel:BYTE_0 src1_sel:DWORD
	s_mov_b32 s12, -1
	s_and_saveexec_b32 s29, s40
; %bb.3759:                             ;   in Loop: Header=BB4_3166 Depth=2
	s_xor_b32 s12, exec_lo, -1
; %bb.3760:                             ;   in Loop: Header=BB4_3166 Depth=2
	s_or_b32 exec_lo, exec_lo, s29
	s_and_b32 s12, s12, exec_lo
	s_or_saveexec_b32 s28, s28
	v_mov_b32_e32 v25, 0x7f800001
	s_xor_b32 exec_lo, exec_lo, s28
	s_cbranch_execnz .LBB4_4449
.LBB4_3761:                             ;   in Loop: Header=BB4_3166 Depth=2
	s_or_b32 exec_lo, exec_lo, s28
	s_and_saveexec_b32 s28, s12
	s_cbranch_execz .LBB4_3763
.LBB4_3762:                             ;   in Loop: Header=BB4_3166 Depth=2
	v_and_b32_e32 v25, 3, v14
	v_bfe_u32 v45, v14, 2, 5
	v_lshlrev_b32_e32 v46, 24, v14
	v_ffbh_u32_e32 v43, v25
	v_cmp_eq_u32_e32 vcc_lo, 0, v45
	v_min_u32_e32 v43, 32, v43
	v_subrev_nc_u32_e32 v44, 29, v43
	v_sub_nc_u32_e32 v43, 30, v43
	v_lshlrev_b32_e32 v44, v44, v14
	v_cndmask_b32_e32 v43, v45, v43, vcc_lo
	v_and_b32_e32 v44, 3, v44
	v_lshl_add_u32 v43, v43, 23, 0x37800000
	v_cndmask_b32_e32 v25, v25, v44, vcc_lo
	v_and_b32_e32 v44, 0x80000000, v46
	v_lshlrev_b32_e32 v25, 21, v25
	v_or3_b32 v25, v44, v43, v25
.LBB4_3763:                             ;   in Loop: Header=BB4_3166 Depth=2
	s_or_b32 exec_lo, exec_lo, s28
	s_waitcnt vmcnt(0)
	v_cmp_gt_i16_sdwa s28, v10, v100 src0_sel:BYTE_0 src1_sel:DWORD
	s_mov_b32 s12, 0
	s_and_saveexec_b32 s29, s28
	s_xor_b32 s28, exec_lo, s29
	s_cbranch_execz .LBB4_4450
; %bb.3764:                             ;   in Loop: Header=BB4_3166 Depth=2
	v_cmp_eq_u16_sdwa s40, v10, v101 src0_sel:BYTE_0 src1_sel:DWORD
	s_mov_b32 s12, -1
	s_and_saveexec_b32 s29, s40
; %bb.3765:                             ;   in Loop: Header=BB4_3166 Depth=2
	s_xor_b32 s12, exec_lo, -1
; %bb.3766:                             ;   in Loop: Header=BB4_3166 Depth=2
	s_or_b32 exec_lo, exec_lo, s29
	s_and_b32 s12, s12, exec_lo
	s_or_saveexec_b32 s28, s28
	v_mov_b32_e32 v43, 0x7f800001
	s_xor_b32 exec_lo, exec_lo, s28
	s_cbranch_execnz .LBB4_4451
.LBB4_3767:                             ;   in Loop: Header=BB4_3166 Depth=2
	s_or_b32 exec_lo, exec_lo, s28
	s_and_saveexec_b32 s28, s12
	s_cbranch_execz .LBB4_3769
.LBB4_3768:                             ;   in Loop: Header=BB4_3166 Depth=2
	v_and_b32_e32 v43, 3, v10
	v_bfe_u32 v46, v10, 2, 5
	v_lshlrev_b32_e32 v47, 24, v10
	v_ffbh_u32_e32 v44, v43
	v_cmp_eq_u32_e32 vcc_lo, 0, v46
	v_min_u32_e32 v44, 32, v44
	v_subrev_nc_u32_e32 v45, 29, v44
	v_sub_nc_u32_e32 v44, 30, v44
	v_lshlrev_b32_e32 v45, v45, v10
	v_cndmask_b32_e32 v44, v46, v44, vcc_lo
	v_and_b32_e32 v45, 3, v45
	v_lshl_add_u32 v44, v44, 23, 0x37800000
	v_cndmask_b32_e32 v43, v43, v45, vcc_lo
	v_and_b32_e32 v45, 0x80000000, v47
	v_lshlrev_b32_e32 v43, 21, v43
	v_or3_b32 v43, v45, v44, v43
.LBB4_3769:                             ;   in Loop: Header=BB4_3166 Depth=2
	s_or_b32 exec_lo, exec_lo, s28
	v_max_f32_e32 v43, v43, v43
	v_max_f32_e32 v25, v25, v25
	v_min_f32_e32 v43, v25, v43
.LBB4_3770:                             ;   in Loop: Header=BB4_3166 Depth=2
	v_and_b32_e32 v25, 0x7f800000, v43
	v_cmp_ne_u32_e32 vcc_lo, 0x7f800000, v25
	v_mov_b32_e32 v25, 0x80
	s_and_saveexec_b32 s28, vcc_lo
	s_cbranch_execz .LBB4_3778
; %bb.3771:                             ;   in Loop: Header=BB4_3166 Depth=2
	v_mov_b32_e32 v25, 0
	s_mov_b32 s29, exec_lo
	v_cmpx_ne_u32_e32 0, v43
	s_cbranch_execz .LBB4_3777
; %bb.3772:                             ;   in Loop: Header=BB4_3166 Depth=2
	v_bfe_u32 v25, v43, 23, 8
	v_and_b32_e32 v44, 0x7fffff, v43
	v_sub_nc_u32_e32 v45, 0x70, v25
	v_cmp_gt_u32_e32 vcc_lo, 0x71, v25
	v_or_b32_e32 v46, 0x800000, v44
	v_cndmask_b32_e32 v45, 0, v45, vcc_lo
	v_cmp_eq_u32_e32 vcc_lo, 0, v25
	v_add_nc_u32_e32 v25, 0xffffff91, v25
	v_cndmask_b32_e64 v45, v45, 0x6f, vcc_lo
	v_cndmask_b32_e32 v44, v46, v44, vcc_lo
	v_cndmask_b32_e64 v25, v25, 0xffffff92, vcc_lo
	v_lshl_add_u32 v46, 0x200000, v45, -1
	v_lshrrev_b32_e32 v47, v45, v44
	v_lshlrev_b32_e64 v57, v45, 0x100000
	v_add_nc_u32_e32 v45, v45, v25
	v_and_b32_e32 v44, v46, v44
	v_bfe_u32 v56, v47, 21, 1
	v_cmp_eq_u32_e64 s12, v44, v57
	v_add_nc_u32_e32 v46, -1, v56
	v_cndmask_b32_e64 v44, 0, v46, s12
	v_lshrrev_b32_e32 v46, 23, v47
	s_mov_b32 s12, exec_lo
	v_add_nc_u32_e32 v44, v44, v47
	v_xor_b32_e32 v46, 1, v46
	v_and_b32_e32 v25, 0x1fffff, v44
	v_add_nc_u32_e32 v44, v25, v47
                                        ; implicit-def: $vgpr25
	v_cmpx_ne_u32_e64 v45, v46
	s_xor_b32 s12, exec_lo, s12
; %bb.3773:                             ;   in Loop: Header=BB4_3166 Depth=2
	v_cmp_lt_u32_e32 vcc_lo, 0xffffff, v44
	v_sub_nc_u32_e32 v25, v45, v46
	v_cndmask_b32_e64 v45, 0, 1, vcc_lo
	v_add_co_ci_u32_e64 v25, null, 0, v25, vcc_lo
	v_lshrrev_b32_e32 v44, v45, v44
; %bb.3774:                             ;   in Loop: Header=BB4_3166 Depth=2
	s_andn2_saveexec_b32 s12, s12
; %bb.3775:                             ;   in Loop: Header=BB4_3166 Depth=2
	v_bfe_u32 v25, v44, 23, 1
; %bb.3776:                             ;   in Loop: Header=BB4_3166 Depth=2
	s_or_b32 exec_lo, exec_lo, s12
	v_lshrrev_b32_e32 v44, 21, v44
	v_min_i32_e32 v45, 31, v25
	v_cmp_gt_i32_e32 vcc_lo, 32, v25
	v_and_b32_sdwa v43, v43, v101 dst_sel:DWORD dst_unused:UNUSED_PAD src0_sel:BYTE_3 src1_sel:DWORD
	v_lshlrev_b32_e32 v45, 2, v45
	v_cndmask_b32_e32 v44, 3, v44, vcc_lo
	v_and_b32_e32 v45, 0xfc, v45
	v_and_b32_e32 v46, 3, v44
	v_or_b32_e32 v25, v25, v44
	v_or3_b32 v43, v45, v43, v46
	v_cmp_ne_u32_e32 vcc_lo, 0, v25
	v_cndmask_b32_e32 v25, 0, v43, vcc_lo
.LBB4_3777:                             ;   in Loop: Header=BB4_3166 Depth=2
	s_or_b32 exec_lo, exec_lo, s29
.LBB4_3778:                             ;   in Loop: Header=BB4_3166 Depth=2
	s_or_b32 exec_lo, exec_lo, s28
	v_cmp_gt_i16_sdwa s28, v14, v100 src0_sel:BYTE_1 src1_sel:DWORD
	s_andn2_b32 vcc_lo, exec_lo, s27
	s_mov_b32 s12, -1
                                        ; implicit-def: $vgpr44
	s_cbranch_vccnz .LBB4_3792
; %bb.3779:                             ;   in Loop: Header=BB4_3166 Depth=2
	s_mov_b32 s12, 0
	s_and_saveexec_b32 s29, s28
	s_xor_b32 s28, exec_lo, s29
	s_cbranch_execz .LBB4_4452
; %bb.3780:                             ;   in Loop: Header=BB4_3166 Depth=2
	v_cmp_eq_u16_sdwa s40, v14, v101 src0_sel:BYTE_1 src1_sel:DWORD
	s_mov_b32 s12, -1
	s_and_saveexec_b32 s29, s40
; %bb.3781:                             ;   in Loop: Header=BB4_3166 Depth=2
	s_xor_b32 s12, exec_lo, -1
; %bb.3782:                             ;   in Loop: Header=BB4_3166 Depth=2
	s_or_b32 exec_lo, exec_lo, s29
	s_and_b32 s12, s12, exec_lo
	s_or_saveexec_b32 s28, s28
	v_mov_b32_e32 v43, 0x7f800001
	s_xor_b32 exec_lo, exec_lo, s28
	s_cbranch_execnz .LBB4_4453
.LBB4_3783:                             ;   in Loop: Header=BB4_3166 Depth=2
	s_or_b32 exec_lo, exec_lo, s28
	s_and_saveexec_b32 s28, s12
	s_cbranch_execz .LBB4_3785
.LBB4_3784:                             ;   in Loop: Header=BB4_3166 Depth=2
	v_and_b32_sdwa v43, v102, v14 dst_sel:DWORD dst_unused:UNUSED_PAD src0_sel:DWORD src1_sel:BYTE_1
	v_and_b32_e32 v44, 3, v43
	v_bfe_u32 v47, v43, 2, 5
	v_ffbh_u32_e32 v45, v44
	v_cmp_eq_u32_e32 vcc_lo, 0, v47
	v_min_u32_e32 v45, 32, v45
	v_subrev_nc_u32_e32 v46, 29, v45
	v_sub_nc_u32_e32 v45, 30, v45
	v_lshlrev_b32_e32 v43, v46, v43
	v_lshlrev_b32_e32 v46, 16, v14
	v_cndmask_b32_e32 v45, v47, v45, vcc_lo
	v_and_b32_e32 v43, 3, v43
	v_lshl_add_u32 v45, v45, 23, 0x37800000
	v_cndmask_b32_e32 v43, v44, v43, vcc_lo
	v_and_b32_e32 v44, 0x80000000, v46
	v_lshlrev_b32_e32 v43, 21, v43
	v_or3_b32 v43, v44, v45, v43
.LBB4_3785:                             ;   in Loop: Header=BB4_3166 Depth=2
	s_or_b32 exec_lo, exec_lo, s28
	s_waitcnt vmcnt(0)
	v_cmp_gt_i16_sdwa s28, v10, v100 src0_sel:BYTE_1 src1_sel:DWORD
	s_mov_b32 s12, 0
	s_and_saveexec_b32 s29, s28
	s_xor_b32 s28, exec_lo, s29
	s_cbranch_execz .LBB4_4454
; %bb.3786:                             ;   in Loop: Header=BB4_3166 Depth=2
	v_cmp_eq_u16_sdwa s40, v10, v101 src0_sel:BYTE_1 src1_sel:DWORD
	s_mov_b32 s12, -1
	s_and_saveexec_b32 s29, s40
; %bb.3787:                             ;   in Loop: Header=BB4_3166 Depth=2
	s_xor_b32 s12, exec_lo, -1
; %bb.3788:                             ;   in Loop: Header=BB4_3166 Depth=2
	s_or_b32 exec_lo, exec_lo, s29
	s_and_b32 s12, s12, exec_lo
	s_or_saveexec_b32 s28, s28
	v_mov_b32_e32 v44, 0x7f800001
	s_xor_b32 exec_lo, exec_lo, s28
	s_cbranch_execnz .LBB4_4455
.LBB4_3789:                             ;   in Loop: Header=BB4_3166 Depth=2
	s_or_b32 exec_lo, exec_lo, s28
	s_and_saveexec_b32 s28, s12
	s_cbranch_execz .LBB4_3791
.LBB4_3790:                             ;   in Loop: Header=BB4_3166 Depth=2
	v_and_b32_sdwa v44, v102, v10 dst_sel:DWORD dst_unused:UNUSED_PAD src0_sel:DWORD src1_sel:BYTE_1
	v_and_b32_e32 v45, 3, v44
	v_bfe_u32 v56, v44, 2, 5
	v_ffbh_u32_e32 v46, v45
	v_cmp_eq_u32_e32 vcc_lo, 0, v56
	v_min_u32_e32 v46, 32, v46
	v_subrev_nc_u32_e32 v47, 29, v46
	v_sub_nc_u32_e32 v46, 30, v46
	v_lshlrev_b32_e32 v44, v47, v44
	v_lshlrev_b32_e32 v47, 16, v10
	v_cndmask_b32_e32 v46, v56, v46, vcc_lo
	v_and_b32_e32 v44, 3, v44
	v_lshl_add_u32 v46, v46, 23, 0x37800000
	v_cndmask_b32_e32 v44, v45, v44, vcc_lo
	v_and_b32_e32 v45, 0x80000000, v47
	v_lshlrev_b32_e32 v44, 21, v44
	v_or3_b32 v44, v45, v46, v44
.LBB4_3791:                             ;   in Loop: Header=BB4_3166 Depth=2
	s_or_b32 exec_lo, exec_lo, s28
	v_max_f32_e32 v44, v44, v44
	v_max_f32_e32 v43, v43, v43
	s_mov_b32 s12, 0
	v_max_f32_e32 v44, v43, v44
.LBB4_3792:                             ;   in Loop: Header=BB4_3166 Depth=2
	s_and_b32 vcc_lo, exec_lo, s12
	s_cbranch_vccz .LBB4_3806
; %bb.3793:                             ;   in Loop: Header=BB4_3166 Depth=2
	v_cmp_gt_i16_sdwa s28, v14, v100 src0_sel:BYTE_1 src1_sel:DWORD
	s_mov_b32 s12, 0
	s_and_saveexec_b32 s29, s28
	s_xor_b32 s28, exec_lo, s29
	s_cbranch_execz .LBB4_4456
; %bb.3794:                             ;   in Loop: Header=BB4_3166 Depth=2
	v_cmp_eq_u16_sdwa s40, v14, v101 src0_sel:BYTE_1 src1_sel:DWORD
	s_mov_b32 s12, -1
	s_and_saveexec_b32 s29, s40
; %bb.3795:                             ;   in Loop: Header=BB4_3166 Depth=2
	s_xor_b32 s12, exec_lo, -1
; %bb.3796:                             ;   in Loop: Header=BB4_3166 Depth=2
	s_or_b32 exec_lo, exec_lo, s29
	s_and_b32 s12, s12, exec_lo
	s_or_saveexec_b32 s28, s28
	v_mov_b32_e32 v43, 0x7f800001
	s_xor_b32 exec_lo, exec_lo, s28
	s_cbranch_execnz .LBB4_4457
.LBB4_3797:                             ;   in Loop: Header=BB4_3166 Depth=2
	s_or_b32 exec_lo, exec_lo, s28
	s_and_saveexec_b32 s28, s12
	s_cbranch_execz .LBB4_3799
.LBB4_3798:                             ;   in Loop: Header=BB4_3166 Depth=2
	v_and_b32_sdwa v43, v102, v14 dst_sel:DWORD dst_unused:UNUSED_PAD src0_sel:DWORD src1_sel:BYTE_1
	v_and_b32_e32 v44, 3, v43
	v_bfe_u32 v47, v43, 2, 5
	v_ffbh_u32_e32 v45, v44
	v_cmp_eq_u32_e32 vcc_lo, 0, v47
	v_min_u32_e32 v45, 32, v45
	v_subrev_nc_u32_e32 v46, 29, v45
	v_sub_nc_u32_e32 v45, 30, v45
	v_lshlrev_b32_e32 v43, v46, v43
	v_lshlrev_b32_e32 v46, 16, v14
	v_cndmask_b32_e32 v45, v47, v45, vcc_lo
	v_and_b32_e32 v43, 3, v43
	v_lshl_add_u32 v45, v45, 23, 0x37800000
	v_cndmask_b32_e32 v43, v44, v43, vcc_lo
	v_and_b32_e32 v44, 0x80000000, v46
	v_lshlrev_b32_e32 v43, 21, v43
	v_or3_b32 v43, v44, v45, v43
.LBB4_3799:                             ;   in Loop: Header=BB4_3166 Depth=2
	s_or_b32 exec_lo, exec_lo, s28
	s_waitcnt vmcnt(0)
	v_cmp_gt_i16_sdwa s28, v10, v100 src0_sel:BYTE_1 src1_sel:DWORD
	s_mov_b32 s12, 0
	s_and_saveexec_b32 s29, s28
	s_xor_b32 s28, exec_lo, s29
	s_cbranch_execz .LBB4_4458
; %bb.3800:                             ;   in Loop: Header=BB4_3166 Depth=2
	v_cmp_eq_u16_sdwa s40, v10, v101 src0_sel:BYTE_1 src1_sel:DWORD
	s_mov_b32 s12, -1
	s_and_saveexec_b32 s29, s40
; %bb.3801:                             ;   in Loop: Header=BB4_3166 Depth=2
	s_xor_b32 s12, exec_lo, -1
; %bb.3802:                             ;   in Loop: Header=BB4_3166 Depth=2
	s_or_b32 exec_lo, exec_lo, s29
	s_and_b32 s12, s12, exec_lo
	s_or_saveexec_b32 s28, s28
	v_mov_b32_e32 v44, 0x7f800001
	s_xor_b32 exec_lo, exec_lo, s28
	s_cbranch_execnz .LBB4_4459
.LBB4_3803:                             ;   in Loop: Header=BB4_3166 Depth=2
	s_or_b32 exec_lo, exec_lo, s28
	s_and_saveexec_b32 s28, s12
	s_cbranch_execz .LBB4_3805
.LBB4_3804:                             ;   in Loop: Header=BB4_3166 Depth=2
	v_and_b32_sdwa v44, v102, v10 dst_sel:DWORD dst_unused:UNUSED_PAD src0_sel:DWORD src1_sel:BYTE_1
	v_and_b32_e32 v45, 3, v44
	v_bfe_u32 v56, v44, 2, 5
	v_ffbh_u32_e32 v46, v45
	v_cmp_eq_u32_e32 vcc_lo, 0, v56
	v_min_u32_e32 v46, 32, v46
	v_subrev_nc_u32_e32 v47, 29, v46
	v_sub_nc_u32_e32 v46, 30, v46
	v_lshlrev_b32_e32 v44, v47, v44
	v_lshlrev_b32_e32 v47, 16, v10
	v_cndmask_b32_e32 v46, v56, v46, vcc_lo
	v_and_b32_e32 v44, 3, v44
	v_lshl_add_u32 v46, v46, 23, 0x37800000
	v_cndmask_b32_e32 v44, v45, v44, vcc_lo
	v_and_b32_e32 v45, 0x80000000, v47
	v_lshlrev_b32_e32 v44, 21, v44
	v_or3_b32 v44, v45, v46, v44
.LBB4_3805:                             ;   in Loop: Header=BB4_3166 Depth=2
	s_or_b32 exec_lo, exec_lo, s28
	v_max_f32_e32 v44, v44, v44
	v_max_f32_e32 v43, v43, v43
	v_min_f32_e32 v44, v43, v44
.LBB4_3806:                             ;   in Loop: Header=BB4_3166 Depth=2
	v_and_b32_e32 v43, 0x7f800000, v44
	v_cmp_ne_u32_e32 vcc_lo, 0x7f800000, v43
	v_mov_b32_e32 v43, 0x8000
	s_and_saveexec_b32 s28, vcc_lo
	s_cbranch_execz .LBB4_3814
; %bb.3807:                             ;   in Loop: Header=BB4_3166 Depth=2
	v_mov_b32_e32 v43, 0
	s_mov_b32 s29, exec_lo
	v_cmpx_ne_u32_e32 0, v44
	s_cbranch_execz .LBB4_3813
; %bb.3808:                             ;   in Loop: Header=BB4_3166 Depth=2
	v_bfe_u32 v43, v44, 23, 8
	v_and_b32_e32 v45, 0x7fffff, v44
	v_sub_nc_u32_e32 v46, 0x70, v43
	v_cmp_gt_u32_e32 vcc_lo, 0x71, v43
	v_or_b32_e32 v47, 0x800000, v45
	v_cndmask_b32_e32 v46, 0, v46, vcc_lo
	v_cmp_eq_u32_e32 vcc_lo, 0, v43
	v_add_nc_u32_e32 v43, 0xffffff91, v43
	v_cndmask_b32_e64 v46, v46, 0x6f, vcc_lo
	v_cndmask_b32_e32 v45, v47, v45, vcc_lo
	v_cndmask_b32_e64 v43, v43, 0xffffff92, vcc_lo
	v_lshl_add_u32 v47, 0x200000, v46, -1
	v_lshrrev_b32_e32 v56, v46, v45
	v_lshlrev_b32_e64 v58, v46, 0x100000
	v_add_nc_u32_e32 v46, v46, v43
	v_and_b32_e32 v45, v47, v45
	v_bfe_u32 v57, v56, 21, 1
	v_cmp_eq_u32_e64 s12, v45, v58
	v_add_nc_u32_e32 v47, -1, v57
	v_cndmask_b32_e64 v45, 0, v47, s12
	v_lshrrev_b32_e32 v47, 23, v56
	s_mov_b32 s12, exec_lo
	v_add_nc_u32_e32 v45, v45, v56
	v_xor_b32_e32 v47, 1, v47
	v_and_b32_e32 v43, 0x1fffff, v45
	v_add_nc_u32_e32 v45, v43, v56
                                        ; implicit-def: $vgpr43
	v_cmpx_ne_u32_e64 v46, v47
	s_xor_b32 s12, exec_lo, s12
; %bb.3809:                             ;   in Loop: Header=BB4_3166 Depth=2
	v_cmp_lt_u32_e32 vcc_lo, 0xffffff, v45
	v_sub_nc_u32_e32 v43, v46, v47
	v_cndmask_b32_e64 v46, 0, 1, vcc_lo
	v_add_co_ci_u32_e64 v43, null, 0, v43, vcc_lo
	v_lshrrev_b32_e32 v45, v46, v45
; %bb.3810:                             ;   in Loop: Header=BB4_3166 Depth=2
	s_andn2_saveexec_b32 s12, s12
; %bb.3811:                             ;   in Loop: Header=BB4_3166 Depth=2
	v_bfe_u32 v43, v45, 23, 1
; %bb.3812:                             ;   in Loop: Header=BB4_3166 Depth=2
	s_or_b32 exec_lo, exec_lo, s12
	v_lshrrev_b32_e32 v45, 21, v45
	v_min_i32_e32 v46, 31, v43
	v_cmp_gt_i32_e32 vcc_lo, 32, v43
	v_and_b32_sdwa v44, v44, v101 dst_sel:DWORD dst_unused:UNUSED_PAD src0_sel:BYTE_3 src1_sel:DWORD
	v_lshlrev_b32_e32 v46, 2, v46
	v_cndmask_b32_e32 v45, 3, v45, vcc_lo
	v_and_b32_e32 v46, 0xfc, v46
	v_and_b32_e32 v47, 3, v45
	v_or_b32_e32 v43, v43, v45
	v_or3_b32 v44, v44, v46, v47
	v_cmp_ne_u32_e32 vcc_lo, 0, v43
	v_lshlrev_b32_e32 v44, 8, v44
	v_cndmask_b32_e32 v43, 0, v44, vcc_lo
.LBB4_3813:                             ;   in Loop: Header=BB4_3166 Depth=2
	s_or_b32 exec_lo, exec_lo, s29
.LBB4_3814:                             ;   in Loop: Header=BB4_3166 Depth=2
	s_or_b32 exec_lo, exec_lo, s28
	v_and_b32_sdwa v44, v14, v103 dst_sel:DWORD dst_unused:UNUSED_PAD src0_sel:WORD_1 src1_sel:DWORD
	s_andn2_b32 vcc_lo, exec_lo, s27
	s_mov_b32 s28, -1
                                        ; implicit-def: $vgpr45
	v_cmp_lt_i16_e64 s12, 0x7f, v44
	s_cbranch_vccnz .LBB4_3828
; %bb.3815:                             ;   in Loop: Header=BB4_3166 Depth=2
	s_mov_b32 s28, 0
	s_and_saveexec_b32 s29, s12
	s_xor_b32 s12, exec_lo, s29
	s_cbranch_execz .LBB4_4460
; %bb.3816:                             ;   in Loop: Header=BB4_3166 Depth=2
	s_mov_b32 s28, -1
	s_mov_b32 s29, exec_lo
	v_cmpx_eq_u16_e32 0x80, v44
; %bb.3817:                             ;   in Loop: Header=BB4_3166 Depth=2
	s_xor_b32 s28, exec_lo, -1
; %bb.3818:                             ;   in Loop: Header=BB4_3166 Depth=2
	s_or_b32 exec_lo, exec_lo, s29
	s_and_b32 s28, s28, exec_lo
	s_or_saveexec_b32 s12, s12
	v_mov_b32_e32 v45, 0x7f800001
	s_xor_b32 exec_lo, exec_lo, s12
	s_cbranch_execnz .LBB4_4461
.LBB4_3819:                             ;   in Loop: Header=BB4_3166 Depth=2
	s_or_b32 exec_lo, exec_lo, s12
	s_and_saveexec_b32 s12, s28
	s_cbranch_execz .LBB4_3821
.LBB4_3820:                             ;   in Loop: Header=BB4_3166 Depth=2
	v_bfe_u32 v45, v14, 16, 2
	v_bfe_u32 v56, v14, 18, 5
	v_lshlrev_b32_sdwa v57, v112, v14 dst_sel:DWORD dst_unused:UNUSED_PAD src0_sel:DWORD src1_sel:WORD_1
	v_ffbh_u32_e32 v46, v45
	v_cmp_eq_u32_e32 vcc_lo, 0, v56
	v_min_u32_e32 v46, 32, v46
	v_subrev_nc_u32_e32 v47, 29, v46
	v_sub_nc_u32_e32 v46, 30, v46
	v_lshlrev_b32_sdwa v47, v47, v14 dst_sel:DWORD dst_unused:UNUSED_PAD src0_sel:DWORD src1_sel:WORD_1
	v_cndmask_b32_e32 v46, v56, v46, vcc_lo
	v_and_b32_e32 v47, 3, v47
	v_lshl_add_u32 v46, v46, 23, 0x37800000
	v_cndmask_b32_e32 v45, v45, v47, vcc_lo
	v_and_b32_e32 v47, 0x80000000, v57
	v_lshlrev_b32_e32 v45, 21, v45
	v_or3_b32 v45, v47, v46, v45
.LBB4_3821:                             ;   in Loop: Header=BB4_3166 Depth=2
	s_or_b32 exec_lo, exec_lo, s12
	s_waitcnt vmcnt(0)
	v_and_b32_sdwa v47, v10, v103 dst_sel:DWORD dst_unused:UNUSED_PAD src0_sel:WORD_1 src1_sel:DWORD
	s_mov_b32 s12, 0
	s_mov_b32 s28, exec_lo
	v_cmpx_lt_i16_e32 0x7f, v47
	s_xor_b32 s28, exec_lo, s28
	s_cbranch_execz .LBB4_4462
; %bb.3822:                             ;   in Loop: Header=BB4_3166 Depth=2
	s_mov_b32 s12, -1
	s_mov_b32 s29, exec_lo
	v_cmpx_eq_u16_e32 0x80, v47
; %bb.3823:                             ;   in Loop: Header=BB4_3166 Depth=2
	s_xor_b32 s12, exec_lo, -1
; %bb.3824:                             ;   in Loop: Header=BB4_3166 Depth=2
	s_or_b32 exec_lo, exec_lo, s29
	s_and_b32 s12, s12, exec_lo
                                        ; implicit-def: $vgpr47
	s_or_saveexec_b32 s28, s28
	v_mov_b32_e32 v46, 0x7f800001
	s_xor_b32 exec_lo, exec_lo, s28
	s_cbranch_execnz .LBB4_4463
.LBB4_3825:                             ;   in Loop: Header=BB4_3166 Depth=2
	s_or_b32 exec_lo, exec_lo, s28
	s_and_saveexec_b32 s28, s12
	s_cbranch_execz .LBB4_3827
.LBB4_3826:                             ;   in Loop: Header=BB4_3166 Depth=2
	v_bfe_u32 v46, v10, 16, 2
	v_bfe_u32 v57, v10, 18, 5
	v_lshlrev_b32_sdwa v58, v112, v10 dst_sel:DWORD dst_unused:UNUSED_PAD src0_sel:DWORD src1_sel:WORD_1
	v_ffbh_u32_e32 v47, v46
	v_cmp_eq_u32_e32 vcc_lo, 0, v57
	v_min_u32_e32 v47, 32, v47
	v_subrev_nc_u32_e32 v56, 29, v47
	v_sub_nc_u32_e32 v47, 30, v47
	v_lshlrev_b32_sdwa v56, v56, v10 dst_sel:DWORD dst_unused:UNUSED_PAD src0_sel:DWORD src1_sel:WORD_1
	v_cndmask_b32_e32 v47, v57, v47, vcc_lo
	v_and_b32_e32 v56, 3, v56
	v_lshl_add_u32 v47, v47, 23, 0x37800000
	v_cndmask_b32_e32 v46, v46, v56, vcc_lo
	v_and_b32_e32 v56, 0x80000000, v58
	v_lshlrev_b32_e32 v46, 21, v46
	v_or3_b32 v46, v56, v47, v46
.LBB4_3827:                             ;   in Loop: Header=BB4_3166 Depth=2
	s_or_b32 exec_lo, exec_lo, s28
	v_max_f32_e32 v46, v46, v46
	v_max_f32_e32 v45, v45, v45
	s_mov_b32 s28, 0
	v_max_f32_e32 v45, v45, v46
.LBB4_3828:                             ;   in Loop: Header=BB4_3166 Depth=2
	s_and_b32 vcc_lo, exec_lo, s28
	s_cbranch_vccz .LBB4_3842
; %bb.3829:                             ;   in Loop: Header=BB4_3166 Depth=2
	s_mov_b32 s12, 0
	s_mov_b32 s28, exec_lo
	v_cmpx_lt_i16_e32 0x7f, v44
	s_xor_b32 s28, exec_lo, s28
	s_cbranch_execz .LBB4_4464
; %bb.3830:                             ;   in Loop: Header=BB4_3166 Depth=2
	s_mov_b32 s12, -1
	s_mov_b32 s29, exec_lo
	v_cmpx_eq_u16_e32 0x80, v44
; %bb.3831:                             ;   in Loop: Header=BB4_3166 Depth=2
	s_xor_b32 s12, exec_lo, -1
; %bb.3832:                             ;   in Loop: Header=BB4_3166 Depth=2
	s_or_b32 exec_lo, exec_lo, s29
	s_and_b32 s12, s12, exec_lo
                                        ; implicit-def: $vgpr44
	s_or_saveexec_b32 s28, s28
	v_mov_b32_e32 v45, 0x7f800001
	s_xor_b32 exec_lo, exec_lo, s28
	s_cbranch_execnz .LBB4_4465
.LBB4_3833:                             ;   in Loop: Header=BB4_3166 Depth=2
	s_or_b32 exec_lo, exec_lo, s28
	s_and_saveexec_b32 s28, s12
	s_cbranch_execz .LBB4_3835
.LBB4_3834:                             ;   in Loop: Header=BB4_3166 Depth=2
	v_bfe_u32 v44, v14, 16, 2
	v_bfe_u32 v47, v14, 18, 5
	v_lshlrev_b32_sdwa v56, v112, v14 dst_sel:DWORD dst_unused:UNUSED_PAD src0_sel:DWORD src1_sel:WORD_1
	v_ffbh_u32_e32 v45, v44
	v_cmp_eq_u32_e32 vcc_lo, 0, v47
	v_min_u32_e32 v45, 32, v45
	v_subrev_nc_u32_e32 v46, 29, v45
	v_sub_nc_u32_e32 v45, 30, v45
	v_lshlrev_b32_sdwa v46, v46, v14 dst_sel:DWORD dst_unused:UNUSED_PAD src0_sel:DWORD src1_sel:WORD_1
	v_cndmask_b32_e32 v45, v47, v45, vcc_lo
	v_and_b32_e32 v46, 3, v46
	v_lshl_add_u32 v45, v45, 23, 0x37800000
	v_cndmask_b32_e32 v44, v44, v46, vcc_lo
	v_and_b32_e32 v46, 0x80000000, v56
	v_lshlrev_b32_e32 v44, 21, v44
	v_or3_b32 v45, v46, v45, v44
.LBB4_3835:                             ;   in Loop: Header=BB4_3166 Depth=2
	s_or_b32 exec_lo, exec_lo, s28
	s_waitcnt vmcnt(0)
	v_and_b32_sdwa v46, v10, v103 dst_sel:DWORD dst_unused:UNUSED_PAD src0_sel:WORD_1 src1_sel:DWORD
	s_mov_b32 s12, 0
	s_mov_b32 s28, exec_lo
	v_cmpx_lt_i16_e32 0x7f, v46
	s_xor_b32 s28, exec_lo, s28
	s_cbranch_execz .LBB4_4466
; %bb.3836:                             ;   in Loop: Header=BB4_3166 Depth=2
	s_mov_b32 s12, -1
	s_mov_b32 s29, exec_lo
	v_cmpx_eq_u16_e32 0x80, v46
; %bb.3837:                             ;   in Loop: Header=BB4_3166 Depth=2
	s_xor_b32 s12, exec_lo, -1
; %bb.3838:                             ;   in Loop: Header=BB4_3166 Depth=2
	s_or_b32 exec_lo, exec_lo, s29
	s_and_b32 s12, s12, exec_lo
                                        ; implicit-def: $vgpr46
	s_or_saveexec_b32 s28, s28
	v_mov_b32_e32 v44, 0x7f800001
	s_xor_b32 exec_lo, exec_lo, s28
	s_cbranch_execnz .LBB4_4467
.LBB4_3839:                             ;   in Loop: Header=BB4_3166 Depth=2
	s_or_b32 exec_lo, exec_lo, s28
	s_and_saveexec_b32 s28, s12
	s_cbranch_execz .LBB4_3841
.LBB4_3840:                             ;   in Loop: Header=BB4_3166 Depth=2
	v_bfe_u32 v44, v10, 16, 2
	v_bfe_u32 v56, v10, 18, 5
	v_lshlrev_b32_sdwa v57, v112, v10 dst_sel:DWORD dst_unused:UNUSED_PAD src0_sel:DWORD src1_sel:WORD_1
	v_ffbh_u32_e32 v46, v44
	v_cmp_eq_u32_e32 vcc_lo, 0, v56
	v_min_u32_e32 v46, 32, v46
	v_subrev_nc_u32_e32 v47, 29, v46
	v_sub_nc_u32_e32 v46, 30, v46
	v_lshlrev_b32_sdwa v47, v47, v10 dst_sel:DWORD dst_unused:UNUSED_PAD src0_sel:DWORD src1_sel:WORD_1
	v_cndmask_b32_e32 v46, v56, v46, vcc_lo
	v_and_b32_e32 v47, 3, v47
	v_lshl_add_u32 v46, v46, 23, 0x37800000
	v_cndmask_b32_e32 v44, v44, v47, vcc_lo
	v_and_b32_e32 v47, 0x80000000, v57
	v_lshlrev_b32_e32 v44, 21, v44
	v_or3_b32 v44, v47, v46, v44
.LBB4_3841:                             ;   in Loop: Header=BB4_3166 Depth=2
	s_or_b32 exec_lo, exec_lo, s28
	v_max_f32_e32 v44, v44, v44
	v_max_f32_e32 v45, v45, v45
	v_min_f32_e32 v45, v45, v44
.LBB4_3842:                             ;   in Loop: Header=BB4_3166 Depth=2
	v_and_b32_e32 v44, 0x7f800000, v45
	v_cmp_ne_u32_e32 vcc_lo, 0x7f800000, v44
	v_mov_b32_e32 v44, 0x80
	s_and_saveexec_b32 s28, vcc_lo
	s_cbranch_execz .LBB4_3850
; %bb.3843:                             ;   in Loop: Header=BB4_3166 Depth=2
	v_mov_b32_e32 v44, 0
	s_mov_b32 s29, exec_lo
	v_cmpx_ne_u32_e32 0, v45
	s_cbranch_execz .LBB4_3849
; %bb.3844:                             ;   in Loop: Header=BB4_3166 Depth=2
	v_bfe_u32 v44, v45, 23, 8
	v_and_b32_e32 v46, 0x7fffff, v45
	v_sub_nc_u32_e32 v47, 0x70, v44
	v_cmp_gt_u32_e32 vcc_lo, 0x71, v44
	v_or_b32_e32 v56, 0x800000, v46
	v_cndmask_b32_e32 v47, 0, v47, vcc_lo
	v_cmp_eq_u32_e32 vcc_lo, 0, v44
	v_add_nc_u32_e32 v44, 0xffffff91, v44
	v_cndmask_b32_e64 v47, v47, 0x6f, vcc_lo
	v_cndmask_b32_e32 v46, v56, v46, vcc_lo
	v_cndmask_b32_e64 v44, v44, 0xffffff92, vcc_lo
	v_lshl_add_u32 v56, 0x200000, v47, -1
	v_lshrrev_b32_e32 v57, v47, v46
	v_lshlrev_b32_e64 v59, v47, 0x100000
	v_add_nc_u32_e32 v47, v47, v44
	v_and_b32_e32 v46, v56, v46
	v_bfe_u32 v58, v57, 21, 1
	v_cmp_eq_u32_e64 s12, v46, v59
	v_add_nc_u32_e32 v56, -1, v58
	v_cndmask_b32_e64 v46, 0, v56, s12
	v_lshrrev_b32_e32 v56, 23, v57
	s_mov_b32 s12, exec_lo
	v_add_nc_u32_e32 v46, v46, v57
	v_xor_b32_e32 v56, 1, v56
	v_and_b32_e32 v44, 0x1fffff, v46
	v_add_nc_u32_e32 v46, v44, v57
                                        ; implicit-def: $vgpr44
	v_cmpx_ne_u32_e64 v47, v56
	s_xor_b32 s12, exec_lo, s12
; %bb.3845:                             ;   in Loop: Header=BB4_3166 Depth=2
	v_cmp_lt_u32_e32 vcc_lo, 0xffffff, v46
	v_sub_nc_u32_e32 v44, v47, v56
	v_cndmask_b32_e64 v47, 0, 1, vcc_lo
	v_add_co_ci_u32_e64 v44, null, 0, v44, vcc_lo
	v_lshrrev_b32_e32 v46, v47, v46
; %bb.3846:                             ;   in Loop: Header=BB4_3166 Depth=2
	s_andn2_saveexec_b32 s12, s12
; %bb.3847:                             ;   in Loop: Header=BB4_3166 Depth=2
	v_bfe_u32 v44, v46, 23, 1
; %bb.3848:                             ;   in Loop: Header=BB4_3166 Depth=2
	s_or_b32 exec_lo, exec_lo, s12
	v_lshrrev_b32_e32 v46, 21, v46
	v_min_i32_e32 v47, 31, v44
	v_cmp_gt_i32_e32 vcc_lo, 32, v44
	v_and_b32_sdwa v45, v45, v101 dst_sel:DWORD dst_unused:UNUSED_PAD src0_sel:BYTE_3 src1_sel:DWORD
	v_lshlrev_b32_e32 v47, 2, v47
	v_cndmask_b32_e32 v46, 3, v46, vcc_lo
	v_and_b32_e32 v47, 0xfc, v47
	v_and_b32_e32 v56, 3, v46
	v_or_b32_e32 v44, v44, v46
	v_or3_b32 v45, v47, v45, v56
	v_cmp_ne_u32_e32 vcc_lo, 0, v44
	v_cndmask_b32_e32 v44, 0, v45, vcc_lo
.LBB4_3849:                             ;   in Loop: Header=BB4_3166 Depth=2
	s_or_b32 exec_lo, exec_lo, s29
.LBB4_3850:                             ;   in Loop: Header=BB4_3166 Depth=2
	s_or_b32 exec_lo, exec_lo, s28
	v_cmp_gt_i16_sdwa s28, v14, v100 src0_sel:BYTE_3 src1_sel:DWORD
	s_andn2_b32 vcc_lo, exec_lo, s27
	s_mov_b32 s12, -1
                                        ; implicit-def: $vgpr45
	s_cbranch_vccnz .LBB4_3864
; %bb.3851:                             ;   in Loop: Header=BB4_3166 Depth=2
	s_mov_b32 s12, 0
	s_and_saveexec_b32 s29, s28
	s_xor_b32 s28, exec_lo, s29
	s_cbranch_execz .LBB4_4468
; %bb.3852:                             ;   in Loop: Header=BB4_3166 Depth=2
	v_cmp_eq_u16_sdwa s40, v14, v101 src0_sel:BYTE_3 src1_sel:DWORD
	s_mov_b32 s12, -1
	s_and_saveexec_b32 s29, s40
; %bb.3853:                             ;   in Loop: Header=BB4_3166 Depth=2
	s_xor_b32 s12, exec_lo, -1
; %bb.3854:                             ;   in Loop: Header=BB4_3166 Depth=2
	s_or_b32 exec_lo, exec_lo, s29
	s_and_b32 s12, s12, exec_lo
	s_or_saveexec_b32 s28, s28
	v_mov_b32_e32 v45, 0x7f800001
	s_xor_b32 exec_lo, exec_lo, s28
	s_cbranch_execnz .LBB4_4469
.LBB4_3855:                             ;   in Loop: Header=BB4_3166 Depth=2
	s_or_b32 exec_lo, exec_lo, s28
	s_and_saveexec_b32 s28, s12
	s_cbranch_execz .LBB4_3857
.LBB4_3856:                             ;   in Loop: Header=BB4_3166 Depth=2
	v_bfe_u32 v45, v14, 24, 2
	v_bfe_u32 v56, v14, 26, 5
	v_ffbh_u32_e32 v46, v45
	v_cmp_eq_u32_e32 vcc_lo, 0, v56
	v_min_u32_e32 v46, 32, v46
	v_subrev_nc_u32_e32 v47, 29, v46
	v_sub_nc_u32_e32 v46, 30, v46
	v_lshlrev_b32_sdwa v47, v47, v14 dst_sel:DWORD dst_unused:UNUSED_PAD src0_sel:DWORD src1_sel:BYTE_3
	v_cndmask_b32_e32 v46, v56, v46, vcc_lo
	v_and_b32_e32 v47, 3, v47
	v_lshl_add_u32 v46, v46, 23, 0x37800000
	v_cndmask_b32_e32 v45, v45, v47, vcc_lo
	v_and_b32_e32 v47, 0x80000000, v14
	v_lshlrev_b32_e32 v45, 21, v45
	v_or3_b32 v45, v47, v46, v45
.LBB4_3857:                             ;   in Loop: Header=BB4_3166 Depth=2
	s_or_b32 exec_lo, exec_lo, s28
	s_waitcnt vmcnt(0)
	v_cmp_gt_i16_sdwa s28, v10, v100 src0_sel:BYTE_3 src1_sel:DWORD
	s_mov_b32 s12, 0
	s_and_saveexec_b32 s29, s28
	s_xor_b32 s28, exec_lo, s29
	s_cbranch_execz .LBB4_4470
; %bb.3858:                             ;   in Loop: Header=BB4_3166 Depth=2
	v_cmp_eq_u16_sdwa s40, v10, v101 src0_sel:BYTE_3 src1_sel:DWORD
	s_mov_b32 s12, -1
	s_and_saveexec_b32 s29, s40
; %bb.3859:                             ;   in Loop: Header=BB4_3166 Depth=2
	s_xor_b32 s12, exec_lo, -1
; %bb.3860:                             ;   in Loop: Header=BB4_3166 Depth=2
	s_or_b32 exec_lo, exec_lo, s29
	s_and_b32 s12, s12, exec_lo
	s_or_saveexec_b32 s28, s28
	v_mov_b32_e32 v46, 0x7f800001
	s_xor_b32 exec_lo, exec_lo, s28
	s_cbranch_execnz .LBB4_4471
.LBB4_3861:                             ;   in Loop: Header=BB4_3166 Depth=2
	s_or_b32 exec_lo, exec_lo, s28
	s_and_saveexec_b32 s28, s12
	s_cbranch_execz .LBB4_3863
.LBB4_3862:                             ;   in Loop: Header=BB4_3166 Depth=2
	v_bfe_u32 v46, v10, 24, 2
	v_bfe_u32 v57, v10, 26, 5
	v_ffbh_u32_e32 v47, v46
	v_cmp_eq_u32_e32 vcc_lo, 0, v57
	v_min_u32_e32 v47, 32, v47
	v_subrev_nc_u32_e32 v56, 29, v47
	v_sub_nc_u32_e32 v47, 30, v47
	v_lshlrev_b32_sdwa v56, v56, v10 dst_sel:DWORD dst_unused:UNUSED_PAD src0_sel:DWORD src1_sel:BYTE_3
	v_cndmask_b32_e32 v47, v57, v47, vcc_lo
	v_and_b32_e32 v56, 3, v56
	v_lshl_add_u32 v47, v47, 23, 0x37800000
	v_cndmask_b32_e32 v46, v46, v56, vcc_lo
	v_and_b32_e32 v56, 0x80000000, v10
	v_lshlrev_b32_e32 v46, 21, v46
	v_or3_b32 v46, v56, v47, v46
.LBB4_3863:                             ;   in Loop: Header=BB4_3166 Depth=2
	s_or_b32 exec_lo, exec_lo, s28
	v_max_f32_e32 v46, v46, v46
	v_max_f32_e32 v45, v45, v45
	s_mov_b32 s12, 0
	v_max_f32_e32 v45, v45, v46
.LBB4_3864:                             ;   in Loop: Header=BB4_3166 Depth=2
	s_and_b32 vcc_lo, exec_lo, s12
	s_cbranch_vccz .LBB4_3878
; %bb.3865:                             ;   in Loop: Header=BB4_3166 Depth=2
	v_cmp_gt_i16_sdwa s28, v14, v100 src0_sel:BYTE_3 src1_sel:DWORD
	s_mov_b32 s12, 0
	s_and_saveexec_b32 s29, s28
	s_xor_b32 s28, exec_lo, s29
	s_cbranch_execz .LBB4_4472
; %bb.3866:                             ;   in Loop: Header=BB4_3166 Depth=2
	v_cmp_eq_u16_sdwa s40, v14, v101 src0_sel:BYTE_3 src1_sel:DWORD
	s_mov_b32 s12, -1
	s_and_saveexec_b32 s29, s40
; %bb.3867:                             ;   in Loop: Header=BB4_3166 Depth=2
	s_xor_b32 s12, exec_lo, -1
; %bb.3868:                             ;   in Loop: Header=BB4_3166 Depth=2
	s_or_b32 exec_lo, exec_lo, s29
	s_and_b32 s12, s12, exec_lo
	s_or_saveexec_b32 s28, s28
	v_mov_b32_e32 v45, 0x7f800001
	s_xor_b32 exec_lo, exec_lo, s28
	s_cbranch_execnz .LBB4_4473
.LBB4_3869:                             ;   in Loop: Header=BB4_3166 Depth=2
	s_or_b32 exec_lo, exec_lo, s28
	s_and_saveexec_b32 s28, s12
	s_cbranch_execz .LBB4_3871
.LBB4_3870:                             ;   in Loop: Header=BB4_3166 Depth=2
	v_bfe_u32 v45, v14, 24, 2
	v_bfe_u32 v56, v14, 26, 5
	v_ffbh_u32_e32 v46, v45
	v_cmp_eq_u32_e32 vcc_lo, 0, v56
	v_min_u32_e32 v46, 32, v46
	v_subrev_nc_u32_e32 v47, 29, v46
	v_sub_nc_u32_e32 v46, 30, v46
	v_lshlrev_b32_sdwa v47, v47, v14 dst_sel:DWORD dst_unused:UNUSED_PAD src0_sel:DWORD src1_sel:BYTE_3
	v_cndmask_b32_e32 v46, v56, v46, vcc_lo
	v_and_b32_e32 v14, 0x80000000, v14
	v_and_b32_e32 v47, 3, v47
	v_lshl_add_u32 v46, v46, 23, 0x37800000
	v_cndmask_b32_e32 v45, v45, v47, vcc_lo
	v_lshlrev_b32_e32 v45, 21, v45
	v_or3_b32 v45, v14, v46, v45
.LBB4_3871:                             ;   in Loop: Header=BB4_3166 Depth=2
	s_or_b32 exec_lo, exec_lo, s28
	s_waitcnt vmcnt(0)
	v_cmp_gt_i16_sdwa s28, v10, v100 src0_sel:BYTE_3 src1_sel:DWORD
	s_mov_b32 s12, 0
	s_and_saveexec_b32 s29, s28
	s_xor_b32 s28, exec_lo, s29
	s_cbranch_execz .LBB4_4474
; %bb.3872:                             ;   in Loop: Header=BB4_3166 Depth=2
	v_cmp_eq_u16_sdwa s40, v10, v101 src0_sel:BYTE_3 src1_sel:DWORD
	s_mov_b32 s12, -1
	s_and_saveexec_b32 s29, s40
; %bb.3873:                             ;   in Loop: Header=BB4_3166 Depth=2
	s_xor_b32 s12, exec_lo, -1
; %bb.3874:                             ;   in Loop: Header=BB4_3166 Depth=2
	s_or_b32 exec_lo, exec_lo, s29
	s_and_b32 s12, s12, exec_lo
	s_or_saveexec_b32 s28, s28
	v_mov_b32_e32 v14, 0x7f800001
	s_xor_b32 exec_lo, exec_lo, s28
	s_cbranch_execnz .LBB4_4475
.LBB4_3875:                             ;   in Loop: Header=BB4_3166 Depth=2
	s_or_b32 exec_lo, exec_lo, s28
	s_and_saveexec_b32 s28, s12
	s_cbranch_execz .LBB4_3877
.LBB4_3876:                             ;   in Loop: Header=BB4_3166 Depth=2
	v_bfe_u32 v14, v10, 24, 2
	v_bfe_u32 v56, v10, 26, 5
	v_ffbh_u32_e32 v46, v14
	v_cmp_eq_u32_e32 vcc_lo, 0, v56
	v_min_u32_e32 v46, 32, v46
	v_subrev_nc_u32_e32 v47, 29, v46
	v_sub_nc_u32_e32 v46, 30, v46
	v_lshlrev_b32_sdwa v47, v47, v10 dst_sel:DWORD dst_unused:UNUSED_PAD src0_sel:DWORD src1_sel:BYTE_3
	v_cndmask_b32_e32 v46, v56, v46, vcc_lo
	v_and_b32_e32 v10, 0x80000000, v10
	v_and_b32_e32 v47, 3, v47
	v_lshl_add_u32 v46, v46, 23, 0x37800000
	v_cndmask_b32_e32 v14, v14, v47, vcc_lo
	v_lshlrev_b32_e32 v14, 21, v14
	v_or3_b32 v14, v10, v46, v14
.LBB4_3877:                             ;   in Loop: Header=BB4_3166 Depth=2
	s_or_b32 exec_lo, exec_lo, s28
	v_max_f32_e32 v10, v14, v14
	v_max_f32_e32 v14, v45, v45
	v_min_f32_e32 v45, v14, v10
.LBB4_3878:                             ;   in Loop: Header=BB4_3166 Depth=2
	s_waitcnt vmcnt(0)
	v_and_b32_e32 v10, 0x7f800000, v45
	v_cmp_ne_u32_e32 vcc_lo, 0x7f800000, v10
	v_mov_b32_e32 v10, 0x8000
	s_and_saveexec_b32 s28, vcc_lo
	s_cbranch_execz .LBB4_3886
; %bb.3879:                             ;   in Loop: Header=BB4_3166 Depth=2
	v_mov_b32_e32 v10, 0
	s_mov_b32 s29, exec_lo
	v_cmpx_ne_u32_e32 0, v45
	s_cbranch_execz .LBB4_3885
; %bb.3880:                             ;   in Loop: Header=BB4_3166 Depth=2
	v_bfe_u32 v10, v45, 23, 8
	v_and_b32_e32 v14, 0x7fffff, v45
	v_sub_nc_u32_e32 v46, 0x70, v10
	v_cmp_gt_u32_e32 vcc_lo, 0x71, v10
	v_or_b32_e32 v47, 0x800000, v14
	v_cndmask_b32_e32 v46, 0, v46, vcc_lo
	v_cmp_eq_u32_e32 vcc_lo, 0, v10
	v_add_nc_u32_e32 v10, 0xffffff91, v10
	v_cndmask_b32_e64 v46, v46, 0x6f, vcc_lo
	v_cndmask_b32_e32 v14, v47, v14, vcc_lo
	v_cndmask_b32_e64 v10, v10, 0xffffff92, vcc_lo
	v_lshl_add_u32 v47, 0x200000, v46, -1
	v_lshrrev_b32_e32 v56, v46, v14
	v_lshlrev_b32_e64 v58, v46, 0x100000
	v_add_nc_u32_e32 v46, v46, v10
	v_and_b32_e32 v14, v47, v14
	v_bfe_u32 v57, v56, 21, 1
	v_cmp_eq_u32_e64 s12, v14, v58
	v_add_nc_u32_e32 v47, -1, v57
	v_cndmask_b32_e64 v14, 0, v47, s12
	v_lshrrev_b32_e32 v47, 23, v56
	s_mov_b32 s12, exec_lo
	v_add_nc_u32_e32 v14, v14, v56
	v_xor_b32_e32 v47, 1, v47
	v_and_b32_e32 v10, 0x1fffff, v14
	v_add_nc_u32_e32 v14, v10, v56
                                        ; implicit-def: $vgpr10
	v_cmpx_ne_u32_e64 v46, v47
	s_xor_b32 s12, exec_lo, s12
; %bb.3881:                             ;   in Loop: Header=BB4_3166 Depth=2
	v_cmp_lt_u32_e32 vcc_lo, 0xffffff, v14
	v_sub_nc_u32_e32 v10, v46, v47
	v_cndmask_b32_e64 v46, 0, 1, vcc_lo
	v_add_co_ci_u32_e64 v10, null, 0, v10, vcc_lo
	v_lshrrev_b32_e32 v14, v46, v14
; %bb.3882:                             ;   in Loop: Header=BB4_3166 Depth=2
	s_andn2_saveexec_b32 s12, s12
; %bb.3883:                             ;   in Loop: Header=BB4_3166 Depth=2
	v_bfe_u32 v10, v14, 23, 1
; %bb.3884:                             ;   in Loop: Header=BB4_3166 Depth=2
	s_or_b32 exec_lo, exec_lo, s12
	v_lshrrev_b32_e32 v14, 21, v14
	v_min_i32_e32 v46, 31, v10
	v_cmp_gt_i32_e32 vcc_lo, 32, v10
	v_and_b32_sdwa v45, v45, v101 dst_sel:DWORD dst_unused:UNUSED_PAD src0_sel:BYTE_3 src1_sel:DWORD
	v_lshlrev_b32_e32 v46, 2, v46
	v_cndmask_b32_e32 v14, 3, v14, vcc_lo
	v_and_b32_e32 v46, 0xfc, v46
	v_and_b32_e32 v47, 3, v14
	v_or_b32_e32 v10, v10, v14
	v_or3_b32 v45, v45, v46, v47
	v_cmp_ne_u32_e32 vcc_lo, 0, v10
	v_lshlrev_b32_e32 v14, 8, v45
	v_cndmask_b32_e32 v10, 0, v14, vcc_lo
.LBB4_3885:                             ;   in Loop: Header=BB4_3166 Depth=2
	s_or_b32 exec_lo, exec_lo, s29
.LBB4_3886:                             ;   in Loop: Header=BB4_3166 Depth=2
	s_or_b32 exec_lo, exec_lo, s28
	v_cmp_gt_i16_sdwa s28, v15, v100 src0_sel:BYTE_0 src1_sel:DWORD
	s_andn2_b32 vcc_lo, exec_lo, s27
	s_mov_b32 s12, -1
                                        ; implicit-def: $vgpr45
	s_cbranch_vccnz .LBB4_3900
; %bb.3887:                             ;   in Loop: Header=BB4_3166 Depth=2
	s_mov_b32 s12, 0
	s_and_saveexec_b32 s29, s28
	s_xor_b32 s28, exec_lo, s29
	s_cbranch_execz .LBB4_4476
; %bb.3888:                             ;   in Loop: Header=BB4_3166 Depth=2
	v_cmp_eq_u16_sdwa s40, v15, v101 src0_sel:BYTE_0 src1_sel:DWORD
	s_mov_b32 s12, -1
	s_and_saveexec_b32 s29, s40
; %bb.3889:                             ;   in Loop: Header=BB4_3166 Depth=2
	s_xor_b32 s12, exec_lo, -1
; %bb.3890:                             ;   in Loop: Header=BB4_3166 Depth=2
	s_or_b32 exec_lo, exec_lo, s29
	s_and_b32 s12, s12, exec_lo
	s_or_saveexec_b32 s28, s28
	v_mov_b32_e32 v14, 0x7f800001
	s_xor_b32 exec_lo, exec_lo, s28
	s_cbranch_execnz .LBB4_4477
.LBB4_3891:                             ;   in Loop: Header=BB4_3166 Depth=2
	s_or_b32 exec_lo, exec_lo, s28
	s_and_saveexec_b32 s28, s12
	s_cbranch_execz .LBB4_3893
.LBB4_3892:                             ;   in Loop: Header=BB4_3166 Depth=2
	v_and_b32_e32 v14, 3, v15
	v_bfe_u32 v47, v15, 2, 5
	v_lshlrev_b32_e32 v56, 24, v15
	v_ffbh_u32_e32 v45, v14
	v_cmp_eq_u32_e32 vcc_lo, 0, v47
	v_min_u32_e32 v45, 32, v45
	v_subrev_nc_u32_e32 v46, 29, v45
	v_sub_nc_u32_e32 v45, 30, v45
	v_lshlrev_b32_e32 v46, v46, v15
	v_cndmask_b32_e32 v45, v47, v45, vcc_lo
	v_and_b32_e32 v46, 3, v46
	v_lshl_add_u32 v45, v45, 23, 0x37800000
	v_cndmask_b32_e32 v14, v14, v46, vcc_lo
	v_and_b32_e32 v46, 0x80000000, v56
	v_lshlrev_b32_e32 v14, 21, v14
	v_or3_b32 v14, v46, v45, v14
.LBB4_3893:                             ;   in Loop: Header=BB4_3166 Depth=2
	s_or_b32 exec_lo, exec_lo, s28
	v_cmp_gt_i16_sdwa s28, v11, v100 src0_sel:BYTE_0 src1_sel:DWORD
	s_mov_b32 s12, 0
	s_and_saveexec_b32 s29, s28
	s_xor_b32 s28, exec_lo, s29
	s_cbranch_execz .LBB4_4478
; %bb.3894:                             ;   in Loop: Header=BB4_3166 Depth=2
	v_cmp_eq_u16_sdwa s40, v11, v101 src0_sel:BYTE_0 src1_sel:DWORD
	s_mov_b32 s12, -1
	s_and_saveexec_b32 s29, s40
; %bb.3895:                             ;   in Loop: Header=BB4_3166 Depth=2
	s_xor_b32 s12, exec_lo, -1
; %bb.3896:                             ;   in Loop: Header=BB4_3166 Depth=2
	s_or_b32 exec_lo, exec_lo, s29
	s_and_b32 s12, s12, exec_lo
	s_or_saveexec_b32 s28, s28
	v_mov_b32_e32 v45, 0x7f800001
	s_xor_b32 exec_lo, exec_lo, s28
	s_cbranch_execnz .LBB4_4479
.LBB4_3897:                             ;   in Loop: Header=BB4_3166 Depth=2
	s_or_b32 exec_lo, exec_lo, s28
	s_and_saveexec_b32 s28, s12
	s_cbranch_execz .LBB4_3899
.LBB4_3898:                             ;   in Loop: Header=BB4_3166 Depth=2
	v_and_b32_e32 v45, 3, v11
	v_bfe_u32 v56, v11, 2, 5
	v_lshlrev_b32_e32 v57, 24, v11
	v_ffbh_u32_e32 v46, v45
	v_cmp_eq_u32_e32 vcc_lo, 0, v56
	v_min_u32_e32 v46, 32, v46
	v_subrev_nc_u32_e32 v47, 29, v46
	v_sub_nc_u32_e32 v46, 30, v46
	v_lshlrev_b32_e32 v47, v47, v11
	v_cndmask_b32_e32 v46, v56, v46, vcc_lo
	v_and_b32_e32 v47, 3, v47
	v_lshl_add_u32 v46, v46, 23, 0x37800000
	v_cndmask_b32_e32 v45, v45, v47, vcc_lo
	v_and_b32_e32 v47, 0x80000000, v57
	v_lshlrev_b32_e32 v45, 21, v45
	v_or3_b32 v45, v47, v46, v45
.LBB4_3899:                             ;   in Loop: Header=BB4_3166 Depth=2
	s_or_b32 exec_lo, exec_lo, s28
	v_max_f32_e32 v45, v45, v45
	v_max_f32_e32 v14, v14, v14
	s_mov_b32 s12, 0
	v_max_f32_e32 v45, v14, v45
.LBB4_3900:                             ;   in Loop: Header=BB4_3166 Depth=2
	s_and_b32 vcc_lo, exec_lo, s12
	s_cbranch_vccz .LBB4_3914
; %bb.3901:                             ;   in Loop: Header=BB4_3166 Depth=2
	v_cmp_gt_i16_sdwa s28, v15, v100 src0_sel:BYTE_0 src1_sel:DWORD
	s_mov_b32 s12, 0
	s_and_saveexec_b32 s29, s28
	s_xor_b32 s28, exec_lo, s29
	s_cbranch_execz .LBB4_4480
; %bb.3902:                             ;   in Loop: Header=BB4_3166 Depth=2
	v_cmp_eq_u16_sdwa s40, v15, v101 src0_sel:BYTE_0 src1_sel:DWORD
	s_mov_b32 s12, -1
	s_and_saveexec_b32 s29, s40
; %bb.3903:                             ;   in Loop: Header=BB4_3166 Depth=2
	s_xor_b32 s12, exec_lo, -1
; %bb.3904:                             ;   in Loop: Header=BB4_3166 Depth=2
	s_or_b32 exec_lo, exec_lo, s29
	s_and_b32 s12, s12, exec_lo
	s_or_saveexec_b32 s28, s28
	v_mov_b32_e32 v14, 0x7f800001
	s_xor_b32 exec_lo, exec_lo, s28
	s_cbranch_execnz .LBB4_4481
.LBB4_3905:                             ;   in Loop: Header=BB4_3166 Depth=2
	s_or_b32 exec_lo, exec_lo, s28
	s_and_saveexec_b32 s28, s12
	s_cbranch_execz .LBB4_3907
.LBB4_3906:                             ;   in Loop: Header=BB4_3166 Depth=2
	v_and_b32_e32 v14, 3, v15
	v_bfe_u32 v47, v15, 2, 5
	v_lshlrev_b32_e32 v56, 24, v15
	v_ffbh_u32_e32 v45, v14
	v_cmp_eq_u32_e32 vcc_lo, 0, v47
	v_min_u32_e32 v45, 32, v45
	v_subrev_nc_u32_e32 v46, 29, v45
	v_sub_nc_u32_e32 v45, 30, v45
	v_lshlrev_b32_e32 v46, v46, v15
	v_cndmask_b32_e32 v45, v47, v45, vcc_lo
	v_and_b32_e32 v46, 3, v46
	v_lshl_add_u32 v45, v45, 23, 0x37800000
	v_cndmask_b32_e32 v14, v14, v46, vcc_lo
	v_and_b32_e32 v46, 0x80000000, v56
	v_lshlrev_b32_e32 v14, 21, v14
	v_or3_b32 v14, v46, v45, v14
.LBB4_3907:                             ;   in Loop: Header=BB4_3166 Depth=2
	s_or_b32 exec_lo, exec_lo, s28
	v_cmp_gt_i16_sdwa s28, v11, v100 src0_sel:BYTE_0 src1_sel:DWORD
	s_mov_b32 s12, 0
	s_and_saveexec_b32 s29, s28
	s_xor_b32 s28, exec_lo, s29
	s_cbranch_execz .LBB4_4482
; %bb.3908:                             ;   in Loop: Header=BB4_3166 Depth=2
	v_cmp_eq_u16_sdwa s40, v11, v101 src0_sel:BYTE_0 src1_sel:DWORD
	s_mov_b32 s12, -1
	s_and_saveexec_b32 s29, s40
; %bb.3909:                             ;   in Loop: Header=BB4_3166 Depth=2
	s_xor_b32 s12, exec_lo, -1
; %bb.3910:                             ;   in Loop: Header=BB4_3166 Depth=2
	s_or_b32 exec_lo, exec_lo, s29
	s_and_b32 s12, s12, exec_lo
	s_or_saveexec_b32 s28, s28
	v_mov_b32_e32 v45, 0x7f800001
	s_xor_b32 exec_lo, exec_lo, s28
	s_cbranch_execnz .LBB4_4483
.LBB4_3911:                             ;   in Loop: Header=BB4_3166 Depth=2
	s_or_b32 exec_lo, exec_lo, s28
	s_and_saveexec_b32 s28, s12
	s_cbranch_execz .LBB4_3913
.LBB4_3912:                             ;   in Loop: Header=BB4_3166 Depth=2
	v_and_b32_e32 v45, 3, v11
	v_bfe_u32 v56, v11, 2, 5
	v_lshlrev_b32_e32 v57, 24, v11
	v_ffbh_u32_e32 v46, v45
	v_cmp_eq_u32_e32 vcc_lo, 0, v56
	v_min_u32_e32 v46, 32, v46
	v_subrev_nc_u32_e32 v47, 29, v46
	v_sub_nc_u32_e32 v46, 30, v46
	v_lshlrev_b32_e32 v47, v47, v11
	v_cndmask_b32_e32 v46, v56, v46, vcc_lo
	v_and_b32_e32 v47, 3, v47
	v_lshl_add_u32 v46, v46, 23, 0x37800000
	v_cndmask_b32_e32 v45, v45, v47, vcc_lo
	v_and_b32_e32 v47, 0x80000000, v57
	v_lshlrev_b32_e32 v45, 21, v45
	v_or3_b32 v45, v47, v46, v45
.LBB4_3913:                             ;   in Loop: Header=BB4_3166 Depth=2
	s_or_b32 exec_lo, exec_lo, s28
	v_max_f32_e32 v45, v45, v45
	v_max_f32_e32 v14, v14, v14
	v_min_f32_e32 v45, v14, v45
.LBB4_3914:                             ;   in Loop: Header=BB4_3166 Depth=2
	v_and_b32_e32 v14, 0x7f800000, v45
	v_cmp_ne_u32_e32 vcc_lo, 0x7f800000, v14
	v_mov_b32_e32 v14, 0x80
	s_and_saveexec_b32 s28, vcc_lo
	s_cbranch_execz .LBB4_3922
; %bb.3915:                             ;   in Loop: Header=BB4_3166 Depth=2
	v_mov_b32_e32 v14, 0
	s_mov_b32 s29, exec_lo
	v_cmpx_ne_u32_e32 0, v45
	s_cbranch_execz .LBB4_3921
; %bb.3916:                             ;   in Loop: Header=BB4_3166 Depth=2
	v_bfe_u32 v14, v45, 23, 8
	v_and_b32_e32 v46, 0x7fffff, v45
	v_sub_nc_u32_e32 v47, 0x70, v14
	v_cmp_gt_u32_e32 vcc_lo, 0x71, v14
	v_or_b32_e32 v56, 0x800000, v46
	v_cndmask_b32_e32 v47, 0, v47, vcc_lo
	v_cmp_eq_u32_e32 vcc_lo, 0, v14
	v_add_nc_u32_e32 v14, 0xffffff91, v14
	v_cndmask_b32_e64 v47, v47, 0x6f, vcc_lo
	v_cndmask_b32_e32 v46, v56, v46, vcc_lo
	v_cndmask_b32_e64 v14, v14, 0xffffff92, vcc_lo
	v_lshl_add_u32 v56, 0x200000, v47, -1
	v_lshrrev_b32_e32 v57, v47, v46
	v_lshlrev_b32_e64 v59, v47, 0x100000
	v_add_nc_u32_e32 v47, v47, v14
	v_and_b32_e32 v46, v56, v46
	v_bfe_u32 v58, v57, 21, 1
	v_cmp_eq_u32_e64 s12, v46, v59
	v_add_nc_u32_e32 v56, -1, v58
	v_cndmask_b32_e64 v46, 0, v56, s12
	v_lshrrev_b32_e32 v56, 23, v57
	s_mov_b32 s12, exec_lo
	v_add_nc_u32_e32 v46, v46, v57
	v_xor_b32_e32 v56, 1, v56
	v_and_b32_e32 v14, 0x1fffff, v46
	v_add_nc_u32_e32 v46, v14, v57
                                        ; implicit-def: $vgpr14
	v_cmpx_ne_u32_e64 v47, v56
	s_xor_b32 s12, exec_lo, s12
; %bb.3917:                             ;   in Loop: Header=BB4_3166 Depth=2
	v_cmp_lt_u32_e32 vcc_lo, 0xffffff, v46
	v_sub_nc_u32_e32 v14, v47, v56
	v_cndmask_b32_e64 v47, 0, 1, vcc_lo
	v_add_co_ci_u32_e64 v14, null, 0, v14, vcc_lo
	v_lshrrev_b32_e32 v46, v47, v46
; %bb.3918:                             ;   in Loop: Header=BB4_3166 Depth=2
	s_andn2_saveexec_b32 s12, s12
; %bb.3919:                             ;   in Loop: Header=BB4_3166 Depth=2
	v_bfe_u32 v14, v46, 23, 1
; %bb.3920:                             ;   in Loop: Header=BB4_3166 Depth=2
	s_or_b32 exec_lo, exec_lo, s12
	v_lshrrev_b32_e32 v46, 21, v46
	v_min_i32_e32 v47, 31, v14
	v_cmp_gt_i32_e32 vcc_lo, 32, v14
	v_and_b32_sdwa v45, v45, v101 dst_sel:DWORD dst_unused:UNUSED_PAD src0_sel:BYTE_3 src1_sel:DWORD
	v_lshlrev_b32_e32 v47, 2, v47
	v_cndmask_b32_e32 v46, 3, v46, vcc_lo
	v_and_b32_e32 v47, 0xfc, v47
	v_and_b32_e32 v56, 3, v46
	v_or_b32_e32 v14, v14, v46
	v_or3_b32 v45, v47, v45, v56
	v_cmp_ne_u32_e32 vcc_lo, 0, v14
	v_cndmask_b32_e32 v14, 0, v45, vcc_lo
.LBB4_3921:                             ;   in Loop: Header=BB4_3166 Depth=2
	s_or_b32 exec_lo, exec_lo, s29
.LBB4_3922:                             ;   in Loop: Header=BB4_3166 Depth=2
	s_or_b32 exec_lo, exec_lo, s28
	v_cmp_gt_i16_sdwa s28, v15, v100 src0_sel:BYTE_1 src1_sel:DWORD
	s_andn2_b32 vcc_lo, exec_lo, s27
	s_mov_b32 s12, -1
                                        ; implicit-def: $vgpr46
	s_cbranch_vccnz .LBB4_3936
; %bb.3923:                             ;   in Loop: Header=BB4_3166 Depth=2
	s_mov_b32 s12, 0
	s_and_saveexec_b32 s29, s28
	s_xor_b32 s28, exec_lo, s29
	s_cbranch_execz .LBB4_4484
; %bb.3924:                             ;   in Loop: Header=BB4_3166 Depth=2
	v_cmp_eq_u16_sdwa s40, v15, v101 src0_sel:BYTE_1 src1_sel:DWORD
	s_mov_b32 s12, -1
	s_and_saveexec_b32 s29, s40
; %bb.3925:                             ;   in Loop: Header=BB4_3166 Depth=2
	s_xor_b32 s12, exec_lo, -1
; %bb.3926:                             ;   in Loop: Header=BB4_3166 Depth=2
	s_or_b32 exec_lo, exec_lo, s29
	s_and_b32 s12, s12, exec_lo
	s_or_saveexec_b32 s28, s28
	v_mov_b32_e32 v45, 0x7f800001
	s_xor_b32 exec_lo, exec_lo, s28
	s_cbranch_execnz .LBB4_4485
.LBB4_3927:                             ;   in Loop: Header=BB4_3166 Depth=2
	s_or_b32 exec_lo, exec_lo, s28
	s_and_saveexec_b32 s28, s12
	s_cbranch_execz .LBB4_3929
.LBB4_3928:                             ;   in Loop: Header=BB4_3166 Depth=2
	v_and_b32_sdwa v45, v102, v15 dst_sel:DWORD dst_unused:UNUSED_PAD src0_sel:DWORD src1_sel:BYTE_1
	v_and_b32_e32 v46, 3, v45
	v_bfe_u32 v57, v45, 2, 5
	v_ffbh_u32_e32 v47, v46
	v_cmp_eq_u32_e32 vcc_lo, 0, v57
	v_min_u32_e32 v47, 32, v47
	v_subrev_nc_u32_e32 v56, 29, v47
	v_sub_nc_u32_e32 v47, 30, v47
	v_lshlrev_b32_e32 v45, v56, v45
	v_lshlrev_b32_e32 v56, 16, v15
	v_cndmask_b32_e32 v47, v57, v47, vcc_lo
	v_and_b32_e32 v45, 3, v45
	v_lshl_add_u32 v47, v47, 23, 0x37800000
	v_cndmask_b32_e32 v45, v46, v45, vcc_lo
	v_and_b32_e32 v46, 0x80000000, v56
	v_lshlrev_b32_e32 v45, 21, v45
	v_or3_b32 v45, v46, v47, v45
.LBB4_3929:                             ;   in Loop: Header=BB4_3166 Depth=2
	s_or_b32 exec_lo, exec_lo, s28
	v_cmp_gt_i16_sdwa s28, v11, v100 src0_sel:BYTE_1 src1_sel:DWORD
	s_mov_b32 s12, 0
	s_and_saveexec_b32 s29, s28
	s_xor_b32 s28, exec_lo, s29
	s_cbranch_execz .LBB4_4486
; %bb.3930:                             ;   in Loop: Header=BB4_3166 Depth=2
	v_cmp_eq_u16_sdwa s40, v11, v101 src0_sel:BYTE_1 src1_sel:DWORD
	s_mov_b32 s12, -1
	s_and_saveexec_b32 s29, s40
; %bb.3931:                             ;   in Loop: Header=BB4_3166 Depth=2
	s_xor_b32 s12, exec_lo, -1
; %bb.3932:                             ;   in Loop: Header=BB4_3166 Depth=2
	s_or_b32 exec_lo, exec_lo, s29
	s_and_b32 s12, s12, exec_lo
	s_or_saveexec_b32 s28, s28
	v_mov_b32_e32 v46, 0x7f800001
	s_xor_b32 exec_lo, exec_lo, s28
	s_cbranch_execnz .LBB4_4487
.LBB4_3933:                             ;   in Loop: Header=BB4_3166 Depth=2
	s_or_b32 exec_lo, exec_lo, s28
	s_and_saveexec_b32 s28, s12
	s_cbranch_execz .LBB4_3935
.LBB4_3934:                             ;   in Loop: Header=BB4_3166 Depth=2
	v_and_b32_sdwa v46, v102, v11 dst_sel:DWORD dst_unused:UNUSED_PAD src0_sel:DWORD src1_sel:BYTE_1
	v_and_b32_e32 v47, 3, v46
	v_bfe_u32 v58, v46, 2, 5
	v_ffbh_u32_e32 v56, v47
	v_cmp_eq_u32_e32 vcc_lo, 0, v58
	v_min_u32_e32 v56, 32, v56
	v_subrev_nc_u32_e32 v57, 29, v56
	v_sub_nc_u32_e32 v56, 30, v56
	v_lshlrev_b32_e32 v46, v57, v46
	v_lshlrev_b32_e32 v57, 16, v11
	v_cndmask_b32_e32 v56, v58, v56, vcc_lo
	v_and_b32_e32 v46, 3, v46
	v_lshl_add_u32 v56, v56, 23, 0x37800000
	v_cndmask_b32_e32 v46, v47, v46, vcc_lo
	v_and_b32_e32 v47, 0x80000000, v57
	v_lshlrev_b32_e32 v46, 21, v46
	v_or3_b32 v46, v47, v56, v46
.LBB4_3935:                             ;   in Loop: Header=BB4_3166 Depth=2
	s_or_b32 exec_lo, exec_lo, s28
	v_max_f32_e32 v46, v46, v46
	v_max_f32_e32 v45, v45, v45
	s_mov_b32 s12, 0
	v_max_f32_e32 v46, v45, v46
.LBB4_3936:                             ;   in Loop: Header=BB4_3166 Depth=2
	s_and_b32 vcc_lo, exec_lo, s12
	s_cbranch_vccz .LBB4_3950
; %bb.3937:                             ;   in Loop: Header=BB4_3166 Depth=2
	v_cmp_gt_i16_sdwa s28, v15, v100 src0_sel:BYTE_1 src1_sel:DWORD
	s_mov_b32 s12, 0
	s_and_saveexec_b32 s29, s28
	s_xor_b32 s28, exec_lo, s29
	s_cbranch_execz .LBB4_4488
; %bb.3938:                             ;   in Loop: Header=BB4_3166 Depth=2
	v_cmp_eq_u16_sdwa s40, v15, v101 src0_sel:BYTE_1 src1_sel:DWORD
	s_mov_b32 s12, -1
	s_and_saveexec_b32 s29, s40
; %bb.3939:                             ;   in Loop: Header=BB4_3166 Depth=2
	s_xor_b32 s12, exec_lo, -1
; %bb.3940:                             ;   in Loop: Header=BB4_3166 Depth=2
	s_or_b32 exec_lo, exec_lo, s29
	s_and_b32 s12, s12, exec_lo
	s_or_saveexec_b32 s28, s28
	v_mov_b32_e32 v45, 0x7f800001
	s_xor_b32 exec_lo, exec_lo, s28
	s_cbranch_execnz .LBB4_4489
.LBB4_3941:                             ;   in Loop: Header=BB4_3166 Depth=2
	s_or_b32 exec_lo, exec_lo, s28
	s_and_saveexec_b32 s28, s12
	s_cbranch_execz .LBB4_3943
.LBB4_3942:                             ;   in Loop: Header=BB4_3166 Depth=2
	v_and_b32_sdwa v45, v102, v15 dst_sel:DWORD dst_unused:UNUSED_PAD src0_sel:DWORD src1_sel:BYTE_1
	v_and_b32_e32 v46, 3, v45
	v_bfe_u32 v57, v45, 2, 5
	v_ffbh_u32_e32 v47, v46
	v_cmp_eq_u32_e32 vcc_lo, 0, v57
	v_min_u32_e32 v47, 32, v47
	v_subrev_nc_u32_e32 v56, 29, v47
	v_sub_nc_u32_e32 v47, 30, v47
	v_lshlrev_b32_e32 v45, v56, v45
	v_lshlrev_b32_e32 v56, 16, v15
	v_cndmask_b32_e32 v47, v57, v47, vcc_lo
	v_and_b32_e32 v45, 3, v45
	v_lshl_add_u32 v47, v47, 23, 0x37800000
	v_cndmask_b32_e32 v45, v46, v45, vcc_lo
	v_and_b32_e32 v46, 0x80000000, v56
	v_lshlrev_b32_e32 v45, 21, v45
	v_or3_b32 v45, v46, v47, v45
.LBB4_3943:                             ;   in Loop: Header=BB4_3166 Depth=2
	s_or_b32 exec_lo, exec_lo, s28
	v_cmp_gt_i16_sdwa s28, v11, v100 src0_sel:BYTE_1 src1_sel:DWORD
	s_mov_b32 s12, 0
	s_and_saveexec_b32 s29, s28
	s_xor_b32 s28, exec_lo, s29
	s_cbranch_execz .LBB4_4490
; %bb.3944:                             ;   in Loop: Header=BB4_3166 Depth=2
	v_cmp_eq_u16_sdwa s40, v11, v101 src0_sel:BYTE_1 src1_sel:DWORD
	s_mov_b32 s12, -1
	s_and_saveexec_b32 s29, s40
; %bb.3945:                             ;   in Loop: Header=BB4_3166 Depth=2
	s_xor_b32 s12, exec_lo, -1
; %bb.3946:                             ;   in Loop: Header=BB4_3166 Depth=2
	s_or_b32 exec_lo, exec_lo, s29
	s_and_b32 s12, s12, exec_lo
	s_or_saveexec_b32 s28, s28
	v_mov_b32_e32 v46, 0x7f800001
	s_xor_b32 exec_lo, exec_lo, s28
	s_cbranch_execnz .LBB4_4491
.LBB4_3947:                             ;   in Loop: Header=BB4_3166 Depth=2
	s_or_b32 exec_lo, exec_lo, s28
	s_and_saveexec_b32 s28, s12
	s_cbranch_execz .LBB4_3949
.LBB4_3948:                             ;   in Loop: Header=BB4_3166 Depth=2
	v_and_b32_sdwa v46, v102, v11 dst_sel:DWORD dst_unused:UNUSED_PAD src0_sel:DWORD src1_sel:BYTE_1
	v_and_b32_e32 v47, 3, v46
	v_bfe_u32 v58, v46, 2, 5
	v_ffbh_u32_e32 v56, v47
	v_cmp_eq_u32_e32 vcc_lo, 0, v58
	v_min_u32_e32 v56, 32, v56
	v_subrev_nc_u32_e32 v57, 29, v56
	v_sub_nc_u32_e32 v56, 30, v56
	v_lshlrev_b32_e32 v46, v57, v46
	v_lshlrev_b32_e32 v57, 16, v11
	v_cndmask_b32_e32 v56, v58, v56, vcc_lo
	v_and_b32_e32 v46, 3, v46
	v_lshl_add_u32 v56, v56, 23, 0x37800000
	v_cndmask_b32_e32 v46, v47, v46, vcc_lo
	v_and_b32_e32 v47, 0x80000000, v57
	v_lshlrev_b32_e32 v46, 21, v46
	v_or3_b32 v46, v47, v56, v46
.LBB4_3949:                             ;   in Loop: Header=BB4_3166 Depth=2
	s_or_b32 exec_lo, exec_lo, s28
	v_max_f32_e32 v46, v46, v46
	v_max_f32_e32 v45, v45, v45
	v_min_f32_e32 v46, v45, v46
.LBB4_3950:                             ;   in Loop: Header=BB4_3166 Depth=2
	v_and_b32_e32 v45, 0x7f800000, v46
	v_cmp_ne_u32_e32 vcc_lo, 0x7f800000, v45
	v_mov_b32_e32 v45, 0x8000
	s_and_saveexec_b32 s28, vcc_lo
	s_cbranch_execz .LBB4_3958
; %bb.3951:                             ;   in Loop: Header=BB4_3166 Depth=2
	v_mov_b32_e32 v45, 0
	s_mov_b32 s29, exec_lo
	v_cmpx_ne_u32_e32 0, v46
	s_cbranch_execz .LBB4_3957
; %bb.3952:                             ;   in Loop: Header=BB4_3166 Depth=2
	v_bfe_u32 v45, v46, 23, 8
	v_and_b32_e32 v47, 0x7fffff, v46
	v_sub_nc_u32_e32 v56, 0x70, v45
	v_cmp_gt_u32_e32 vcc_lo, 0x71, v45
	v_or_b32_e32 v57, 0x800000, v47
	v_cndmask_b32_e32 v56, 0, v56, vcc_lo
	v_cmp_eq_u32_e32 vcc_lo, 0, v45
	v_add_nc_u32_e32 v45, 0xffffff91, v45
	v_cndmask_b32_e64 v56, v56, 0x6f, vcc_lo
	v_cndmask_b32_e32 v47, v57, v47, vcc_lo
	v_cndmask_b32_e64 v45, v45, 0xffffff92, vcc_lo
	v_lshl_add_u32 v57, 0x200000, v56, -1
	v_lshrrev_b32_e32 v58, v56, v47
	v_lshlrev_b32_e64 v60, v56, 0x100000
	v_add_nc_u32_e32 v56, v56, v45
	v_and_b32_e32 v47, v57, v47
	v_bfe_u32 v59, v58, 21, 1
	v_cmp_eq_u32_e64 s12, v47, v60
	v_add_nc_u32_e32 v57, -1, v59
	v_cndmask_b32_e64 v47, 0, v57, s12
	v_lshrrev_b32_e32 v57, 23, v58
	s_mov_b32 s12, exec_lo
	v_add_nc_u32_e32 v47, v47, v58
	v_xor_b32_e32 v57, 1, v57
	v_and_b32_e32 v45, 0x1fffff, v47
	v_add_nc_u32_e32 v47, v45, v58
                                        ; implicit-def: $vgpr45
	v_cmpx_ne_u32_e64 v56, v57
	s_xor_b32 s12, exec_lo, s12
; %bb.3953:                             ;   in Loop: Header=BB4_3166 Depth=2
	v_cmp_lt_u32_e32 vcc_lo, 0xffffff, v47
	v_sub_nc_u32_e32 v45, v56, v57
	v_cndmask_b32_e64 v56, 0, 1, vcc_lo
	v_add_co_ci_u32_e64 v45, null, 0, v45, vcc_lo
	v_lshrrev_b32_e32 v47, v56, v47
; %bb.3954:                             ;   in Loop: Header=BB4_3166 Depth=2
	s_andn2_saveexec_b32 s12, s12
; %bb.3955:                             ;   in Loop: Header=BB4_3166 Depth=2
	v_bfe_u32 v45, v47, 23, 1
; %bb.3956:                             ;   in Loop: Header=BB4_3166 Depth=2
	s_or_b32 exec_lo, exec_lo, s12
	v_lshrrev_b32_e32 v47, 21, v47
	v_min_i32_e32 v56, 31, v45
	v_cmp_gt_i32_e32 vcc_lo, 32, v45
	v_and_b32_sdwa v46, v46, v101 dst_sel:DWORD dst_unused:UNUSED_PAD src0_sel:BYTE_3 src1_sel:DWORD
	v_lshlrev_b32_e32 v56, 2, v56
	v_cndmask_b32_e32 v47, 3, v47, vcc_lo
	v_and_b32_e32 v56, 0xfc, v56
	v_and_b32_e32 v57, 3, v47
	v_or_b32_e32 v45, v45, v47
	v_or3_b32 v46, v46, v56, v57
	v_cmp_ne_u32_e32 vcc_lo, 0, v45
	v_lshlrev_b32_e32 v46, 8, v46
	v_cndmask_b32_e32 v45, 0, v46, vcc_lo
.LBB4_3957:                             ;   in Loop: Header=BB4_3166 Depth=2
	s_or_b32 exec_lo, exec_lo, s29
.LBB4_3958:                             ;   in Loop: Header=BB4_3166 Depth=2
	s_or_b32 exec_lo, exec_lo, s28
	v_and_b32_sdwa v46, v15, v103 dst_sel:DWORD dst_unused:UNUSED_PAD src0_sel:WORD_1 src1_sel:DWORD
	s_andn2_b32 vcc_lo, exec_lo, s27
	s_mov_b32 s28, -1
                                        ; implicit-def: $vgpr47
	v_cmp_lt_i16_e64 s12, 0x7f, v46
	s_cbranch_vccnz .LBB4_3972
; %bb.3959:                             ;   in Loop: Header=BB4_3166 Depth=2
	s_mov_b32 s28, 0
	s_and_saveexec_b32 s29, s12
	s_xor_b32 s12, exec_lo, s29
	s_cbranch_execz .LBB4_4492
; %bb.3960:                             ;   in Loop: Header=BB4_3166 Depth=2
	s_mov_b32 s28, -1
	s_mov_b32 s29, exec_lo
	v_cmpx_eq_u16_e32 0x80, v46
; %bb.3961:                             ;   in Loop: Header=BB4_3166 Depth=2
	s_xor_b32 s28, exec_lo, -1
; %bb.3962:                             ;   in Loop: Header=BB4_3166 Depth=2
	s_or_b32 exec_lo, exec_lo, s29
	s_and_b32 s28, s28, exec_lo
	s_or_saveexec_b32 s12, s12
	v_mov_b32_e32 v47, 0x7f800001
	s_xor_b32 exec_lo, exec_lo, s12
	s_cbranch_execnz .LBB4_4493
.LBB4_3963:                             ;   in Loop: Header=BB4_3166 Depth=2
	s_or_b32 exec_lo, exec_lo, s12
	s_and_saveexec_b32 s12, s28
	s_cbranch_execz .LBB4_3965
.LBB4_3964:                             ;   in Loop: Header=BB4_3166 Depth=2
	v_bfe_u32 v47, v15, 16, 2
	v_bfe_u32 v58, v15, 18, 5
	v_lshlrev_b32_sdwa v59, v112, v15 dst_sel:DWORD dst_unused:UNUSED_PAD src0_sel:DWORD src1_sel:WORD_1
	v_ffbh_u32_e32 v56, v47
	v_cmp_eq_u32_e32 vcc_lo, 0, v58
	v_min_u32_e32 v56, 32, v56
	v_subrev_nc_u32_e32 v57, 29, v56
	v_sub_nc_u32_e32 v56, 30, v56
	v_lshlrev_b32_sdwa v57, v57, v15 dst_sel:DWORD dst_unused:UNUSED_PAD src0_sel:DWORD src1_sel:WORD_1
	v_cndmask_b32_e32 v56, v58, v56, vcc_lo
	v_and_b32_e32 v57, 3, v57
	v_lshl_add_u32 v56, v56, 23, 0x37800000
	v_cndmask_b32_e32 v47, v47, v57, vcc_lo
	v_and_b32_e32 v57, 0x80000000, v59
	v_lshlrev_b32_e32 v47, 21, v47
	v_or3_b32 v47, v57, v56, v47
.LBB4_3965:                             ;   in Loop: Header=BB4_3166 Depth=2
	s_or_b32 exec_lo, exec_lo, s12
	v_and_b32_sdwa v57, v11, v103 dst_sel:DWORD dst_unused:UNUSED_PAD src0_sel:WORD_1 src1_sel:DWORD
	s_mov_b32 s12, 0
	s_mov_b32 s28, exec_lo
	v_cmpx_lt_i16_e32 0x7f, v57
	s_xor_b32 s28, exec_lo, s28
	s_cbranch_execz .LBB4_4494
; %bb.3966:                             ;   in Loop: Header=BB4_3166 Depth=2
	s_mov_b32 s12, -1
	s_mov_b32 s29, exec_lo
	v_cmpx_eq_u16_e32 0x80, v57
; %bb.3967:                             ;   in Loop: Header=BB4_3166 Depth=2
	s_xor_b32 s12, exec_lo, -1
; %bb.3968:                             ;   in Loop: Header=BB4_3166 Depth=2
	s_or_b32 exec_lo, exec_lo, s29
	s_and_b32 s12, s12, exec_lo
                                        ; implicit-def: $vgpr57
	s_or_saveexec_b32 s28, s28
	v_mov_b32_e32 v56, 0x7f800001
	s_xor_b32 exec_lo, exec_lo, s28
	s_cbranch_execnz .LBB4_4495
.LBB4_3969:                             ;   in Loop: Header=BB4_3166 Depth=2
	s_or_b32 exec_lo, exec_lo, s28
	s_and_saveexec_b32 s28, s12
	s_cbranch_execz .LBB4_3971
.LBB4_3970:                             ;   in Loop: Header=BB4_3166 Depth=2
	v_bfe_u32 v56, v11, 16, 2
	v_bfe_u32 v59, v11, 18, 5
	v_lshlrev_b32_sdwa v60, v112, v11 dst_sel:DWORD dst_unused:UNUSED_PAD src0_sel:DWORD src1_sel:WORD_1
	v_ffbh_u32_e32 v57, v56
	v_cmp_eq_u32_e32 vcc_lo, 0, v59
	v_min_u32_e32 v57, 32, v57
	v_subrev_nc_u32_e32 v58, 29, v57
	v_sub_nc_u32_e32 v57, 30, v57
	v_lshlrev_b32_sdwa v58, v58, v11 dst_sel:DWORD dst_unused:UNUSED_PAD src0_sel:DWORD src1_sel:WORD_1
	v_cndmask_b32_e32 v57, v59, v57, vcc_lo
	v_and_b32_e32 v58, 3, v58
	v_lshl_add_u32 v57, v57, 23, 0x37800000
	v_cndmask_b32_e32 v56, v56, v58, vcc_lo
	v_and_b32_e32 v58, 0x80000000, v60
	v_lshlrev_b32_e32 v56, 21, v56
	v_or3_b32 v56, v58, v57, v56
.LBB4_3971:                             ;   in Loop: Header=BB4_3166 Depth=2
	s_or_b32 exec_lo, exec_lo, s28
	v_max_f32_e32 v56, v56, v56
	v_max_f32_e32 v47, v47, v47
	s_mov_b32 s28, 0
	v_max_f32_e32 v47, v47, v56
.LBB4_3972:                             ;   in Loop: Header=BB4_3166 Depth=2
	s_and_b32 vcc_lo, exec_lo, s28
	s_cbranch_vccz .LBB4_3986
; %bb.3973:                             ;   in Loop: Header=BB4_3166 Depth=2
	s_mov_b32 s12, 0
	s_mov_b32 s28, exec_lo
	v_cmpx_lt_i16_e32 0x7f, v46
	s_xor_b32 s28, exec_lo, s28
	s_cbranch_execz .LBB4_4496
; %bb.3974:                             ;   in Loop: Header=BB4_3166 Depth=2
	s_mov_b32 s12, -1
	s_mov_b32 s29, exec_lo
	v_cmpx_eq_u16_e32 0x80, v46
; %bb.3975:                             ;   in Loop: Header=BB4_3166 Depth=2
	s_xor_b32 s12, exec_lo, -1
; %bb.3976:                             ;   in Loop: Header=BB4_3166 Depth=2
	s_or_b32 exec_lo, exec_lo, s29
	s_and_b32 s12, s12, exec_lo
                                        ; implicit-def: $vgpr46
	s_or_saveexec_b32 s28, s28
	v_mov_b32_e32 v47, 0x7f800001
	s_xor_b32 exec_lo, exec_lo, s28
	s_cbranch_execnz .LBB4_4497
.LBB4_3977:                             ;   in Loop: Header=BB4_3166 Depth=2
	s_or_b32 exec_lo, exec_lo, s28
	s_and_saveexec_b32 s28, s12
	s_cbranch_execz .LBB4_3979
.LBB4_3978:                             ;   in Loop: Header=BB4_3166 Depth=2
	v_bfe_u32 v46, v15, 16, 2
	v_bfe_u32 v57, v15, 18, 5
	v_lshlrev_b32_sdwa v58, v112, v15 dst_sel:DWORD dst_unused:UNUSED_PAD src0_sel:DWORD src1_sel:WORD_1
	v_ffbh_u32_e32 v47, v46
	v_cmp_eq_u32_e32 vcc_lo, 0, v57
	v_min_u32_e32 v47, 32, v47
	v_subrev_nc_u32_e32 v56, 29, v47
	v_sub_nc_u32_e32 v47, 30, v47
	v_lshlrev_b32_sdwa v56, v56, v15 dst_sel:DWORD dst_unused:UNUSED_PAD src0_sel:DWORD src1_sel:WORD_1
	v_cndmask_b32_e32 v47, v57, v47, vcc_lo
	v_and_b32_e32 v56, 3, v56
	v_lshl_add_u32 v47, v47, 23, 0x37800000
	v_cndmask_b32_e32 v46, v46, v56, vcc_lo
	v_and_b32_e32 v56, 0x80000000, v58
	v_lshlrev_b32_e32 v46, 21, v46
	v_or3_b32 v47, v56, v47, v46
.LBB4_3979:                             ;   in Loop: Header=BB4_3166 Depth=2
	s_or_b32 exec_lo, exec_lo, s28
	v_and_b32_sdwa v56, v11, v103 dst_sel:DWORD dst_unused:UNUSED_PAD src0_sel:WORD_1 src1_sel:DWORD
	s_mov_b32 s12, 0
	s_mov_b32 s28, exec_lo
	v_cmpx_lt_i16_e32 0x7f, v56
	s_xor_b32 s28, exec_lo, s28
	s_cbranch_execz .LBB4_4498
; %bb.3980:                             ;   in Loop: Header=BB4_3166 Depth=2
	s_mov_b32 s12, -1
	s_mov_b32 s29, exec_lo
	v_cmpx_eq_u16_e32 0x80, v56
; %bb.3981:                             ;   in Loop: Header=BB4_3166 Depth=2
	s_xor_b32 s12, exec_lo, -1
; %bb.3982:                             ;   in Loop: Header=BB4_3166 Depth=2
	s_or_b32 exec_lo, exec_lo, s29
	s_and_b32 s12, s12, exec_lo
                                        ; implicit-def: $vgpr56
	s_or_saveexec_b32 s28, s28
	v_mov_b32_e32 v46, 0x7f800001
	s_xor_b32 exec_lo, exec_lo, s28
	s_cbranch_execnz .LBB4_4499
.LBB4_3983:                             ;   in Loop: Header=BB4_3166 Depth=2
	s_or_b32 exec_lo, exec_lo, s28
	s_and_saveexec_b32 s28, s12
	s_cbranch_execz .LBB4_3985
.LBB4_3984:                             ;   in Loop: Header=BB4_3166 Depth=2
	v_bfe_u32 v46, v11, 16, 2
	v_bfe_u32 v58, v11, 18, 5
	v_lshlrev_b32_sdwa v59, v112, v11 dst_sel:DWORD dst_unused:UNUSED_PAD src0_sel:DWORD src1_sel:WORD_1
	v_ffbh_u32_e32 v56, v46
	v_cmp_eq_u32_e32 vcc_lo, 0, v58
	v_min_u32_e32 v56, 32, v56
	v_subrev_nc_u32_e32 v57, 29, v56
	v_sub_nc_u32_e32 v56, 30, v56
	v_lshlrev_b32_sdwa v57, v57, v11 dst_sel:DWORD dst_unused:UNUSED_PAD src0_sel:DWORD src1_sel:WORD_1
	v_cndmask_b32_e32 v56, v58, v56, vcc_lo
	v_and_b32_e32 v57, 3, v57
	v_lshl_add_u32 v56, v56, 23, 0x37800000
	v_cndmask_b32_e32 v46, v46, v57, vcc_lo
	v_and_b32_e32 v57, 0x80000000, v59
	v_lshlrev_b32_e32 v46, 21, v46
	v_or3_b32 v46, v57, v56, v46
.LBB4_3985:                             ;   in Loop: Header=BB4_3166 Depth=2
	s_or_b32 exec_lo, exec_lo, s28
	v_max_f32_e32 v46, v46, v46
	v_max_f32_e32 v47, v47, v47
	v_min_f32_e32 v47, v47, v46
.LBB4_3986:                             ;   in Loop: Header=BB4_3166 Depth=2
	v_and_b32_e32 v46, 0x7f800000, v47
	v_cmp_ne_u32_e32 vcc_lo, 0x7f800000, v46
	v_mov_b32_e32 v46, 0x80
	s_and_saveexec_b32 s28, vcc_lo
	s_cbranch_execz .LBB4_3994
; %bb.3987:                             ;   in Loop: Header=BB4_3166 Depth=2
	v_mov_b32_e32 v46, 0
	s_mov_b32 s29, exec_lo
	v_cmpx_ne_u32_e32 0, v47
	s_cbranch_execz .LBB4_3993
; %bb.3988:                             ;   in Loop: Header=BB4_3166 Depth=2
	v_bfe_u32 v46, v47, 23, 8
	v_and_b32_e32 v56, 0x7fffff, v47
	v_sub_nc_u32_e32 v57, 0x70, v46
	v_cmp_gt_u32_e32 vcc_lo, 0x71, v46
	v_or_b32_e32 v58, 0x800000, v56
	v_cndmask_b32_e32 v57, 0, v57, vcc_lo
	v_cmp_eq_u32_e32 vcc_lo, 0, v46
	v_add_nc_u32_e32 v46, 0xffffff91, v46
	v_cndmask_b32_e64 v57, v57, 0x6f, vcc_lo
	v_cndmask_b32_e32 v56, v58, v56, vcc_lo
	v_cndmask_b32_e64 v46, v46, 0xffffff92, vcc_lo
	v_lshl_add_u32 v58, 0x200000, v57, -1
	v_lshrrev_b32_e32 v59, v57, v56
	v_lshlrev_b32_e64 v61, v57, 0x100000
	v_add_nc_u32_e32 v57, v57, v46
	v_and_b32_e32 v56, v58, v56
	v_bfe_u32 v60, v59, 21, 1
	v_cmp_eq_u32_e64 s12, v56, v61
	v_add_nc_u32_e32 v58, -1, v60
	v_cndmask_b32_e64 v56, 0, v58, s12
	v_lshrrev_b32_e32 v58, 23, v59
	s_mov_b32 s12, exec_lo
	v_add_nc_u32_e32 v56, v56, v59
	v_xor_b32_e32 v58, 1, v58
	v_and_b32_e32 v46, 0x1fffff, v56
	v_add_nc_u32_e32 v56, v46, v59
                                        ; implicit-def: $vgpr46
	v_cmpx_ne_u32_e64 v57, v58
	s_xor_b32 s12, exec_lo, s12
; %bb.3989:                             ;   in Loop: Header=BB4_3166 Depth=2
	v_cmp_lt_u32_e32 vcc_lo, 0xffffff, v56
	v_sub_nc_u32_e32 v46, v57, v58
	v_cndmask_b32_e64 v57, 0, 1, vcc_lo
	v_add_co_ci_u32_e64 v46, null, 0, v46, vcc_lo
	v_lshrrev_b32_e32 v56, v57, v56
; %bb.3990:                             ;   in Loop: Header=BB4_3166 Depth=2
	s_andn2_saveexec_b32 s12, s12
; %bb.3991:                             ;   in Loop: Header=BB4_3166 Depth=2
	v_bfe_u32 v46, v56, 23, 1
; %bb.3992:                             ;   in Loop: Header=BB4_3166 Depth=2
	s_or_b32 exec_lo, exec_lo, s12
	v_lshrrev_b32_e32 v56, 21, v56
	v_min_i32_e32 v57, 31, v46
	v_cmp_gt_i32_e32 vcc_lo, 32, v46
	v_and_b32_sdwa v47, v47, v101 dst_sel:DWORD dst_unused:UNUSED_PAD src0_sel:BYTE_3 src1_sel:DWORD
	v_lshlrev_b32_e32 v57, 2, v57
	v_cndmask_b32_e32 v56, 3, v56, vcc_lo
	v_and_b32_e32 v57, 0xfc, v57
	v_and_b32_e32 v58, 3, v56
	v_or_b32_e32 v46, v46, v56
	v_or3_b32 v47, v57, v47, v58
	v_cmp_ne_u32_e32 vcc_lo, 0, v46
	v_cndmask_b32_e32 v46, 0, v47, vcc_lo
.LBB4_3993:                             ;   in Loop: Header=BB4_3166 Depth=2
	s_or_b32 exec_lo, exec_lo, s29
.LBB4_3994:                             ;   in Loop: Header=BB4_3166 Depth=2
	s_or_b32 exec_lo, exec_lo, s28
	v_cmp_gt_i16_sdwa s28, v15, v100 src0_sel:BYTE_3 src1_sel:DWORD
	s_andn2_b32 vcc_lo, exec_lo, s27
	s_mov_b32 s12, -1
                                        ; implicit-def: $vgpr47
	s_cbranch_vccnz .LBB4_4008
; %bb.3995:                             ;   in Loop: Header=BB4_3166 Depth=2
	s_mov_b32 s12, 0
	s_and_saveexec_b32 s29, s28
	s_xor_b32 s28, exec_lo, s29
	s_cbranch_execz .LBB4_4500
; %bb.3996:                             ;   in Loop: Header=BB4_3166 Depth=2
	v_cmp_eq_u16_sdwa s40, v15, v101 src0_sel:BYTE_3 src1_sel:DWORD
	s_mov_b32 s12, -1
	s_and_saveexec_b32 s29, s40
; %bb.3997:                             ;   in Loop: Header=BB4_3166 Depth=2
	s_xor_b32 s12, exec_lo, -1
; %bb.3998:                             ;   in Loop: Header=BB4_3166 Depth=2
	s_or_b32 exec_lo, exec_lo, s29
	s_and_b32 s12, s12, exec_lo
	s_or_saveexec_b32 s28, s28
	v_mov_b32_e32 v47, 0x7f800001
	s_xor_b32 exec_lo, exec_lo, s28
	s_cbranch_execnz .LBB4_4501
.LBB4_3999:                             ;   in Loop: Header=BB4_3166 Depth=2
	s_or_b32 exec_lo, exec_lo, s28
	s_and_saveexec_b32 s28, s12
	s_cbranch_execz .LBB4_4001
.LBB4_4000:                             ;   in Loop: Header=BB4_3166 Depth=2
	v_bfe_u32 v47, v15, 24, 2
	v_bfe_u32 v58, v15, 26, 5
	v_ffbh_u32_e32 v56, v47
	v_cmp_eq_u32_e32 vcc_lo, 0, v58
	v_min_u32_e32 v56, 32, v56
	v_subrev_nc_u32_e32 v57, 29, v56
	v_sub_nc_u32_e32 v56, 30, v56
	v_lshlrev_b32_sdwa v57, v57, v15 dst_sel:DWORD dst_unused:UNUSED_PAD src0_sel:DWORD src1_sel:BYTE_3
	v_cndmask_b32_e32 v56, v58, v56, vcc_lo
	v_and_b32_e32 v57, 3, v57
	v_lshl_add_u32 v56, v56, 23, 0x37800000
	v_cndmask_b32_e32 v47, v47, v57, vcc_lo
	v_and_b32_e32 v57, 0x80000000, v15
	v_lshlrev_b32_e32 v47, 21, v47
	v_or3_b32 v47, v57, v56, v47
.LBB4_4001:                             ;   in Loop: Header=BB4_3166 Depth=2
	s_or_b32 exec_lo, exec_lo, s28
	v_cmp_gt_i16_sdwa s28, v11, v100 src0_sel:BYTE_3 src1_sel:DWORD
	s_mov_b32 s12, 0
	s_and_saveexec_b32 s29, s28
	s_xor_b32 s28, exec_lo, s29
	s_cbranch_execz .LBB4_4502
; %bb.4002:                             ;   in Loop: Header=BB4_3166 Depth=2
	v_cmp_eq_u16_sdwa s40, v11, v101 src0_sel:BYTE_3 src1_sel:DWORD
	s_mov_b32 s12, -1
	s_and_saveexec_b32 s29, s40
; %bb.4003:                             ;   in Loop: Header=BB4_3166 Depth=2
	s_xor_b32 s12, exec_lo, -1
; %bb.4004:                             ;   in Loop: Header=BB4_3166 Depth=2
	s_or_b32 exec_lo, exec_lo, s29
	s_and_b32 s12, s12, exec_lo
	s_or_saveexec_b32 s28, s28
	v_mov_b32_e32 v56, 0x7f800001
	s_xor_b32 exec_lo, exec_lo, s28
	s_cbranch_execnz .LBB4_4503
.LBB4_4005:                             ;   in Loop: Header=BB4_3166 Depth=2
	s_or_b32 exec_lo, exec_lo, s28
	s_and_saveexec_b32 s28, s12
	s_cbranch_execz .LBB4_4007
.LBB4_4006:                             ;   in Loop: Header=BB4_3166 Depth=2
	v_bfe_u32 v56, v11, 24, 2
	v_bfe_u32 v59, v11, 26, 5
	v_ffbh_u32_e32 v57, v56
	v_cmp_eq_u32_e32 vcc_lo, 0, v59
	v_min_u32_e32 v57, 32, v57
	v_subrev_nc_u32_e32 v58, 29, v57
	v_sub_nc_u32_e32 v57, 30, v57
	v_lshlrev_b32_sdwa v58, v58, v11 dst_sel:DWORD dst_unused:UNUSED_PAD src0_sel:DWORD src1_sel:BYTE_3
	v_cndmask_b32_e32 v57, v59, v57, vcc_lo
	v_and_b32_e32 v58, 3, v58
	v_lshl_add_u32 v57, v57, 23, 0x37800000
	v_cndmask_b32_e32 v56, v56, v58, vcc_lo
	v_and_b32_e32 v58, 0x80000000, v11
	v_lshlrev_b32_e32 v56, 21, v56
	v_or3_b32 v56, v58, v57, v56
.LBB4_4007:                             ;   in Loop: Header=BB4_3166 Depth=2
	s_or_b32 exec_lo, exec_lo, s28
	v_max_f32_e32 v56, v56, v56
	v_max_f32_e32 v47, v47, v47
	s_mov_b32 s12, 0
	v_max_f32_e32 v47, v47, v56
.LBB4_4008:                             ;   in Loop: Header=BB4_3166 Depth=2
	s_and_b32 vcc_lo, exec_lo, s12
	s_cbranch_vccz .LBB4_4022
; %bb.4009:                             ;   in Loop: Header=BB4_3166 Depth=2
	v_cmp_gt_i16_sdwa s28, v15, v100 src0_sel:BYTE_3 src1_sel:DWORD
	s_mov_b32 s12, 0
	s_and_saveexec_b32 s29, s28
	s_xor_b32 s28, exec_lo, s29
	s_cbranch_execz .LBB4_4504
; %bb.4010:                             ;   in Loop: Header=BB4_3166 Depth=2
	v_cmp_eq_u16_sdwa s40, v15, v101 src0_sel:BYTE_3 src1_sel:DWORD
	s_mov_b32 s12, -1
	s_and_saveexec_b32 s29, s40
; %bb.4011:                             ;   in Loop: Header=BB4_3166 Depth=2
	s_xor_b32 s12, exec_lo, -1
; %bb.4012:                             ;   in Loop: Header=BB4_3166 Depth=2
	s_or_b32 exec_lo, exec_lo, s29
	s_and_b32 s12, s12, exec_lo
	s_or_saveexec_b32 s28, s28
	v_mov_b32_e32 v47, 0x7f800001
	s_xor_b32 exec_lo, exec_lo, s28
	s_cbranch_execnz .LBB4_4505
.LBB4_4013:                             ;   in Loop: Header=BB4_3166 Depth=2
	s_or_b32 exec_lo, exec_lo, s28
	s_and_saveexec_b32 s28, s12
	s_cbranch_execz .LBB4_4015
.LBB4_4014:                             ;   in Loop: Header=BB4_3166 Depth=2
	v_bfe_u32 v47, v15, 24, 2
	v_bfe_u32 v58, v15, 26, 5
	v_ffbh_u32_e32 v56, v47
	v_cmp_eq_u32_e32 vcc_lo, 0, v58
	v_min_u32_e32 v56, 32, v56
	v_subrev_nc_u32_e32 v57, 29, v56
	v_sub_nc_u32_e32 v56, 30, v56
	v_lshlrev_b32_sdwa v57, v57, v15 dst_sel:DWORD dst_unused:UNUSED_PAD src0_sel:DWORD src1_sel:BYTE_3
	v_cndmask_b32_e32 v56, v58, v56, vcc_lo
	v_and_b32_e32 v15, 0x80000000, v15
	v_and_b32_e32 v57, 3, v57
	v_lshl_add_u32 v56, v56, 23, 0x37800000
	v_cndmask_b32_e32 v47, v47, v57, vcc_lo
	v_lshlrev_b32_e32 v47, 21, v47
	v_or3_b32 v47, v15, v56, v47
.LBB4_4015:                             ;   in Loop: Header=BB4_3166 Depth=2
	s_or_b32 exec_lo, exec_lo, s28
	v_cmp_gt_i16_sdwa s28, v11, v100 src0_sel:BYTE_3 src1_sel:DWORD
	s_mov_b32 s12, 0
	s_and_saveexec_b32 s29, s28
	s_xor_b32 s28, exec_lo, s29
	s_cbranch_execz .LBB4_4506
; %bb.4016:                             ;   in Loop: Header=BB4_3166 Depth=2
	v_cmp_eq_u16_sdwa s40, v11, v101 src0_sel:BYTE_3 src1_sel:DWORD
	s_mov_b32 s12, -1
	s_and_saveexec_b32 s29, s40
; %bb.4017:                             ;   in Loop: Header=BB4_3166 Depth=2
	s_xor_b32 s12, exec_lo, -1
; %bb.4018:                             ;   in Loop: Header=BB4_3166 Depth=2
	s_or_b32 exec_lo, exec_lo, s29
	s_and_b32 s12, s12, exec_lo
	s_or_saveexec_b32 s28, s28
	v_mov_b32_e32 v15, 0x7f800001
	s_xor_b32 exec_lo, exec_lo, s28
	s_cbranch_execnz .LBB4_4507
.LBB4_4019:                             ;   in Loop: Header=BB4_3166 Depth=2
	s_or_b32 exec_lo, exec_lo, s28
	s_and_saveexec_b32 s28, s12
	s_cbranch_execz .LBB4_4021
.LBB4_4020:                             ;   in Loop: Header=BB4_3166 Depth=2
	v_bfe_u32 v15, v11, 24, 2
	v_bfe_u32 v58, v11, 26, 5
	v_ffbh_u32_e32 v56, v15
	v_cmp_eq_u32_e32 vcc_lo, 0, v58
	v_min_u32_e32 v56, 32, v56
	v_subrev_nc_u32_e32 v57, 29, v56
	v_sub_nc_u32_e32 v56, 30, v56
	v_lshlrev_b32_sdwa v57, v57, v11 dst_sel:DWORD dst_unused:UNUSED_PAD src0_sel:DWORD src1_sel:BYTE_3
	v_cndmask_b32_e32 v56, v58, v56, vcc_lo
	v_and_b32_e32 v11, 0x80000000, v11
	v_and_b32_e32 v57, 3, v57
	v_lshl_add_u32 v56, v56, 23, 0x37800000
	v_cndmask_b32_e32 v15, v15, v57, vcc_lo
	v_lshlrev_b32_e32 v15, 21, v15
	v_or3_b32 v15, v11, v56, v15
.LBB4_4021:                             ;   in Loop: Header=BB4_3166 Depth=2
	s_or_b32 exec_lo, exec_lo, s28
	v_max_f32_e32 v11, v15, v15
	v_max_f32_e32 v15, v47, v47
	v_min_f32_e32 v47, v15, v11
.LBB4_4022:                             ;   in Loop: Header=BB4_3166 Depth=2
	v_and_b32_e32 v11, 0x7f800000, v47
	v_cmp_ne_u32_e32 vcc_lo, 0x7f800000, v11
	v_mov_b32_e32 v11, 0x8000
	s_and_saveexec_b32 s28, vcc_lo
	s_cbranch_execz .LBB4_4030
; %bb.4023:                             ;   in Loop: Header=BB4_3166 Depth=2
	v_mov_b32_e32 v11, 0
	s_mov_b32 s29, exec_lo
	v_cmpx_ne_u32_e32 0, v47
	s_cbranch_execz .LBB4_4029
; %bb.4024:                             ;   in Loop: Header=BB4_3166 Depth=2
	v_bfe_u32 v11, v47, 23, 8
	v_and_b32_e32 v15, 0x7fffff, v47
	v_sub_nc_u32_e32 v56, 0x70, v11
	v_cmp_gt_u32_e32 vcc_lo, 0x71, v11
	v_or_b32_e32 v57, 0x800000, v15
	v_cndmask_b32_e32 v56, 0, v56, vcc_lo
	v_cmp_eq_u32_e32 vcc_lo, 0, v11
	v_add_nc_u32_e32 v11, 0xffffff91, v11
	v_cndmask_b32_e64 v56, v56, 0x6f, vcc_lo
	v_cndmask_b32_e32 v15, v57, v15, vcc_lo
	v_cndmask_b32_e64 v11, v11, 0xffffff92, vcc_lo
	v_lshl_add_u32 v57, 0x200000, v56, -1
	v_lshrrev_b32_e32 v58, v56, v15
	v_lshlrev_b32_e64 v60, v56, 0x100000
	v_add_nc_u32_e32 v56, v56, v11
	v_and_b32_e32 v15, v57, v15
	v_bfe_u32 v59, v58, 21, 1
	v_cmp_eq_u32_e64 s12, v15, v60
	v_add_nc_u32_e32 v57, -1, v59
	v_cndmask_b32_e64 v15, 0, v57, s12
	v_lshrrev_b32_e32 v57, 23, v58
	s_mov_b32 s12, exec_lo
	v_add_nc_u32_e32 v15, v15, v58
	v_xor_b32_e32 v57, 1, v57
	v_and_b32_e32 v11, 0x1fffff, v15
	v_add_nc_u32_e32 v15, v11, v58
                                        ; implicit-def: $vgpr11
	v_cmpx_ne_u32_e64 v56, v57
	s_xor_b32 s12, exec_lo, s12
; %bb.4025:                             ;   in Loop: Header=BB4_3166 Depth=2
	v_cmp_lt_u32_e32 vcc_lo, 0xffffff, v15
	v_sub_nc_u32_e32 v11, v56, v57
	v_cndmask_b32_e64 v56, 0, 1, vcc_lo
	v_add_co_ci_u32_e64 v11, null, 0, v11, vcc_lo
	v_lshrrev_b32_e32 v15, v56, v15
; %bb.4026:                             ;   in Loop: Header=BB4_3166 Depth=2
	s_andn2_saveexec_b32 s12, s12
; %bb.4027:                             ;   in Loop: Header=BB4_3166 Depth=2
	v_bfe_u32 v11, v15, 23, 1
; %bb.4028:                             ;   in Loop: Header=BB4_3166 Depth=2
	s_or_b32 exec_lo, exec_lo, s12
	v_lshrrev_b32_e32 v15, 21, v15
	v_min_i32_e32 v56, 31, v11
	v_cmp_gt_i32_e32 vcc_lo, 32, v11
	v_and_b32_sdwa v47, v47, v101 dst_sel:DWORD dst_unused:UNUSED_PAD src0_sel:BYTE_3 src1_sel:DWORD
	v_lshlrev_b32_e32 v56, 2, v56
	v_cndmask_b32_e32 v15, 3, v15, vcc_lo
	v_and_b32_e32 v56, 0xfc, v56
	v_and_b32_e32 v57, 3, v15
	v_or_b32_e32 v11, v11, v15
	v_or3_b32 v47, v47, v56, v57
	v_cmp_ne_u32_e32 vcc_lo, 0, v11
	v_lshlrev_b32_e32 v15, 8, v47
	v_cndmask_b32_e32 v11, 0, v15, vcc_lo
.LBB4_4029:                             ;   in Loop: Header=BB4_3166 Depth=2
	s_or_b32 exec_lo, exec_lo, s29
.LBB4_4030:                             ;   in Loop: Header=BB4_3166 Depth=2
	s_or_b32 exec_lo, exec_lo, s28
	v_cmp_gt_i16_sdwa s28, v16, v100 src0_sel:BYTE_0 src1_sel:DWORD
	s_andn2_b32 vcc_lo, exec_lo, s27
	s_mov_b32 s12, -1
                                        ; implicit-def: $vgpr47
	s_cbranch_vccnz .LBB4_4044
; %bb.4031:                             ;   in Loop: Header=BB4_3166 Depth=2
	s_mov_b32 s12, 0
	s_and_saveexec_b32 s29, s28
	s_xor_b32 s28, exec_lo, s29
	s_cbranch_execz .LBB4_4508
; %bb.4032:                             ;   in Loop: Header=BB4_3166 Depth=2
	v_cmp_eq_u16_sdwa s40, v16, v101 src0_sel:BYTE_0 src1_sel:DWORD
	s_mov_b32 s12, -1
	s_and_saveexec_b32 s29, s40
; %bb.4033:                             ;   in Loop: Header=BB4_3166 Depth=2
	s_xor_b32 s12, exec_lo, -1
; %bb.4034:                             ;   in Loop: Header=BB4_3166 Depth=2
	s_or_b32 exec_lo, exec_lo, s29
	s_and_b32 s12, s12, exec_lo
	s_or_saveexec_b32 s28, s28
	v_mov_b32_e32 v15, 0x7f800001
	s_xor_b32 exec_lo, exec_lo, s28
	s_cbranch_execnz .LBB4_4509
.LBB4_4035:                             ;   in Loop: Header=BB4_3166 Depth=2
	s_or_b32 exec_lo, exec_lo, s28
	s_and_saveexec_b32 s28, s12
	s_cbranch_execz .LBB4_4037
.LBB4_4036:                             ;   in Loop: Header=BB4_3166 Depth=2
	v_and_b32_e32 v15, 3, v16
	v_bfe_u32 v57, v16, 2, 5
	v_lshlrev_b32_e32 v58, 24, v16
	v_ffbh_u32_e32 v47, v15
	v_cmp_eq_u32_e32 vcc_lo, 0, v57
	v_min_u32_e32 v47, 32, v47
	v_subrev_nc_u32_e32 v56, 29, v47
	v_sub_nc_u32_e32 v47, 30, v47
	v_lshlrev_b32_e32 v56, v56, v16
	v_cndmask_b32_e32 v47, v57, v47, vcc_lo
	v_and_b32_e32 v56, 3, v56
	v_lshl_add_u32 v47, v47, 23, 0x37800000
	v_cndmask_b32_e32 v15, v15, v56, vcc_lo
	v_and_b32_e32 v56, 0x80000000, v58
	v_lshlrev_b32_e32 v15, 21, v15
	v_or3_b32 v15, v56, v47, v15
.LBB4_4037:                             ;   in Loop: Header=BB4_3166 Depth=2
	s_or_b32 exec_lo, exec_lo, s28
	v_cmp_gt_i16_sdwa s28, v12, v100 src0_sel:BYTE_0 src1_sel:DWORD
	s_mov_b32 s12, 0
	s_and_saveexec_b32 s29, s28
	s_xor_b32 s28, exec_lo, s29
	s_cbranch_execz .LBB4_4510
; %bb.4038:                             ;   in Loop: Header=BB4_3166 Depth=2
	v_cmp_eq_u16_sdwa s40, v12, v101 src0_sel:BYTE_0 src1_sel:DWORD
	s_mov_b32 s12, -1
	s_and_saveexec_b32 s29, s40
; %bb.4039:                             ;   in Loop: Header=BB4_3166 Depth=2
	s_xor_b32 s12, exec_lo, -1
; %bb.4040:                             ;   in Loop: Header=BB4_3166 Depth=2
	s_or_b32 exec_lo, exec_lo, s29
	s_and_b32 s12, s12, exec_lo
	s_or_saveexec_b32 s28, s28
	v_mov_b32_e32 v47, 0x7f800001
	s_xor_b32 exec_lo, exec_lo, s28
	s_cbranch_execnz .LBB4_4511
.LBB4_4041:                             ;   in Loop: Header=BB4_3166 Depth=2
	s_or_b32 exec_lo, exec_lo, s28
	s_and_saveexec_b32 s28, s12
	s_cbranch_execz .LBB4_4043
.LBB4_4042:                             ;   in Loop: Header=BB4_3166 Depth=2
	v_and_b32_e32 v47, 3, v12
	v_bfe_u32 v58, v12, 2, 5
	v_lshlrev_b32_e32 v59, 24, v12
	v_ffbh_u32_e32 v56, v47
	v_cmp_eq_u32_e32 vcc_lo, 0, v58
	v_min_u32_e32 v56, 32, v56
	v_subrev_nc_u32_e32 v57, 29, v56
	v_sub_nc_u32_e32 v56, 30, v56
	v_lshlrev_b32_e32 v57, v57, v12
	v_cndmask_b32_e32 v56, v58, v56, vcc_lo
	v_and_b32_e32 v57, 3, v57
	v_lshl_add_u32 v56, v56, 23, 0x37800000
	v_cndmask_b32_e32 v47, v47, v57, vcc_lo
	v_and_b32_e32 v57, 0x80000000, v59
	v_lshlrev_b32_e32 v47, 21, v47
	v_or3_b32 v47, v57, v56, v47
.LBB4_4043:                             ;   in Loop: Header=BB4_3166 Depth=2
	s_or_b32 exec_lo, exec_lo, s28
	v_max_f32_e32 v47, v47, v47
	v_max_f32_e32 v15, v15, v15
	s_mov_b32 s12, 0
	v_max_f32_e32 v47, v15, v47
.LBB4_4044:                             ;   in Loop: Header=BB4_3166 Depth=2
	s_and_b32 vcc_lo, exec_lo, s12
	s_cbranch_vccz .LBB4_4058
; %bb.4045:                             ;   in Loop: Header=BB4_3166 Depth=2
	v_cmp_gt_i16_sdwa s28, v16, v100 src0_sel:BYTE_0 src1_sel:DWORD
	s_mov_b32 s12, 0
	s_and_saveexec_b32 s29, s28
	s_xor_b32 s28, exec_lo, s29
	s_cbranch_execz .LBB4_4512
; %bb.4046:                             ;   in Loop: Header=BB4_3166 Depth=2
	v_cmp_eq_u16_sdwa s40, v16, v101 src0_sel:BYTE_0 src1_sel:DWORD
	s_mov_b32 s12, -1
	s_and_saveexec_b32 s29, s40
; %bb.4047:                             ;   in Loop: Header=BB4_3166 Depth=2
	s_xor_b32 s12, exec_lo, -1
; %bb.4048:                             ;   in Loop: Header=BB4_3166 Depth=2
	s_or_b32 exec_lo, exec_lo, s29
	s_and_b32 s12, s12, exec_lo
	s_or_saveexec_b32 s28, s28
	v_mov_b32_e32 v15, 0x7f800001
	s_xor_b32 exec_lo, exec_lo, s28
	s_cbranch_execnz .LBB4_4513
.LBB4_4049:                             ;   in Loop: Header=BB4_3166 Depth=2
	s_or_b32 exec_lo, exec_lo, s28
	s_and_saveexec_b32 s28, s12
	s_cbranch_execz .LBB4_4051
.LBB4_4050:                             ;   in Loop: Header=BB4_3166 Depth=2
	v_and_b32_e32 v15, 3, v16
	v_bfe_u32 v57, v16, 2, 5
	v_lshlrev_b32_e32 v58, 24, v16
	v_ffbh_u32_e32 v47, v15
	v_cmp_eq_u32_e32 vcc_lo, 0, v57
	v_min_u32_e32 v47, 32, v47
	v_subrev_nc_u32_e32 v56, 29, v47
	v_sub_nc_u32_e32 v47, 30, v47
	v_lshlrev_b32_e32 v56, v56, v16
	v_cndmask_b32_e32 v47, v57, v47, vcc_lo
	v_and_b32_e32 v56, 3, v56
	v_lshl_add_u32 v47, v47, 23, 0x37800000
	v_cndmask_b32_e32 v15, v15, v56, vcc_lo
	v_and_b32_e32 v56, 0x80000000, v58
	v_lshlrev_b32_e32 v15, 21, v15
	v_or3_b32 v15, v56, v47, v15
.LBB4_4051:                             ;   in Loop: Header=BB4_3166 Depth=2
	s_or_b32 exec_lo, exec_lo, s28
	v_cmp_gt_i16_sdwa s28, v12, v100 src0_sel:BYTE_0 src1_sel:DWORD
	s_mov_b32 s12, 0
	s_and_saveexec_b32 s29, s28
	s_xor_b32 s28, exec_lo, s29
	s_cbranch_execz .LBB4_4514
; %bb.4052:                             ;   in Loop: Header=BB4_3166 Depth=2
	v_cmp_eq_u16_sdwa s40, v12, v101 src0_sel:BYTE_0 src1_sel:DWORD
	s_mov_b32 s12, -1
	s_and_saveexec_b32 s29, s40
; %bb.4053:                             ;   in Loop: Header=BB4_3166 Depth=2
	s_xor_b32 s12, exec_lo, -1
; %bb.4054:                             ;   in Loop: Header=BB4_3166 Depth=2
	s_or_b32 exec_lo, exec_lo, s29
	s_and_b32 s12, s12, exec_lo
	s_or_saveexec_b32 s28, s28
	v_mov_b32_e32 v47, 0x7f800001
	s_xor_b32 exec_lo, exec_lo, s28
	s_cbranch_execnz .LBB4_4515
.LBB4_4055:                             ;   in Loop: Header=BB4_3166 Depth=2
	s_or_b32 exec_lo, exec_lo, s28
	s_and_saveexec_b32 s28, s12
	s_cbranch_execz .LBB4_4057
.LBB4_4056:                             ;   in Loop: Header=BB4_3166 Depth=2
	v_and_b32_e32 v47, 3, v12
	v_bfe_u32 v58, v12, 2, 5
	v_lshlrev_b32_e32 v59, 24, v12
	v_ffbh_u32_e32 v56, v47
	v_cmp_eq_u32_e32 vcc_lo, 0, v58
	v_min_u32_e32 v56, 32, v56
	v_subrev_nc_u32_e32 v57, 29, v56
	v_sub_nc_u32_e32 v56, 30, v56
	v_lshlrev_b32_e32 v57, v57, v12
	v_cndmask_b32_e32 v56, v58, v56, vcc_lo
	v_and_b32_e32 v57, 3, v57
	v_lshl_add_u32 v56, v56, 23, 0x37800000
	v_cndmask_b32_e32 v47, v47, v57, vcc_lo
	v_and_b32_e32 v57, 0x80000000, v59
	v_lshlrev_b32_e32 v47, 21, v47
	v_or3_b32 v47, v57, v56, v47
.LBB4_4057:                             ;   in Loop: Header=BB4_3166 Depth=2
	s_or_b32 exec_lo, exec_lo, s28
	v_max_f32_e32 v47, v47, v47
	v_max_f32_e32 v15, v15, v15
	v_min_f32_e32 v47, v15, v47
.LBB4_4058:                             ;   in Loop: Header=BB4_3166 Depth=2
	v_and_b32_e32 v15, 0x7f800000, v47
	v_cmp_ne_u32_e32 vcc_lo, 0x7f800000, v15
	v_mov_b32_e32 v15, 0x80
	s_and_saveexec_b32 s28, vcc_lo
	s_cbranch_execz .LBB4_4066
; %bb.4059:                             ;   in Loop: Header=BB4_3166 Depth=2
	v_mov_b32_e32 v15, 0
	s_mov_b32 s29, exec_lo
	v_cmpx_ne_u32_e32 0, v47
	s_cbranch_execz .LBB4_4065
; %bb.4060:                             ;   in Loop: Header=BB4_3166 Depth=2
	v_bfe_u32 v15, v47, 23, 8
	v_and_b32_e32 v56, 0x7fffff, v47
	v_sub_nc_u32_e32 v57, 0x70, v15
	v_cmp_gt_u32_e32 vcc_lo, 0x71, v15
	v_or_b32_e32 v58, 0x800000, v56
	v_cndmask_b32_e32 v57, 0, v57, vcc_lo
	v_cmp_eq_u32_e32 vcc_lo, 0, v15
	v_add_nc_u32_e32 v15, 0xffffff91, v15
	v_cndmask_b32_e64 v57, v57, 0x6f, vcc_lo
	v_cndmask_b32_e32 v56, v58, v56, vcc_lo
	v_cndmask_b32_e64 v15, v15, 0xffffff92, vcc_lo
	v_lshl_add_u32 v58, 0x200000, v57, -1
	v_lshrrev_b32_e32 v59, v57, v56
	v_lshlrev_b32_e64 v61, v57, 0x100000
	v_add_nc_u32_e32 v57, v57, v15
	v_and_b32_e32 v56, v58, v56
	v_bfe_u32 v60, v59, 21, 1
	v_cmp_eq_u32_e64 s12, v56, v61
	v_add_nc_u32_e32 v58, -1, v60
	v_cndmask_b32_e64 v56, 0, v58, s12
	v_lshrrev_b32_e32 v58, 23, v59
	s_mov_b32 s12, exec_lo
	v_add_nc_u32_e32 v56, v56, v59
	v_xor_b32_e32 v58, 1, v58
	v_and_b32_e32 v15, 0x1fffff, v56
	v_add_nc_u32_e32 v56, v15, v59
                                        ; implicit-def: $vgpr15
	v_cmpx_ne_u32_e64 v57, v58
	s_xor_b32 s12, exec_lo, s12
; %bb.4061:                             ;   in Loop: Header=BB4_3166 Depth=2
	v_cmp_lt_u32_e32 vcc_lo, 0xffffff, v56
	v_sub_nc_u32_e32 v15, v57, v58
	v_cndmask_b32_e64 v57, 0, 1, vcc_lo
	v_add_co_ci_u32_e64 v15, null, 0, v15, vcc_lo
	v_lshrrev_b32_e32 v56, v57, v56
; %bb.4062:                             ;   in Loop: Header=BB4_3166 Depth=2
	s_andn2_saveexec_b32 s12, s12
; %bb.4063:                             ;   in Loop: Header=BB4_3166 Depth=2
	v_bfe_u32 v15, v56, 23, 1
; %bb.4064:                             ;   in Loop: Header=BB4_3166 Depth=2
	s_or_b32 exec_lo, exec_lo, s12
	v_lshrrev_b32_e32 v56, 21, v56
	v_min_i32_e32 v57, 31, v15
	v_cmp_gt_i32_e32 vcc_lo, 32, v15
	v_and_b32_sdwa v47, v47, v101 dst_sel:DWORD dst_unused:UNUSED_PAD src0_sel:BYTE_3 src1_sel:DWORD
	v_lshlrev_b32_e32 v57, 2, v57
	v_cndmask_b32_e32 v56, 3, v56, vcc_lo
	v_and_b32_e32 v57, 0xfc, v57
	v_and_b32_e32 v58, 3, v56
	v_or_b32_e32 v15, v15, v56
	v_or3_b32 v47, v57, v47, v58
	v_cmp_ne_u32_e32 vcc_lo, 0, v15
	v_cndmask_b32_e32 v15, 0, v47, vcc_lo
.LBB4_4065:                             ;   in Loop: Header=BB4_3166 Depth=2
	s_or_b32 exec_lo, exec_lo, s29
.LBB4_4066:                             ;   in Loop: Header=BB4_3166 Depth=2
	s_or_b32 exec_lo, exec_lo, s28
	v_cmp_gt_i16_sdwa s28, v16, v100 src0_sel:BYTE_1 src1_sel:DWORD
	s_andn2_b32 vcc_lo, exec_lo, s27
	s_mov_b32 s12, -1
                                        ; implicit-def: $vgpr56
	s_cbranch_vccnz .LBB4_4080
; %bb.4067:                             ;   in Loop: Header=BB4_3166 Depth=2
	s_mov_b32 s12, 0
	s_and_saveexec_b32 s29, s28
	s_xor_b32 s28, exec_lo, s29
	s_cbranch_execz .LBB4_4516
; %bb.4068:                             ;   in Loop: Header=BB4_3166 Depth=2
	v_cmp_eq_u16_sdwa s40, v16, v101 src0_sel:BYTE_1 src1_sel:DWORD
	s_mov_b32 s12, -1
	s_and_saveexec_b32 s29, s40
; %bb.4069:                             ;   in Loop: Header=BB4_3166 Depth=2
	s_xor_b32 s12, exec_lo, -1
; %bb.4070:                             ;   in Loop: Header=BB4_3166 Depth=2
	s_or_b32 exec_lo, exec_lo, s29
	s_and_b32 s12, s12, exec_lo
	s_or_saveexec_b32 s28, s28
	v_mov_b32_e32 v47, 0x7f800001
	s_xor_b32 exec_lo, exec_lo, s28
	s_cbranch_execnz .LBB4_4517
.LBB4_4071:                             ;   in Loop: Header=BB4_3166 Depth=2
	s_or_b32 exec_lo, exec_lo, s28
	s_and_saveexec_b32 s28, s12
	s_cbranch_execz .LBB4_4073
.LBB4_4072:                             ;   in Loop: Header=BB4_3166 Depth=2
	v_and_b32_sdwa v47, v102, v16 dst_sel:DWORD dst_unused:UNUSED_PAD src0_sel:DWORD src1_sel:BYTE_1
	v_and_b32_e32 v56, 3, v47
	v_bfe_u32 v59, v47, 2, 5
	v_ffbh_u32_e32 v57, v56
	v_cmp_eq_u32_e32 vcc_lo, 0, v59
	v_min_u32_e32 v57, 32, v57
	v_subrev_nc_u32_e32 v58, 29, v57
	v_sub_nc_u32_e32 v57, 30, v57
	v_lshlrev_b32_e32 v47, v58, v47
	v_lshlrev_b32_e32 v58, 16, v16
	v_cndmask_b32_e32 v57, v59, v57, vcc_lo
	v_and_b32_e32 v47, 3, v47
	v_lshl_add_u32 v57, v57, 23, 0x37800000
	v_cndmask_b32_e32 v47, v56, v47, vcc_lo
	v_and_b32_e32 v56, 0x80000000, v58
	v_lshlrev_b32_e32 v47, 21, v47
	v_or3_b32 v47, v56, v57, v47
.LBB4_4073:                             ;   in Loop: Header=BB4_3166 Depth=2
	s_or_b32 exec_lo, exec_lo, s28
	v_cmp_gt_i16_sdwa s28, v12, v100 src0_sel:BYTE_1 src1_sel:DWORD
	s_mov_b32 s12, 0
	s_and_saveexec_b32 s29, s28
	s_xor_b32 s28, exec_lo, s29
	s_cbranch_execz .LBB4_4518
; %bb.4074:                             ;   in Loop: Header=BB4_3166 Depth=2
	v_cmp_eq_u16_sdwa s40, v12, v101 src0_sel:BYTE_1 src1_sel:DWORD
	s_mov_b32 s12, -1
	s_and_saveexec_b32 s29, s40
; %bb.4075:                             ;   in Loop: Header=BB4_3166 Depth=2
	s_xor_b32 s12, exec_lo, -1
; %bb.4076:                             ;   in Loop: Header=BB4_3166 Depth=2
	s_or_b32 exec_lo, exec_lo, s29
	s_and_b32 s12, s12, exec_lo
	s_or_saveexec_b32 s28, s28
	v_mov_b32_e32 v56, 0x7f800001
	s_xor_b32 exec_lo, exec_lo, s28
	s_cbranch_execnz .LBB4_4519
.LBB4_4077:                             ;   in Loop: Header=BB4_3166 Depth=2
	s_or_b32 exec_lo, exec_lo, s28
	s_and_saveexec_b32 s28, s12
	s_cbranch_execz .LBB4_4079
.LBB4_4078:                             ;   in Loop: Header=BB4_3166 Depth=2
	v_and_b32_sdwa v56, v102, v12 dst_sel:DWORD dst_unused:UNUSED_PAD src0_sel:DWORD src1_sel:BYTE_1
	v_and_b32_e32 v57, 3, v56
	v_bfe_u32 v60, v56, 2, 5
	v_ffbh_u32_e32 v58, v57
	v_cmp_eq_u32_e32 vcc_lo, 0, v60
	v_min_u32_e32 v58, 32, v58
	v_subrev_nc_u32_e32 v59, 29, v58
	v_sub_nc_u32_e32 v58, 30, v58
	v_lshlrev_b32_e32 v56, v59, v56
	v_lshlrev_b32_e32 v59, 16, v12
	v_cndmask_b32_e32 v58, v60, v58, vcc_lo
	v_and_b32_e32 v56, 3, v56
	v_lshl_add_u32 v58, v58, 23, 0x37800000
	v_cndmask_b32_e32 v56, v57, v56, vcc_lo
	v_and_b32_e32 v57, 0x80000000, v59
	v_lshlrev_b32_e32 v56, 21, v56
	v_or3_b32 v56, v57, v58, v56
.LBB4_4079:                             ;   in Loop: Header=BB4_3166 Depth=2
	s_or_b32 exec_lo, exec_lo, s28
	v_max_f32_e32 v56, v56, v56
	v_max_f32_e32 v47, v47, v47
	s_mov_b32 s12, 0
	v_max_f32_e32 v56, v47, v56
.LBB4_4080:                             ;   in Loop: Header=BB4_3166 Depth=2
	s_and_b32 vcc_lo, exec_lo, s12
	s_cbranch_vccz .LBB4_4094
; %bb.4081:                             ;   in Loop: Header=BB4_3166 Depth=2
	v_cmp_gt_i16_sdwa s28, v16, v100 src0_sel:BYTE_1 src1_sel:DWORD
	s_mov_b32 s12, 0
	s_and_saveexec_b32 s29, s28
	s_xor_b32 s28, exec_lo, s29
	s_cbranch_execz .LBB4_4520
; %bb.4082:                             ;   in Loop: Header=BB4_3166 Depth=2
	v_cmp_eq_u16_sdwa s40, v16, v101 src0_sel:BYTE_1 src1_sel:DWORD
	s_mov_b32 s12, -1
	s_and_saveexec_b32 s29, s40
; %bb.4083:                             ;   in Loop: Header=BB4_3166 Depth=2
	s_xor_b32 s12, exec_lo, -1
; %bb.4084:                             ;   in Loop: Header=BB4_3166 Depth=2
	s_or_b32 exec_lo, exec_lo, s29
	s_and_b32 s12, s12, exec_lo
	s_or_saveexec_b32 s28, s28
	v_mov_b32_e32 v47, 0x7f800001
	s_xor_b32 exec_lo, exec_lo, s28
	s_cbranch_execnz .LBB4_4521
.LBB4_4085:                             ;   in Loop: Header=BB4_3166 Depth=2
	s_or_b32 exec_lo, exec_lo, s28
	s_and_saveexec_b32 s28, s12
	s_cbranch_execz .LBB4_4087
.LBB4_4086:                             ;   in Loop: Header=BB4_3166 Depth=2
	v_and_b32_sdwa v47, v102, v16 dst_sel:DWORD dst_unused:UNUSED_PAD src0_sel:DWORD src1_sel:BYTE_1
	v_and_b32_e32 v56, 3, v47
	v_bfe_u32 v59, v47, 2, 5
	v_ffbh_u32_e32 v57, v56
	v_cmp_eq_u32_e32 vcc_lo, 0, v59
	v_min_u32_e32 v57, 32, v57
	v_subrev_nc_u32_e32 v58, 29, v57
	v_sub_nc_u32_e32 v57, 30, v57
	v_lshlrev_b32_e32 v47, v58, v47
	v_lshlrev_b32_e32 v58, 16, v16
	v_cndmask_b32_e32 v57, v59, v57, vcc_lo
	v_and_b32_e32 v47, 3, v47
	v_lshl_add_u32 v57, v57, 23, 0x37800000
	v_cndmask_b32_e32 v47, v56, v47, vcc_lo
	v_and_b32_e32 v56, 0x80000000, v58
	v_lshlrev_b32_e32 v47, 21, v47
	v_or3_b32 v47, v56, v57, v47
.LBB4_4087:                             ;   in Loop: Header=BB4_3166 Depth=2
	s_or_b32 exec_lo, exec_lo, s28
	v_cmp_gt_i16_sdwa s28, v12, v100 src0_sel:BYTE_1 src1_sel:DWORD
	s_mov_b32 s12, 0
	s_and_saveexec_b32 s29, s28
	s_xor_b32 s28, exec_lo, s29
	s_cbranch_execz .LBB4_4522
; %bb.4088:                             ;   in Loop: Header=BB4_3166 Depth=2
	v_cmp_eq_u16_sdwa s40, v12, v101 src0_sel:BYTE_1 src1_sel:DWORD
	s_mov_b32 s12, -1
	s_and_saveexec_b32 s29, s40
; %bb.4089:                             ;   in Loop: Header=BB4_3166 Depth=2
	s_xor_b32 s12, exec_lo, -1
; %bb.4090:                             ;   in Loop: Header=BB4_3166 Depth=2
	s_or_b32 exec_lo, exec_lo, s29
	s_and_b32 s12, s12, exec_lo
	s_or_saveexec_b32 s28, s28
	v_mov_b32_e32 v56, 0x7f800001
	s_xor_b32 exec_lo, exec_lo, s28
	s_cbranch_execnz .LBB4_4523
.LBB4_4091:                             ;   in Loop: Header=BB4_3166 Depth=2
	s_or_b32 exec_lo, exec_lo, s28
	s_and_saveexec_b32 s28, s12
	s_cbranch_execz .LBB4_4093
.LBB4_4092:                             ;   in Loop: Header=BB4_3166 Depth=2
	v_and_b32_sdwa v56, v102, v12 dst_sel:DWORD dst_unused:UNUSED_PAD src0_sel:DWORD src1_sel:BYTE_1
	v_and_b32_e32 v57, 3, v56
	v_bfe_u32 v60, v56, 2, 5
	v_ffbh_u32_e32 v58, v57
	v_cmp_eq_u32_e32 vcc_lo, 0, v60
	v_min_u32_e32 v58, 32, v58
	v_subrev_nc_u32_e32 v59, 29, v58
	v_sub_nc_u32_e32 v58, 30, v58
	v_lshlrev_b32_e32 v56, v59, v56
	v_lshlrev_b32_e32 v59, 16, v12
	v_cndmask_b32_e32 v58, v60, v58, vcc_lo
	v_and_b32_e32 v56, 3, v56
	v_lshl_add_u32 v58, v58, 23, 0x37800000
	v_cndmask_b32_e32 v56, v57, v56, vcc_lo
	v_and_b32_e32 v57, 0x80000000, v59
	v_lshlrev_b32_e32 v56, 21, v56
	v_or3_b32 v56, v57, v58, v56
.LBB4_4093:                             ;   in Loop: Header=BB4_3166 Depth=2
	s_or_b32 exec_lo, exec_lo, s28
	v_max_f32_e32 v56, v56, v56
	v_max_f32_e32 v47, v47, v47
	v_min_f32_e32 v56, v47, v56
.LBB4_4094:                             ;   in Loop: Header=BB4_3166 Depth=2
	v_and_b32_e32 v47, 0x7f800000, v56
	v_cmp_ne_u32_e32 vcc_lo, 0x7f800000, v47
	v_mov_b32_e32 v47, 0x8000
	s_and_saveexec_b32 s28, vcc_lo
	s_cbranch_execz .LBB4_4102
; %bb.4095:                             ;   in Loop: Header=BB4_3166 Depth=2
	v_mov_b32_e32 v47, 0
	s_mov_b32 s29, exec_lo
	v_cmpx_ne_u32_e32 0, v56
	s_cbranch_execz .LBB4_4101
; %bb.4096:                             ;   in Loop: Header=BB4_3166 Depth=2
	v_bfe_u32 v47, v56, 23, 8
	v_and_b32_e32 v57, 0x7fffff, v56
	v_sub_nc_u32_e32 v58, 0x70, v47
	v_cmp_gt_u32_e32 vcc_lo, 0x71, v47
	v_or_b32_e32 v59, 0x800000, v57
	v_cndmask_b32_e32 v58, 0, v58, vcc_lo
	v_cmp_eq_u32_e32 vcc_lo, 0, v47
	v_add_nc_u32_e32 v47, 0xffffff91, v47
	v_cndmask_b32_e64 v58, v58, 0x6f, vcc_lo
	v_cndmask_b32_e32 v57, v59, v57, vcc_lo
	v_cndmask_b32_e64 v47, v47, 0xffffff92, vcc_lo
	v_lshl_add_u32 v59, 0x200000, v58, -1
	v_lshrrev_b32_e32 v60, v58, v57
	v_lshlrev_b32_e64 v62, v58, 0x100000
	v_add_nc_u32_e32 v58, v58, v47
	v_and_b32_e32 v57, v59, v57
	v_bfe_u32 v61, v60, 21, 1
	v_cmp_eq_u32_e64 s12, v57, v62
	v_add_nc_u32_e32 v59, -1, v61
	v_cndmask_b32_e64 v57, 0, v59, s12
	v_lshrrev_b32_e32 v59, 23, v60
	s_mov_b32 s12, exec_lo
	v_add_nc_u32_e32 v57, v57, v60
	v_xor_b32_e32 v59, 1, v59
	v_and_b32_e32 v47, 0x1fffff, v57
	v_add_nc_u32_e32 v57, v47, v60
                                        ; implicit-def: $vgpr47
	v_cmpx_ne_u32_e64 v58, v59
	s_xor_b32 s12, exec_lo, s12
; %bb.4097:                             ;   in Loop: Header=BB4_3166 Depth=2
	v_cmp_lt_u32_e32 vcc_lo, 0xffffff, v57
	v_sub_nc_u32_e32 v47, v58, v59
	v_cndmask_b32_e64 v58, 0, 1, vcc_lo
	v_add_co_ci_u32_e64 v47, null, 0, v47, vcc_lo
	v_lshrrev_b32_e32 v57, v58, v57
; %bb.4098:                             ;   in Loop: Header=BB4_3166 Depth=2
	s_andn2_saveexec_b32 s12, s12
; %bb.4099:                             ;   in Loop: Header=BB4_3166 Depth=2
	v_bfe_u32 v47, v57, 23, 1
; %bb.4100:                             ;   in Loop: Header=BB4_3166 Depth=2
	s_or_b32 exec_lo, exec_lo, s12
	v_lshrrev_b32_e32 v57, 21, v57
	v_min_i32_e32 v58, 31, v47
	v_cmp_gt_i32_e32 vcc_lo, 32, v47
	v_and_b32_sdwa v56, v56, v101 dst_sel:DWORD dst_unused:UNUSED_PAD src0_sel:BYTE_3 src1_sel:DWORD
	v_lshlrev_b32_e32 v58, 2, v58
	v_cndmask_b32_e32 v57, 3, v57, vcc_lo
	v_and_b32_e32 v58, 0xfc, v58
	v_and_b32_e32 v59, 3, v57
	v_or_b32_e32 v47, v47, v57
	v_or3_b32 v56, v56, v58, v59
	v_cmp_ne_u32_e32 vcc_lo, 0, v47
	v_lshlrev_b32_e32 v56, 8, v56
	v_cndmask_b32_e32 v47, 0, v56, vcc_lo
.LBB4_4101:                             ;   in Loop: Header=BB4_3166 Depth=2
	s_or_b32 exec_lo, exec_lo, s29
.LBB4_4102:                             ;   in Loop: Header=BB4_3166 Depth=2
	s_or_b32 exec_lo, exec_lo, s28
	v_and_b32_sdwa v56, v16, v103 dst_sel:DWORD dst_unused:UNUSED_PAD src0_sel:WORD_1 src1_sel:DWORD
	s_andn2_b32 vcc_lo, exec_lo, s27
	s_mov_b32 s28, -1
                                        ; implicit-def: $vgpr57
	v_cmp_lt_i16_e64 s12, 0x7f, v56
	s_cbranch_vccnz .LBB4_4116
; %bb.4103:                             ;   in Loop: Header=BB4_3166 Depth=2
	s_mov_b32 s28, 0
	s_and_saveexec_b32 s29, s12
	s_xor_b32 s12, exec_lo, s29
	s_cbranch_execz .LBB4_4524
; %bb.4104:                             ;   in Loop: Header=BB4_3166 Depth=2
	s_mov_b32 s28, -1
	s_mov_b32 s29, exec_lo
	v_cmpx_eq_u16_e32 0x80, v56
; %bb.4105:                             ;   in Loop: Header=BB4_3166 Depth=2
	s_xor_b32 s28, exec_lo, -1
; %bb.4106:                             ;   in Loop: Header=BB4_3166 Depth=2
	s_or_b32 exec_lo, exec_lo, s29
	s_and_b32 s28, s28, exec_lo
	s_or_saveexec_b32 s12, s12
	v_mov_b32_e32 v57, 0x7f800001
	s_xor_b32 exec_lo, exec_lo, s12
	s_cbranch_execnz .LBB4_4525
.LBB4_4107:                             ;   in Loop: Header=BB4_3166 Depth=2
	s_or_b32 exec_lo, exec_lo, s12
	s_and_saveexec_b32 s12, s28
	s_cbranch_execz .LBB4_4109
.LBB4_4108:                             ;   in Loop: Header=BB4_3166 Depth=2
	v_bfe_u32 v57, v16, 16, 2
	v_bfe_u32 v60, v16, 18, 5
	v_lshlrev_b32_sdwa v61, v112, v16 dst_sel:DWORD dst_unused:UNUSED_PAD src0_sel:DWORD src1_sel:WORD_1
	v_ffbh_u32_e32 v58, v57
	v_cmp_eq_u32_e32 vcc_lo, 0, v60
	v_min_u32_e32 v58, 32, v58
	v_subrev_nc_u32_e32 v59, 29, v58
	v_sub_nc_u32_e32 v58, 30, v58
	v_lshlrev_b32_sdwa v59, v59, v16 dst_sel:DWORD dst_unused:UNUSED_PAD src0_sel:DWORD src1_sel:WORD_1
	v_cndmask_b32_e32 v58, v60, v58, vcc_lo
	v_and_b32_e32 v59, 3, v59
	v_lshl_add_u32 v58, v58, 23, 0x37800000
	v_cndmask_b32_e32 v57, v57, v59, vcc_lo
	v_and_b32_e32 v59, 0x80000000, v61
	v_lshlrev_b32_e32 v57, 21, v57
	v_or3_b32 v57, v59, v58, v57
.LBB4_4109:                             ;   in Loop: Header=BB4_3166 Depth=2
	s_or_b32 exec_lo, exec_lo, s12
	v_and_b32_sdwa v59, v12, v103 dst_sel:DWORD dst_unused:UNUSED_PAD src0_sel:WORD_1 src1_sel:DWORD
	s_mov_b32 s12, 0
	s_mov_b32 s28, exec_lo
	v_cmpx_lt_i16_e32 0x7f, v59
	s_xor_b32 s28, exec_lo, s28
	s_cbranch_execz .LBB4_4526
; %bb.4110:                             ;   in Loop: Header=BB4_3166 Depth=2
	s_mov_b32 s12, -1
	s_mov_b32 s29, exec_lo
	v_cmpx_eq_u16_e32 0x80, v59
; %bb.4111:                             ;   in Loop: Header=BB4_3166 Depth=2
	s_xor_b32 s12, exec_lo, -1
; %bb.4112:                             ;   in Loop: Header=BB4_3166 Depth=2
	s_or_b32 exec_lo, exec_lo, s29
	s_and_b32 s12, s12, exec_lo
                                        ; implicit-def: $vgpr59
	s_or_saveexec_b32 s28, s28
	v_mov_b32_e32 v58, 0x7f800001
	s_xor_b32 exec_lo, exec_lo, s28
	s_cbranch_execnz .LBB4_4527
.LBB4_4113:                             ;   in Loop: Header=BB4_3166 Depth=2
	s_or_b32 exec_lo, exec_lo, s28
	s_and_saveexec_b32 s28, s12
	s_cbranch_execz .LBB4_4115
.LBB4_4114:                             ;   in Loop: Header=BB4_3166 Depth=2
	v_bfe_u32 v58, v12, 16, 2
	v_bfe_u32 v61, v12, 18, 5
	v_lshlrev_b32_sdwa v62, v112, v12 dst_sel:DWORD dst_unused:UNUSED_PAD src0_sel:DWORD src1_sel:WORD_1
	v_ffbh_u32_e32 v59, v58
	v_cmp_eq_u32_e32 vcc_lo, 0, v61
	v_min_u32_e32 v59, 32, v59
	v_subrev_nc_u32_e32 v60, 29, v59
	v_sub_nc_u32_e32 v59, 30, v59
	v_lshlrev_b32_sdwa v60, v60, v12 dst_sel:DWORD dst_unused:UNUSED_PAD src0_sel:DWORD src1_sel:WORD_1
	v_cndmask_b32_e32 v59, v61, v59, vcc_lo
	v_and_b32_e32 v60, 3, v60
	v_lshl_add_u32 v59, v59, 23, 0x37800000
	v_cndmask_b32_e32 v58, v58, v60, vcc_lo
	v_and_b32_e32 v60, 0x80000000, v62
	v_lshlrev_b32_e32 v58, 21, v58
	v_or3_b32 v58, v60, v59, v58
.LBB4_4115:                             ;   in Loop: Header=BB4_3166 Depth=2
	s_or_b32 exec_lo, exec_lo, s28
	v_max_f32_e32 v58, v58, v58
	v_max_f32_e32 v57, v57, v57
	s_mov_b32 s28, 0
	v_max_f32_e32 v57, v57, v58
.LBB4_4116:                             ;   in Loop: Header=BB4_3166 Depth=2
	s_and_b32 vcc_lo, exec_lo, s28
	s_cbranch_vccz .LBB4_4130
; %bb.4117:                             ;   in Loop: Header=BB4_3166 Depth=2
	s_mov_b32 s12, 0
	s_mov_b32 s28, exec_lo
	v_cmpx_lt_i16_e32 0x7f, v56
	s_xor_b32 s28, exec_lo, s28
	s_cbranch_execz .LBB4_4528
; %bb.4118:                             ;   in Loop: Header=BB4_3166 Depth=2
	s_mov_b32 s12, -1
	s_mov_b32 s29, exec_lo
	v_cmpx_eq_u16_e32 0x80, v56
; %bb.4119:                             ;   in Loop: Header=BB4_3166 Depth=2
	s_xor_b32 s12, exec_lo, -1
; %bb.4120:                             ;   in Loop: Header=BB4_3166 Depth=2
	s_or_b32 exec_lo, exec_lo, s29
	s_and_b32 s12, s12, exec_lo
                                        ; implicit-def: $vgpr56
	s_or_saveexec_b32 s28, s28
	v_mov_b32_e32 v57, 0x7f800001
	s_xor_b32 exec_lo, exec_lo, s28
	s_cbranch_execnz .LBB4_4529
.LBB4_4121:                             ;   in Loop: Header=BB4_3166 Depth=2
	s_or_b32 exec_lo, exec_lo, s28
	s_and_saveexec_b32 s28, s12
	s_cbranch_execz .LBB4_4123
.LBB4_4122:                             ;   in Loop: Header=BB4_3166 Depth=2
	v_bfe_u32 v56, v16, 16, 2
	v_bfe_u32 v59, v16, 18, 5
	v_lshlrev_b32_sdwa v60, v112, v16 dst_sel:DWORD dst_unused:UNUSED_PAD src0_sel:DWORD src1_sel:WORD_1
	v_ffbh_u32_e32 v57, v56
	v_cmp_eq_u32_e32 vcc_lo, 0, v59
	v_min_u32_e32 v57, 32, v57
	v_subrev_nc_u32_e32 v58, 29, v57
	v_sub_nc_u32_e32 v57, 30, v57
	v_lshlrev_b32_sdwa v58, v58, v16 dst_sel:DWORD dst_unused:UNUSED_PAD src0_sel:DWORD src1_sel:WORD_1
	v_cndmask_b32_e32 v57, v59, v57, vcc_lo
	v_and_b32_e32 v58, 3, v58
	v_lshl_add_u32 v57, v57, 23, 0x37800000
	v_cndmask_b32_e32 v56, v56, v58, vcc_lo
	v_and_b32_e32 v58, 0x80000000, v60
	v_lshlrev_b32_e32 v56, 21, v56
	v_or3_b32 v57, v58, v57, v56
.LBB4_4123:                             ;   in Loop: Header=BB4_3166 Depth=2
	s_or_b32 exec_lo, exec_lo, s28
	v_and_b32_sdwa v58, v12, v103 dst_sel:DWORD dst_unused:UNUSED_PAD src0_sel:WORD_1 src1_sel:DWORD
	s_mov_b32 s12, 0
	s_mov_b32 s28, exec_lo
	v_cmpx_lt_i16_e32 0x7f, v58
	s_xor_b32 s28, exec_lo, s28
	s_cbranch_execz .LBB4_4530
; %bb.4124:                             ;   in Loop: Header=BB4_3166 Depth=2
	s_mov_b32 s12, -1
	s_mov_b32 s29, exec_lo
	v_cmpx_eq_u16_e32 0x80, v58
; %bb.4125:                             ;   in Loop: Header=BB4_3166 Depth=2
	s_xor_b32 s12, exec_lo, -1
; %bb.4126:                             ;   in Loop: Header=BB4_3166 Depth=2
	s_or_b32 exec_lo, exec_lo, s29
	s_and_b32 s12, s12, exec_lo
                                        ; implicit-def: $vgpr58
	s_or_saveexec_b32 s28, s28
	v_mov_b32_e32 v56, 0x7f800001
	s_xor_b32 exec_lo, exec_lo, s28
	s_cbranch_execnz .LBB4_4531
.LBB4_4127:                             ;   in Loop: Header=BB4_3166 Depth=2
	s_or_b32 exec_lo, exec_lo, s28
	s_and_saveexec_b32 s28, s12
	s_cbranch_execz .LBB4_4129
.LBB4_4128:                             ;   in Loop: Header=BB4_3166 Depth=2
	v_bfe_u32 v56, v12, 16, 2
	v_bfe_u32 v60, v12, 18, 5
	v_lshlrev_b32_sdwa v61, v112, v12 dst_sel:DWORD dst_unused:UNUSED_PAD src0_sel:DWORD src1_sel:WORD_1
	v_ffbh_u32_e32 v58, v56
	v_cmp_eq_u32_e32 vcc_lo, 0, v60
	v_min_u32_e32 v58, 32, v58
	v_subrev_nc_u32_e32 v59, 29, v58
	v_sub_nc_u32_e32 v58, 30, v58
	v_lshlrev_b32_sdwa v59, v59, v12 dst_sel:DWORD dst_unused:UNUSED_PAD src0_sel:DWORD src1_sel:WORD_1
	v_cndmask_b32_e32 v58, v60, v58, vcc_lo
	v_and_b32_e32 v59, 3, v59
	v_lshl_add_u32 v58, v58, 23, 0x37800000
	v_cndmask_b32_e32 v56, v56, v59, vcc_lo
	v_and_b32_e32 v59, 0x80000000, v61
	v_lshlrev_b32_e32 v56, 21, v56
	v_or3_b32 v56, v59, v58, v56
.LBB4_4129:                             ;   in Loop: Header=BB4_3166 Depth=2
	s_or_b32 exec_lo, exec_lo, s28
	v_max_f32_e32 v56, v56, v56
	v_max_f32_e32 v57, v57, v57
	v_min_f32_e32 v57, v57, v56
.LBB4_4130:                             ;   in Loop: Header=BB4_3166 Depth=2
	v_and_b32_e32 v56, 0x7f800000, v57
	v_cmp_ne_u32_e32 vcc_lo, 0x7f800000, v56
	v_mov_b32_e32 v56, 0x80
	s_and_saveexec_b32 s28, vcc_lo
	s_cbranch_execz .LBB4_4138
; %bb.4131:                             ;   in Loop: Header=BB4_3166 Depth=2
	v_mov_b32_e32 v56, 0
	s_mov_b32 s29, exec_lo
	v_cmpx_ne_u32_e32 0, v57
	s_cbranch_execz .LBB4_4137
; %bb.4132:                             ;   in Loop: Header=BB4_3166 Depth=2
	v_bfe_u32 v56, v57, 23, 8
	v_and_b32_e32 v58, 0x7fffff, v57
	v_sub_nc_u32_e32 v59, 0x70, v56
	v_cmp_gt_u32_e32 vcc_lo, 0x71, v56
	v_or_b32_e32 v60, 0x800000, v58
	v_cndmask_b32_e32 v59, 0, v59, vcc_lo
	v_cmp_eq_u32_e32 vcc_lo, 0, v56
	v_add_nc_u32_e32 v56, 0xffffff91, v56
	v_cndmask_b32_e64 v59, v59, 0x6f, vcc_lo
	v_cndmask_b32_e32 v58, v60, v58, vcc_lo
	v_cndmask_b32_e64 v56, v56, 0xffffff92, vcc_lo
	v_lshl_add_u32 v60, 0x200000, v59, -1
	v_lshrrev_b32_e32 v61, v59, v58
	v_lshlrev_b32_e64 v63, v59, 0x100000
	v_add_nc_u32_e32 v59, v59, v56
	v_and_b32_e32 v58, v60, v58
	v_bfe_u32 v62, v61, 21, 1
	v_cmp_eq_u32_e64 s12, v58, v63
	v_add_nc_u32_e32 v60, -1, v62
	v_cndmask_b32_e64 v58, 0, v60, s12
	v_lshrrev_b32_e32 v60, 23, v61
	s_mov_b32 s12, exec_lo
	v_add_nc_u32_e32 v58, v58, v61
	v_xor_b32_e32 v60, 1, v60
	v_and_b32_e32 v56, 0x1fffff, v58
	v_add_nc_u32_e32 v58, v56, v61
                                        ; implicit-def: $vgpr56
	v_cmpx_ne_u32_e64 v59, v60
	s_xor_b32 s12, exec_lo, s12
; %bb.4133:                             ;   in Loop: Header=BB4_3166 Depth=2
	v_cmp_lt_u32_e32 vcc_lo, 0xffffff, v58
	v_sub_nc_u32_e32 v56, v59, v60
	v_cndmask_b32_e64 v59, 0, 1, vcc_lo
	v_add_co_ci_u32_e64 v56, null, 0, v56, vcc_lo
	v_lshrrev_b32_e32 v58, v59, v58
; %bb.4134:                             ;   in Loop: Header=BB4_3166 Depth=2
	s_andn2_saveexec_b32 s12, s12
; %bb.4135:                             ;   in Loop: Header=BB4_3166 Depth=2
	v_bfe_u32 v56, v58, 23, 1
; %bb.4136:                             ;   in Loop: Header=BB4_3166 Depth=2
	s_or_b32 exec_lo, exec_lo, s12
	v_lshrrev_b32_e32 v58, 21, v58
	v_min_i32_e32 v59, 31, v56
	v_cmp_gt_i32_e32 vcc_lo, 32, v56
	v_and_b32_sdwa v57, v57, v101 dst_sel:DWORD dst_unused:UNUSED_PAD src0_sel:BYTE_3 src1_sel:DWORD
	v_lshlrev_b32_e32 v59, 2, v59
	v_cndmask_b32_e32 v58, 3, v58, vcc_lo
	v_and_b32_e32 v59, 0xfc, v59
	v_and_b32_e32 v60, 3, v58
	v_or_b32_e32 v56, v56, v58
	v_or3_b32 v57, v59, v57, v60
	v_cmp_ne_u32_e32 vcc_lo, 0, v56
	v_cndmask_b32_e32 v56, 0, v57, vcc_lo
.LBB4_4137:                             ;   in Loop: Header=BB4_3166 Depth=2
	s_or_b32 exec_lo, exec_lo, s29
.LBB4_4138:                             ;   in Loop: Header=BB4_3166 Depth=2
	s_or_b32 exec_lo, exec_lo, s28
	v_cmp_gt_i16_sdwa s28, v16, v100 src0_sel:BYTE_3 src1_sel:DWORD
	s_andn2_b32 vcc_lo, exec_lo, s27
	s_mov_b32 s12, -1
                                        ; implicit-def: $vgpr57
	s_cbranch_vccnz .LBB4_4152
; %bb.4139:                             ;   in Loop: Header=BB4_3166 Depth=2
	s_mov_b32 s12, 0
	s_and_saveexec_b32 s29, s28
	s_xor_b32 s28, exec_lo, s29
	s_cbranch_execz .LBB4_4532
; %bb.4140:                             ;   in Loop: Header=BB4_3166 Depth=2
	v_cmp_eq_u16_sdwa s40, v16, v101 src0_sel:BYTE_3 src1_sel:DWORD
	s_mov_b32 s12, -1
	s_and_saveexec_b32 s29, s40
; %bb.4141:                             ;   in Loop: Header=BB4_3166 Depth=2
	s_xor_b32 s12, exec_lo, -1
; %bb.4142:                             ;   in Loop: Header=BB4_3166 Depth=2
	s_or_b32 exec_lo, exec_lo, s29
	s_and_b32 s12, s12, exec_lo
	s_or_saveexec_b32 s28, s28
	v_mov_b32_e32 v57, 0x7f800001
	s_xor_b32 exec_lo, exec_lo, s28
	s_cbranch_execnz .LBB4_4533
.LBB4_4143:                             ;   in Loop: Header=BB4_3166 Depth=2
	s_or_b32 exec_lo, exec_lo, s28
	s_and_saveexec_b32 s28, s12
	s_cbranch_execz .LBB4_4145
.LBB4_4144:                             ;   in Loop: Header=BB4_3166 Depth=2
	v_bfe_u32 v57, v16, 24, 2
	v_bfe_u32 v60, v16, 26, 5
	v_ffbh_u32_e32 v58, v57
	v_cmp_eq_u32_e32 vcc_lo, 0, v60
	v_min_u32_e32 v58, 32, v58
	v_subrev_nc_u32_e32 v59, 29, v58
	v_sub_nc_u32_e32 v58, 30, v58
	v_lshlrev_b32_sdwa v59, v59, v16 dst_sel:DWORD dst_unused:UNUSED_PAD src0_sel:DWORD src1_sel:BYTE_3
	v_cndmask_b32_e32 v58, v60, v58, vcc_lo
	v_and_b32_e32 v59, 3, v59
	v_lshl_add_u32 v58, v58, 23, 0x37800000
	v_cndmask_b32_e32 v57, v57, v59, vcc_lo
	v_and_b32_e32 v59, 0x80000000, v16
	v_lshlrev_b32_e32 v57, 21, v57
	v_or3_b32 v57, v59, v58, v57
.LBB4_4145:                             ;   in Loop: Header=BB4_3166 Depth=2
	s_or_b32 exec_lo, exec_lo, s28
	v_cmp_gt_i16_sdwa s28, v12, v100 src0_sel:BYTE_3 src1_sel:DWORD
	s_mov_b32 s12, 0
	s_and_saveexec_b32 s29, s28
	s_xor_b32 s28, exec_lo, s29
	s_cbranch_execz .LBB4_4534
; %bb.4146:                             ;   in Loop: Header=BB4_3166 Depth=2
	v_cmp_eq_u16_sdwa s40, v12, v101 src0_sel:BYTE_3 src1_sel:DWORD
	s_mov_b32 s12, -1
	s_and_saveexec_b32 s29, s40
; %bb.4147:                             ;   in Loop: Header=BB4_3166 Depth=2
	s_xor_b32 s12, exec_lo, -1
; %bb.4148:                             ;   in Loop: Header=BB4_3166 Depth=2
	s_or_b32 exec_lo, exec_lo, s29
	s_and_b32 s12, s12, exec_lo
	s_or_saveexec_b32 s28, s28
	v_mov_b32_e32 v58, 0x7f800001
	s_xor_b32 exec_lo, exec_lo, s28
	s_cbranch_execnz .LBB4_4535
.LBB4_4149:                             ;   in Loop: Header=BB4_3166 Depth=2
	s_or_b32 exec_lo, exec_lo, s28
	s_and_saveexec_b32 s28, s12
	s_cbranch_execz .LBB4_4151
.LBB4_4150:                             ;   in Loop: Header=BB4_3166 Depth=2
	v_bfe_u32 v58, v12, 24, 2
	v_bfe_u32 v61, v12, 26, 5
	v_ffbh_u32_e32 v59, v58
	v_cmp_eq_u32_e32 vcc_lo, 0, v61
	v_min_u32_e32 v59, 32, v59
	v_subrev_nc_u32_e32 v60, 29, v59
	v_sub_nc_u32_e32 v59, 30, v59
	v_lshlrev_b32_sdwa v60, v60, v12 dst_sel:DWORD dst_unused:UNUSED_PAD src0_sel:DWORD src1_sel:BYTE_3
	v_cndmask_b32_e32 v59, v61, v59, vcc_lo
	v_and_b32_e32 v60, 3, v60
	v_lshl_add_u32 v59, v59, 23, 0x37800000
	v_cndmask_b32_e32 v58, v58, v60, vcc_lo
	v_and_b32_e32 v60, 0x80000000, v12
	v_lshlrev_b32_e32 v58, 21, v58
	v_or3_b32 v58, v60, v59, v58
.LBB4_4151:                             ;   in Loop: Header=BB4_3166 Depth=2
	s_or_b32 exec_lo, exec_lo, s28
	v_max_f32_e32 v58, v58, v58
	v_max_f32_e32 v57, v57, v57
	s_mov_b32 s12, 0
	v_max_f32_e32 v57, v57, v58
.LBB4_4152:                             ;   in Loop: Header=BB4_3166 Depth=2
	s_and_b32 vcc_lo, exec_lo, s12
	s_cbranch_vccz .LBB4_4166
; %bb.4153:                             ;   in Loop: Header=BB4_3166 Depth=2
	v_cmp_gt_i16_sdwa s28, v16, v100 src0_sel:BYTE_3 src1_sel:DWORD
	s_mov_b32 s12, 0
	s_and_saveexec_b32 s29, s28
	s_xor_b32 s28, exec_lo, s29
	s_cbranch_execz .LBB4_4536
; %bb.4154:                             ;   in Loop: Header=BB4_3166 Depth=2
	v_cmp_eq_u16_sdwa s40, v16, v101 src0_sel:BYTE_3 src1_sel:DWORD
	s_mov_b32 s12, -1
	s_and_saveexec_b32 s29, s40
; %bb.4155:                             ;   in Loop: Header=BB4_3166 Depth=2
	s_xor_b32 s12, exec_lo, -1
; %bb.4156:                             ;   in Loop: Header=BB4_3166 Depth=2
	s_or_b32 exec_lo, exec_lo, s29
	s_and_b32 s12, s12, exec_lo
	s_or_saveexec_b32 s28, s28
	v_mov_b32_e32 v57, 0x7f800001
	s_xor_b32 exec_lo, exec_lo, s28
	s_cbranch_execnz .LBB4_4537
.LBB4_4157:                             ;   in Loop: Header=BB4_3166 Depth=2
	s_or_b32 exec_lo, exec_lo, s28
	s_and_saveexec_b32 s28, s12
	s_cbranch_execz .LBB4_4159
.LBB4_4158:                             ;   in Loop: Header=BB4_3166 Depth=2
	v_bfe_u32 v57, v16, 24, 2
	v_bfe_u32 v60, v16, 26, 5
	v_ffbh_u32_e32 v58, v57
	v_cmp_eq_u32_e32 vcc_lo, 0, v60
	v_min_u32_e32 v58, 32, v58
	v_subrev_nc_u32_e32 v59, 29, v58
	v_sub_nc_u32_e32 v58, 30, v58
	v_lshlrev_b32_sdwa v59, v59, v16 dst_sel:DWORD dst_unused:UNUSED_PAD src0_sel:DWORD src1_sel:BYTE_3
	v_cndmask_b32_e32 v58, v60, v58, vcc_lo
	v_and_b32_e32 v16, 0x80000000, v16
	v_and_b32_e32 v59, 3, v59
	v_lshl_add_u32 v58, v58, 23, 0x37800000
	v_cndmask_b32_e32 v57, v57, v59, vcc_lo
	v_lshlrev_b32_e32 v57, 21, v57
	v_or3_b32 v57, v16, v58, v57
.LBB4_4159:                             ;   in Loop: Header=BB4_3166 Depth=2
	s_or_b32 exec_lo, exec_lo, s28
	v_cmp_gt_i16_sdwa s28, v12, v100 src0_sel:BYTE_3 src1_sel:DWORD
	s_mov_b32 s12, 0
	s_and_saveexec_b32 s29, s28
	s_xor_b32 s28, exec_lo, s29
	s_cbranch_execz .LBB4_4538
; %bb.4160:                             ;   in Loop: Header=BB4_3166 Depth=2
	v_cmp_eq_u16_sdwa s40, v12, v101 src0_sel:BYTE_3 src1_sel:DWORD
	s_mov_b32 s12, -1
	s_and_saveexec_b32 s29, s40
; %bb.4161:                             ;   in Loop: Header=BB4_3166 Depth=2
	s_xor_b32 s12, exec_lo, -1
; %bb.4162:                             ;   in Loop: Header=BB4_3166 Depth=2
	s_or_b32 exec_lo, exec_lo, s29
	s_and_b32 s12, s12, exec_lo
	s_or_saveexec_b32 s28, s28
	v_mov_b32_e32 v16, 0x7f800001
	s_xor_b32 exec_lo, exec_lo, s28
	s_cbranch_execnz .LBB4_4539
.LBB4_4163:                             ;   in Loop: Header=BB4_3166 Depth=2
	s_or_b32 exec_lo, exec_lo, s28
	s_and_saveexec_b32 s28, s12
	s_cbranch_execz .LBB4_4165
.LBB4_4164:                             ;   in Loop: Header=BB4_3166 Depth=2
	v_bfe_u32 v16, v12, 24, 2
	v_bfe_u32 v60, v12, 26, 5
	v_ffbh_u32_e32 v58, v16
	v_cmp_eq_u32_e32 vcc_lo, 0, v60
	v_min_u32_e32 v58, 32, v58
	v_subrev_nc_u32_e32 v59, 29, v58
	v_sub_nc_u32_e32 v58, 30, v58
	v_lshlrev_b32_sdwa v59, v59, v12 dst_sel:DWORD dst_unused:UNUSED_PAD src0_sel:DWORD src1_sel:BYTE_3
	v_cndmask_b32_e32 v58, v60, v58, vcc_lo
	v_and_b32_e32 v12, 0x80000000, v12
	v_and_b32_e32 v59, 3, v59
	v_lshl_add_u32 v58, v58, 23, 0x37800000
	v_cndmask_b32_e32 v16, v16, v59, vcc_lo
	v_lshlrev_b32_e32 v16, 21, v16
	v_or3_b32 v16, v12, v58, v16
.LBB4_4165:                             ;   in Loop: Header=BB4_3166 Depth=2
	s_or_b32 exec_lo, exec_lo, s28
	v_max_f32_e32 v12, v16, v16
	v_max_f32_e32 v16, v57, v57
	v_min_f32_e32 v57, v16, v12
.LBB4_4166:                             ;   in Loop: Header=BB4_3166 Depth=2
	v_and_b32_e32 v12, 0x7f800000, v57
	v_cmp_ne_u32_e32 vcc_lo, 0x7f800000, v12
	v_mov_b32_e32 v12, 0x8000
	s_and_saveexec_b32 s28, vcc_lo
	s_cbranch_execz .LBB4_4174
; %bb.4167:                             ;   in Loop: Header=BB4_3166 Depth=2
	v_mov_b32_e32 v12, 0
	s_mov_b32 s29, exec_lo
	v_cmpx_ne_u32_e32 0, v57
	s_cbranch_execz .LBB4_4173
; %bb.4168:                             ;   in Loop: Header=BB4_3166 Depth=2
	v_bfe_u32 v12, v57, 23, 8
	v_and_b32_e32 v16, 0x7fffff, v57
	v_sub_nc_u32_e32 v58, 0x70, v12
	v_cmp_gt_u32_e32 vcc_lo, 0x71, v12
	v_or_b32_e32 v59, 0x800000, v16
	v_cndmask_b32_e32 v58, 0, v58, vcc_lo
	v_cmp_eq_u32_e32 vcc_lo, 0, v12
	v_add_nc_u32_e32 v12, 0xffffff91, v12
	v_cndmask_b32_e64 v58, v58, 0x6f, vcc_lo
	v_cndmask_b32_e32 v16, v59, v16, vcc_lo
	v_cndmask_b32_e64 v12, v12, 0xffffff92, vcc_lo
	v_lshl_add_u32 v59, 0x200000, v58, -1
	v_lshrrev_b32_e32 v60, v58, v16
	v_lshlrev_b32_e64 v62, v58, 0x100000
	v_add_nc_u32_e32 v58, v58, v12
	v_and_b32_e32 v16, v59, v16
	v_bfe_u32 v61, v60, 21, 1
	v_cmp_eq_u32_e64 s12, v16, v62
	v_add_nc_u32_e32 v59, -1, v61
	v_cndmask_b32_e64 v16, 0, v59, s12
	v_lshrrev_b32_e32 v59, 23, v60
	s_mov_b32 s12, exec_lo
	v_add_nc_u32_e32 v16, v16, v60
	v_xor_b32_e32 v59, 1, v59
	v_and_b32_e32 v12, 0x1fffff, v16
	v_add_nc_u32_e32 v16, v12, v60
                                        ; implicit-def: $vgpr12
	v_cmpx_ne_u32_e64 v58, v59
	s_xor_b32 s12, exec_lo, s12
; %bb.4169:                             ;   in Loop: Header=BB4_3166 Depth=2
	v_cmp_lt_u32_e32 vcc_lo, 0xffffff, v16
	v_sub_nc_u32_e32 v12, v58, v59
	v_cndmask_b32_e64 v58, 0, 1, vcc_lo
	v_add_co_ci_u32_e64 v12, null, 0, v12, vcc_lo
	v_lshrrev_b32_e32 v16, v58, v16
; %bb.4170:                             ;   in Loop: Header=BB4_3166 Depth=2
	s_andn2_saveexec_b32 s12, s12
; %bb.4171:                             ;   in Loop: Header=BB4_3166 Depth=2
	v_bfe_u32 v12, v16, 23, 1
; %bb.4172:                             ;   in Loop: Header=BB4_3166 Depth=2
	s_or_b32 exec_lo, exec_lo, s12
	v_lshrrev_b32_e32 v16, 21, v16
	v_min_i32_e32 v58, 31, v12
	v_cmp_gt_i32_e32 vcc_lo, 32, v12
	v_and_b32_sdwa v57, v57, v101 dst_sel:DWORD dst_unused:UNUSED_PAD src0_sel:BYTE_3 src1_sel:DWORD
	v_lshlrev_b32_e32 v58, 2, v58
	v_cndmask_b32_e32 v16, 3, v16, vcc_lo
	v_and_b32_e32 v58, 0xfc, v58
	v_and_b32_e32 v59, 3, v16
	v_or_b32_e32 v12, v12, v16
	v_or3_b32 v57, v57, v58, v59
	v_cmp_ne_u32_e32 vcc_lo, 0, v12
	v_lshlrev_b32_e32 v16, 8, v57
	v_cndmask_b32_e32 v12, 0, v16, vcc_lo
.LBB4_4173:                             ;   in Loop: Header=BB4_3166 Depth=2
	s_or_b32 exec_lo, exec_lo, s29
.LBB4_4174:                             ;   in Loop: Header=BB4_3166 Depth=2
	s_or_b32 exec_lo, exec_lo, s28
	v_cmp_gt_i16_sdwa s28, v17, v100 src0_sel:BYTE_0 src1_sel:DWORD
	s_andn2_b32 vcc_lo, exec_lo, s27
	s_mov_b32 s12, -1
                                        ; implicit-def: $vgpr57
	s_cbranch_vccnz .LBB4_4188
; %bb.4175:                             ;   in Loop: Header=BB4_3166 Depth=2
	s_mov_b32 s12, 0
	s_and_saveexec_b32 s29, s28
	s_xor_b32 s28, exec_lo, s29
	s_cbranch_execz .LBB4_4540
; %bb.4176:                             ;   in Loop: Header=BB4_3166 Depth=2
	v_cmp_eq_u16_sdwa s40, v17, v101 src0_sel:BYTE_0 src1_sel:DWORD
	s_mov_b32 s12, -1
	s_and_saveexec_b32 s29, s40
; %bb.4177:                             ;   in Loop: Header=BB4_3166 Depth=2
	s_xor_b32 s12, exec_lo, -1
; %bb.4178:                             ;   in Loop: Header=BB4_3166 Depth=2
	s_or_b32 exec_lo, exec_lo, s29
	s_and_b32 s12, s12, exec_lo
	s_or_saveexec_b32 s28, s28
	v_mov_b32_e32 v16, 0x7f800001
	s_xor_b32 exec_lo, exec_lo, s28
	s_cbranch_execnz .LBB4_4541
.LBB4_4179:                             ;   in Loop: Header=BB4_3166 Depth=2
	s_or_b32 exec_lo, exec_lo, s28
	s_and_saveexec_b32 s28, s12
	s_cbranch_execz .LBB4_4181
.LBB4_4180:                             ;   in Loop: Header=BB4_3166 Depth=2
	v_and_b32_e32 v16, 3, v17
	v_bfe_u32 v59, v17, 2, 5
	v_lshlrev_b32_e32 v60, 24, v17
	v_ffbh_u32_e32 v57, v16
	v_cmp_eq_u32_e32 vcc_lo, 0, v59
	v_min_u32_e32 v57, 32, v57
	v_subrev_nc_u32_e32 v58, 29, v57
	v_sub_nc_u32_e32 v57, 30, v57
	v_lshlrev_b32_e32 v58, v58, v17
	v_cndmask_b32_e32 v57, v59, v57, vcc_lo
	v_and_b32_e32 v58, 3, v58
	v_lshl_add_u32 v57, v57, 23, 0x37800000
	v_cndmask_b32_e32 v16, v16, v58, vcc_lo
	v_and_b32_e32 v58, 0x80000000, v60
	v_lshlrev_b32_e32 v16, 21, v16
	v_or3_b32 v16, v58, v57, v16
.LBB4_4181:                             ;   in Loop: Header=BB4_3166 Depth=2
	s_or_b32 exec_lo, exec_lo, s28
	v_cmp_gt_i16_sdwa s28, v13, v100 src0_sel:BYTE_0 src1_sel:DWORD
	s_mov_b32 s12, 0
	s_and_saveexec_b32 s29, s28
	s_xor_b32 s28, exec_lo, s29
	s_cbranch_execz .LBB4_4542
; %bb.4182:                             ;   in Loop: Header=BB4_3166 Depth=2
	v_cmp_eq_u16_sdwa s40, v13, v101 src0_sel:BYTE_0 src1_sel:DWORD
	s_mov_b32 s12, -1
	s_and_saveexec_b32 s29, s40
; %bb.4183:                             ;   in Loop: Header=BB4_3166 Depth=2
	s_xor_b32 s12, exec_lo, -1
; %bb.4184:                             ;   in Loop: Header=BB4_3166 Depth=2
	s_or_b32 exec_lo, exec_lo, s29
	s_and_b32 s12, s12, exec_lo
	s_or_saveexec_b32 s28, s28
	v_mov_b32_e32 v57, 0x7f800001
	s_xor_b32 exec_lo, exec_lo, s28
	s_cbranch_execnz .LBB4_4543
.LBB4_4185:                             ;   in Loop: Header=BB4_3166 Depth=2
	s_or_b32 exec_lo, exec_lo, s28
	s_and_saveexec_b32 s28, s12
	s_cbranch_execz .LBB4_4187
.LBB4_4186:                             ;   in Loop: Header=BB4_3166 Depth=2
	v_and_b32_e32 v57, 3, v13
	v_bfe_u32 v60, v13, 2, 5
	v_lshlrev_b32_e32 v61, 24, v13
	v_ffbh_u32_e32 v58, v57
	v_cmp_eq_u32_e32 vcc_lo, 0, v60
	v_min_u32_e32 v58, 32, v58
	v_subrev_nc_u32_e32 v59, 29, v58
	v_sub_nc_u32_e32 v58, 30, v58
	v_lshlrev_b32_e32 v59, v59, v13
	v_cndmask_b32_e32 v58, v60, v58, vcc_lo
	v_and_b32_e32 v59, 3, v59
	v_lshl_add_u32 v58, v58, 23, 0x37800000
	v_cndmask_b32_e32 v57, v57, v59, vcc_lo
	v_and_b32_e32 v59, 0x80000000, v61
	v_lshlrev_b32_e32 v57, 21, v57
	v_or3_b32 v57, v59, v58, v57
.LBB4_4187:                             ;   in Loop: Header=BB4_3166 Depth=2
	s_or_b32 exec_lo, exec_lo, s28
	v_max_f32_e32 v57, v57, v57
	v_max_f32_e32 v16, v16, v16
	s_mov_b32 s12, 0
	v_max_f32_e32 v57, v16, v57
.LBB4_4188:                             ;   in Loop: Header=BB4_3166 Depth=2
	s_and_b32 vcc_lo, exec_lo, s12
	s_cbranch_vccz .LBB4_4202
; %bb.4189:                             ;   in Loop: Header=BB4_3166 Depth=2
	v_cmp_gt_i16_sdwa s28, v17, v100 src0_sel:BYTE_0 src1_sel:DWORD
	s_mov_b32 s12, 0
	s_and_saveexec_b32 s29, s28
	s_xor_b32 s28, exec_lo, s29
	s_cbranch_execz .LBB4_4544
; %bb.4190:                             ;   in Loop: Header=BB4_3166 Depth=2
	v_cmp_eq_u16_sdwa s40, v17, v101 src0_sel:BYTE_0 src1_sel:DWORD
	s_mov_b32 s12, -1
	s_and_saveexec_b32 s29, s40
; %bb.4191:                             ;   in Loop: Header=BB4_3166 Depth=2
	s_xor_b32 s12, exec_lo, -1
; %bb.4192:                             ;   in Loop: Header=BB4_3166 Depth=2
	s_or_b32 exec_lo, exec_lo, s29
	s_and_b32 s12, s12, exec_lo
	s_or_saveexec_b32 s28, s28
	v_mov_b32_e32 v16, 0x7f800001
	s_xor_b32 exec_lo, exec_lo, s28
	s_cbranch_execnz .LBB4_4545
.LBB4_4193:                             ;   in Loop: Header=BB4_3166 Depth=2
	s_or_b32 exec_lo, exec_lo, s28
	s_and_saveexec_b32 s28, s12
	s_cbranch_execz .LBB4_4195
.LBB4_4194:                             ;   in Loop: Header=BB4_3166 Depth=2
	v_and_b32_e32 v16, 3, v17
	v_bfe_u32 v59, v17, 2, 5
	v_lshlrev_b32_e32 v60, 24, v17
	v_ffbh_u32_e32 v57, v16
	v_cmp_eq_u32_e32 vcc_lo, 0, v59
	v_min_u32_e32 v57, 32, v57
	v_subrev_nc_u32_e32 v58, 29, v57
	v_sub_nc_u32_e32 v57, 30, v57
	v_lshlrev_b32_e32 v58, v58, v17
	v_cndmask_b32_e32 v57, v59, v57, vcc_lo
	v_and_b32_e32 v58, 3, v58
	v_lshl_add_u32 v57, v57, 23, 0x37800000
	v_cndmask_b32_e32 v16, v16, v58, vcc_lo
	v_and_b32_e32 v58, 0x80000000, v60
	v_lshlrev_b32_e32 v16, 21, v16
	v_or3_b32 v16, v58, v57, v16
.LBB4_4195:                             ;   in Loop: Header=BB4_3166 Depth=2
	s_or_b32 exec_lo, exec_lo, s28
	v_cmp_gt_i16_sdwa s28, v13, v100 src0_sel:BYTE_0 src1_sel:DWORD
	s_mov_b32 s12, 0
	s_and_saveexec_b32 s29, s28
	s_xor_b32 s28, exec_lo, s29
	s_cbranch_execz .LBB4_4546
; %bb.4196:                             ;   in Loop: Header=BB4_3166 Depth=2
	v_cmp_eq_u16_sdwa s40, v13, v101 src0_sel:BYTE_0 src1_sel:DWORD
	s_mov_b32 s12, -1
	s_and_saveexec_b32 s29, s40
; %bb.4197:                             ;   in Loop: Header=BB4_3166 Depth=2
	s_xor_b32 s12, exec_lo, -1
; %bb.4198:                             ;   in Loop: Header=BB4_3166 Depth=2
	s_or_b32 exec_lo, exec_lo, s29
	s_and_b32 s12, s12, exec_lo
	s_or_saveexec_b32 s28, s28
	v_mov_b32_e32 v57, 0x7f800001
	s_xor_b32 exec_lo, exec_lo, s28
	s_cbranch_execnz .LBB4_4547
.LBB4_4199:                             ;   in Loop: Header=BB4_3166 Depth=2
	s_or_b32 exec_lo, exec_lo, s28
	s_and_saveexec_b32 s28, s12
	s_cbranch_execz .LBB4_4201
.LBB4_4200:                             ;   in Loop: Header=BB4_3166 Depth=2
	v_and_b32_e32 v57, 3, v13
	v_bfe_u32 v60, v13, 2, 5
	v_lshlrev_b32_e32 v61, 24, v13
	v_ffbh_u32_e32 v58, v57
	v_cmp_eq_u32_e32 vcc_lo, 0, v60
	v_min_u32_e32 v58, 32, v58
	v_subrev_nc_u32_e32 v59, 29, v58
	v_sub_nc_u32_e32 v58, 30, v58
	v_lshlrev_b32_e32 v59, v59, v13
	v_cndmask_b32_e32 v58, v60, v58, vcc_lo
	v_and_b32_e32 v59, 3, v59
	v_lshl_add_u32 v58, v58, 23, 0x37800000
	v_cndmask_b32_e32 v57, v57, v59, vcc_lo
	v_and_b32_e32 v59, 0x80000000, v61
	v_lshlrev_b32_e32 v57, 21, v57
	v_or3_b32 v57, v59, v58, v57
.LBB4_4201:                             ;   in Loop: Header=BB4_3166 Depth=2
	s_or_b32 exec_lo, exec_lo, s28
	v_max_f32_e32 v57, v57, v57
	v_max_f32_e32 v16, v16, v16
	v_min_f32_e32 v57, v16, v57
.LBB4_4202:                             ;   in Loop: Header=BB4_3166 Depth=2
	v_and_b32_e32 v16, 0x7f800000, v57
	v_cmp_ne_u32_e32 vcc_lo, 0x7f800000, v16
	v_mov_b32_e32 v16, 0x80
	s_and_saveexec_b32 s28, vcc_lo
	s_cbranch_execz .LBB4_4210
; %bb.4203:                             ;   in Loop: Header=BB4_3166 Depth=2
	v_mov_b32_e32 v16, 0
	s_mov_b32 s29, exec_lo
	v_cmpx_ne_u32_e32 0, v57
	s_cbranch_execz .LBB4_4209
; %bb.4204:                             ;   in Loop: Header=BB4_3166 Depth=2
	v_bfe_u32 v16, v57, 23, 8
	v_and_b32_e32 v58, 0x7fffff, v57
	v_sub_nc_u32_e32 v59, 0x70, v16
	v_cmp_gt_u32_e32 vcc_lo, 0x71, v16
	v_or_b32_e32 v60, 0x800000, v58
	v_cndmask_b32_e32 v59, 0, v59, vcc_lo
	v_cmp_eq_u32_e32 vcc_lo, 0, v16
	v_add_nc_u32_e32 v16, 0xffffff91, v16
	v_cndmask_b32_e64 v59, v59, 0x6f, vcc_lo
	v_cndmask_b32_e32 v58, v60, v58, vcc_lo
	v_cndmask_b32_e64 v16, v16, 0xffffff92, vcc_lo
	v_lshl_add_u32 v60, 0x200000, v59, -1
	v_lshrrev_b32_e32 v61, v59, v58
	v_lshlrev_b32_e64 v63, v59, 0x100000
	v_add_nc_u32_e32 v59, v59, v16
	v_and_b32_e32 v58, v60, v58
	v_bfe_u32 v62, v61, 21, 1
	v_cmp_eq_u32_e64 s12, v58, v63
	v_add_nc_u32_e32 v60, -1, v62
	v_cndmask_b32_e64 v58, 0, v60, s12
	v_lshrrev_b32_e32 v60, 23, v61
	s_mov_b32 s12, exec_lo
	v_add_nc_u32_e32 v58, v58, v61
	v_xor_b32_e32 v60, 1, v60
	v_and_b32_e32 v16, 0x1fffff, v58
	v_add_nc_u32_e32 v58, v16, v61
                                        ; implicit-def: $vgpr16
	v_cmpx_ne_u32_e64 v59, v60
	s_xor_b32 s12, exec_lo, s12
; %bb.4205:                             ;   in Loop: Header=BB4_3166 Depth=2
	v_cmp_lt_u32_e32 vcc_lo, 0xffffff, v58
	v_sub_nc_u32_e32 v16, v59, v60
	v_cndmask_b32_e64 v59, 0, 1, vcc_lo
	v_add_co_ci_u32_e64 v16, null, 0, v16, vcc_lo
	v_lshrrev_b32_e32 v58, v59, v58
; %bb.4206:                             ;   in Loop: Header=BB4_3166 Depth=2
	s_andn2_saveexec_b32 s12, s12
; %bb.4207:                             ;   in Loop: Header=BB4_3166 Depth=2
	v_bfe_u32 v16, v58, 23, 1
; %bb.4208:                             ;   in Loop: Header=BB4_3166 Depth=2
	s_or_b32 exec_lo, exec_lo, s12
	v_lshrrev_b32_e32 v58, 21, v58
	v_min_i32_e32 v59, 31, v16
	v_cmp_gt_i32_e32 vcc_lo, 32, v16
	v_and_b32_sdwa v57, v57, v101 dst_sel:DWORD dst_unused:UNUSED_PAD src0_sel:BYTE_3 src1_sel:DWORD
	v_lshlrev_b32_e32 v59, 2, v59
	v_cndmask_b32_e32 v58, 3, v58, vcc_lo
	v_and_b32_e32 v59, 0xfc, v59
	v_and_b32_e32 v60, 3, v58
	v_or_b32_e32 v16, v16, v58
	v_or3_b32 v57, v59, v57, v60
	v_cmp_ne_u32_e32 vcc_lo, 0, v16
	v_cndmask_b32_e32 v16, 0, v57, vcc_lo
.LBB4_4209:                             ;   in Loop: Header=BB4_3166 Depth=2
	s_or_b32 exec_lo, exec_lo, s29
.LBB4_4210:                             ;   in Loop: Header=BB4_3166 Depth=2
	s_or_b32 exec_lo, exec_lo, s28
	v_cmp_gt_i16_sdwa s28, v17, v100 src0_sel:BYTE_1 src1_sel:DWORD
	s_andn2_b32 vcc_lo, exec_lo, s27
	s_mov_b32 s12, -1
                                        ; implicit-def: $vgpr58
	s_cbranch_vccnz .LBB4_4224
; %bb.4211:                             ;   in Loop: Header=BB4_3166 Depth=2
	s_mov_b32 s12, 0
	s_and_saveexec_b32 s29, s28
	s_xor_b32 s28, exec_lo, s29
	s_cbranch_execz .LBB4_4548
; %bb.4212:                             ;   in Loop: Header=BB4_3166 Depth=2
	v_cmp_eq_u16_sdwa s40, v17, v101 src0_sel:BYTE_1 src1_sel:DWORD
	s_mov_b32 s12, -1
	s_and_saveexec_b32 s29, s40
; %bb.4213:                             ;   in Loop: Header=BB4_3166 Depth=2
	s_xor_b32 s12, exec_lo, -1
; %bb.4214:                             ;   in Loop: Header=BB4_3166 Depth=2
	s_or_b32 exec_lo, exec_lo, s29
	s_and_b32 s12, s12, exec_lo
	s_or_saveexec_b32 s28, s28
	v_mov_b32_e32 v57, 0x7f800001
	s_xor_b32 exec_lo, exec_lo, s28
	s_cbranch_execnz .LBB4_4549
.LBB4_4215:                             ;   in Loop: Header=BB4_3166 Depth=2
	s_or_b32 exec_lo, exec_lo, s28
	s_and_saveexec_b32 s28, s12
	s_cbranch_execz .LBB4_4217
.LBB4_4216:                             ;   in Loop: Header=BB4_3166 Depth=2
	v_and_b32_sdwa v57, v102, v17 dst_sel:DWORD dst_unused:UNUSED_PAD src0_sel:DWORD src1_sel:BYTE_1
	v_and_b32_e32 v58, 3, v57
	v_bfe_u32 v61, v57, 2, 5
	v_ffbh_u32_e32 v59, v58
	v_cmp_eq_u32_e32 vcc_lo, 0, v61
	v_min_u32_e32 v59, 32, v59
	v_subrev_nc_u32_e32 v60, 29, v59
	v_sub_nc_u32_e32 v59, 30, v59
	v_lshlrev_b32_e32 v57, v60, v57
	v_lshlrev_b32_e32 v60, 16, v17
	v_cndmask_b32_e32 v59, v61, v59, vcc_lo
	v_and_b32_e32 v57, 3, v57
	v_lshl_add_u32 v59, v59, 23, 0x37800000
	v_cndmask_b32_e32 v57, v58, v57, vcc_lo
	v_and_b32_e32 v58, 0x80000000, v60
	v_lshlrev_b32_e32 v57, 21, v57
	v_or3_b32 v57, v58, v59, v57
.LBB4_4217:                             ;   in Loop: Header=BB4_3166 Depth=2
	s_or_b32 exec_lo, exec_lo, s28
	v_cmp_gt_i16_sdwa s28, v13, v100 src0_sel:BYTE_1 src1_sel:DWORD
	s_mov_b32 s12, 0
	s_and_saveexec_b32 s29, s28
	s_xor_b32 s28, exec_lo, s29
	s_cbranch_execz .LBB4_4550
; %bb.4218:                             ;   in Loop: Header=BB4_3166 Depth=2
	v_cmp_eq_u16_sdwa s40, v13, v101 src0_sel:BYTE_1 src1_sel:DWORD
	s_mov_b32 s12, -1
	s_and_saveexec_b32 s29, s40
; %bb.4219:                             ;   in Loop: Header=BB4_3166 Depth=2
	s_xor_b32 s12, exec_lo, -1
; %bb.4220:                             ;   in Loop: Header=BB4_3166 Depth=2
	s_or_b32 exec_lo, exec_lo, s29
	s_and_b32 s12, s12, exec_lo
	s_or_saveexec_b32 s28, s28
	v_mov_b32_e32 v58, 0x7f800001
	s_xor_b32 exec_lo, exec_lo, s28
	s_cbranch_execnz .LBB4_4551
.LBB4_4221:                             ;   in Loop: Header=BB4_3166 Depth=2
	s_or_b32 exec_lo, exec_lo, s28
	s_and_saveexec_b32 s28, s12
	s_cbranch_execz .LBB4_4223
.LBB4_4222:                             ;   in Loop: Header=BB4_3166 Depth=2
	v_and_b32_sdwa v58, v102, v13 dst_sel:DWORD dst_unused:UNUSED_PAD src0_sel:DWORD src1_sel:BYTE_1
	v_and_b32_e32 v59, 3, v58
	v_bfe_u32 v62, v58, 2, 5
	v_ffbh_u32_e32 v60, v59
	v_cmp_eq_u32_e32 vcc_lo, 0, v62
	v_min_u32_e32 v60, 32, v60
	v_subrev_nc_u32_e32 v61, 29, v60
	v_sub_nc_u32_e32 v60, 30, v60
	v_lshlrev_b32_e32 v58, v61, v58
	v_lshlrev_b32_e32 v61, 16, v13
	v_cndmask_b32_e32 v60, v62, v60, vcc_lo
	v_and_b32_e32 v58, 3, v58
	v_lshl_add_u32 v60, v60, 23, 0x37800000
	v_cndmask_b32_e32 v58, v59, v58, vcc_lo
	v_and_b32_e32 v59, 0x80000000, v61
	v_lshlrev_b32_e32 v58, 21, v58
	v_or3_b32 v58, v59, v60, v58
.LBB4_4223:                             ;   in Loop: Header=BB4_3166 Depth=2
	s_or_b32 exec_lo, exec_lo, s28
	v_max_f32_e32 v58, v58, v58
	v_max_f32_e32 v57, v57, v57
	s_mov_b32 s12, 0
	v_max_f32_e32 v58, v57, v58
.LBB4_4224:                             ;   in Loop: Header=BB4_3166 Depth=2
	s_and_b32 vcc_lo, exec_lo, s12
	s_cbranch_vccz .LBB4_4238
; %bb.4225:                             ;   in Loop: Header=BB4_3166 Depth=2
	v_cmp_gt_i16_sdwa s28, v17, v100 src0_sel:BYTE_1 src1_sel:DWORD
	s_mov_b32 s12, 0
	s_and_saveexec_b32 s29, s28
	s_xor_b32 s28, exec_lo, s29
	s_cbranch_execz .LBB4_4552
; %bb.4226:                             ;   in Loop: Header=BB4_3166 Depth=2
	v_cmp_eq_u16_sdwa s40, v17, v101 src0_sel:BYTE_1 src1_sel:DWORD
	s_mov_b32 s12, -1
	s_and_saveexec_b32 s29, s40
; %bb.4227:                             ;   in Loop: Header=BB4_3166 Depth=2
	s_xor_b32 s12, exec_lo, -1
; %bb.4228:                             ;   in Loop: Header=BB4_3166 Depth=2
	s_or_b32 exec_lo, exec_lo, s29
	s_and_b32 s12, s12, exec_lo
	s_or_saveexec_b32 s28, s28
	v_mov_b32_e32 v57, 0x7f800001
	s_xor_b32 exec_lo, exec_lo, s28
	s_cbranch_execnz .LBB4_4553
.LBB4_4229:                             ;   in Loop: Header=BB4_3166 Depth=2
	s_or_b32 exec_lo, exec_lo, s28
	s_and_saveexec_b32 s28, s12
	s_cbranch_execz .LBB4_4231
.LBB4_4230:                             ;   in Loop: Header=BB4_3166 Depth=2
	v_and_b32_sdwa v57, v102, v17 dst_sel:DWORD dst_unused:UNUSED_PAD src0_sel:DWORD src1_sel:BYTE_1
	v_and_b32_e32 v58, 3, v57
	v_bfe_u32 v61, v57, 2, 5
	v_ffbh_u32_e32 v59, v58
	v_cmp_eq_u32_e32 vcc_lo, 0, v61
	v_min_u32_e32 v59, 32, v59
	v_subrev_nc_u32_e32 v60, 29, v59
	v_sub_nc_u32_e32 v59, 30, v59
	v_lshlrev_b32_e32 v57, v60, v57
	v_lshlrev_b32_e32 v60, 16, v17
	v_cndmask_b32_e32 v59, v61, v59, vcc_lo
	v_and_b32_e32 v57, 3, v57
	v_lshl_add_u32 v59, v59, 23, 0x37800000
	v_cndmask_b32_e32 v57, v58, v57, vcc_lo
	v_and_b32_e32 v58, 0x80000000, v60
	v_lshlrev_b32_e32 v57, 21, v57
	v_or3_b32 v57, v58, v59, v57
.LBB4_4231:                             ;   in Loop: Header=BB4_3166 Depth=2
	s_or_b32 exec_lo, exec_lo, s28
	v_cmp_gt_i16_sdwa s28, v13, v100 src0_sel:BYTE_1 src1_sel:DWORD
	s_mov_b32 s12, 0
	s_and_saveexec_b32 s29, s28
	s_xor_b32 s28, exec_lo, s29
	s_cbranch_execz .LBB4_4554
; %bb.4232:                             ;   in Loop: Header=BB4_3166 Depth=2
	v_cmp_eq_u16_sdwa s40, v13, v101 src0_sel:BYTE_1 src1_sel:DWORD
	s_mov_b32 s12, -1
	s_and_saveexec_b32 s29, s40
; %bb.4233:                             ;   in Loop: Header=BB4_3166 Depth=2
	s_xor_b32 s12, exec_lo, -1
; %bb.4234:                             ;   in Loop: Header=BB4_3166 Depth=2
	s_or_b32 exec_lo, exec_lo, s29
	s_and_b32 s12, s12, exec_lo
	s_or_saveexec_b32 s28, s28
	v_mov_b32_e32 v58, 0x7f800001
	s_xor_b32 exec_lo, exec_lo, s28
	s_cbranch_execnz .LBB4_4555
.LBB4_4235:                             ;   in Loop: Header=BB4_3166 Depth=2
	s_or_b32 exec_lo, exec_lo, s28
	s_and_saveexec_b32 s28, s12
	s_cbranch_execz .LBB4_4237
.LBB4_4236:                             ;   in Loop: Header=BB4_3166 Depth=2
	v_and_b32_sdwa v58, v102, v13 dst_sel:DWORD dst_unused:UNUSED_PAD src0_sel:DWORD src1_sel:BYTE_1
	v_and_b32_e32 v59, 3, v58
	v_bfe_u32 v62, v58, 2, 5
	v_ffbh_u32_e32 v60, v59
	v_cmp_eq_u32_e32 vcc_lo, 0, v62
	v_min_u32_e32 v60, 32, v60
	v_subrev_nc_u32_e32 v61, 29, v60
	v_sub_nc_u32_e32 v60, 30, v60
	v_lshlrev_b32_e32 v58, v61, v58
	v_lshlrev_b32_e32 v61, 16, v13
	v_cndmask_b32_e32 v60, v62, v60, vcc_lo
	v_and_b32_e32 v58, 3, v58
	v_lshl_add_u32 v60, v60, 23, 0x37800000
	v_cndmask_b32_e32 v58, v59, v58, vcc_lo
	v_and_b32_e32 v59, 0x80000000, v61
	v_lshlrev_b32_e32 v58, 21, v58
	v_or3_b32 v58, v59, v60, v58
.LBB4_4237:                             ;   in Loop: Header=BB4_3166 Depth=2
	s_or_b32 exec_lo, exec_lo, s28
	v_max_f32_e32 v58, v58, v58
	v_max_f32_e32 v57, v57, v57
	v_min_f32_e32 v58, v57, v58
.LBB4_4238:                             ;   in Loop: Header=BB4_3166 Depth=2
	v_and_b32_e32 v57, 0x7f800000, v58
	v_cmp_ne_u32_e32 vcc_lo, 0x7f800000, v57
	v_mov_b32_e32 v57, 0x8000
	s_and_saveexec_b32 s28, vcc_lo
	s_cbranch_execz .LBB4_4246
; %bb.4239:                             ;   in Loop: Header=BB4_3166 Depth=2
	v_mov_b32_e32 v57, 0
	s_mov_b32 s29, exec_lo
	v_cmpx_ne_u32_e32 0, v58
	s_cbranch_execz .LBB4_4245
; %bb.4240:                             ;   in Loop: Header=BB4_3166 Depth=2
	v_bfe_u32 v57, v58, 23, 8
	v_and_b32_e32 v59, 0x7fffff, v58
	v_sub_nc_u32_e32 v60, 0x70, v57
	v_cmp_gt_u32_e32 vcc_lo, 0x71, v57
	v_or_b32_e32 v61, 0x800000, v59
	v_cndmask_b32_e32 v60, 0, v60, vcc_lo
	v_cmp_eq_u32_e32 vcc_lo, 0, v57
	v_add_nc_u32_e32 v57, 0xffffff91, v57
	v_cndmask_b32_e64 v60, v60, 0x6f, vcc_lo
	v_cndmask_b32_e32 v59, v61, v59, vcc_lo
	v_cndmask_b32_e64 v57, v57, 0xffffff92, vcc_lo
	v_lshl_add_u32 v61, 0x200000, v60, -1
	v_lshrrev_b32_e32 v62, v60, v59
	v_lshlrev_b32_e64 v72, v60, 0x100000
	v_add_nc_u32_e32 v60, v60, v57
	v_and_b32_e32 v59, v61, v59
	v_bfe_u32 v63, v62, 21, 1
	v_cmp_eq_u32_e64 s12, v59, v72
	v_add_nc_u32_e32 v61, -1, v63
	v_cndmask_b32_e64 v59, 0, v61, s12
	v_lshrrev_b32_e32 v61, 23, v62
	s_mov_b32 s12, exec_lo
	v_add_nc_u32_e32 v59, v59, v62
	v_xor_b32_e32 v61, 1, v61
	v_and_b32_e32 v57, 0x1fffff, v59
	v_add_nc_u32_e32 v59, v57, v62
                                        ; implicit-def: $vgpr57
	v_cmpx_ne_u32_e64 v60, v61
	s_xor_b32 s12, exec_lo, s12
; %bb.4241:                             ;   in Loop: Header=BB4_3166 Depth=2
	v_cmp_lt_u32_e32 vcc_lo, 0xffffff, v59
	v_sub_nc_u32_e32 v57, v60, v61
	v_cndmask_b32_e64 v60, 0, 1, vcc_lo
	v_add_co_ci_u32_e64 v57, null, 0, v57, vcc_lo
	v_lshrrev_b32_e32 v59, v60, v59
; %bb.4242:                             ;   in Loop: Header=BB4_3166 Depth=2
	s_andn2_saveexec_b32 s12, s12
; %bb.4243:                             ;   in Loop: Header=BB4_3166 Depth=2
	v_bfe_u32 v57, v59, 23, 1
; %bb.4244:                             ;   in Loop: Header=BB4_3166 Depth=2
	s_or_b32 exec_lo, exec_lo, s12
	v_lshrrev_b32_e32 v59, 21, v59
	v_min_i32_e32 v60, 31, v57
	v_cmp_gt_i32_e32 vcc_lo, 32, v57
	v_and_b32_sdwa v58, v58, v101 dst_sel:DWORD dst_unused:UNUSED_PAD src0_sel:BYTE_3 src1_sel:DWORD
	v_lshlrev_b32_e32 v60, 2, v60
	v_cndmask_b32_e32 v59, 3, v59, vcc_lo
	v_and_b32_e32 v60, 0xfc, v60
	v_and_b32_e32 v61, 3, v59
	v_or_b32_e32 v57, v57, v59
	v_or3_b32 v58, v58, v60, v61
	v_cmp_ne_u32_e32 vcc_lo, 0, v57
	v_lshlrev_b32_e32 v58, 8, v58
	v_cndmask_b32_e32 v57, 0, v58, vcc_lo
.LBB4_4245:                             ;   in Loop: Header=BB4_3166 Depth=2
	s_or_b32 exec_lo, exec_lo, s29
.LBB4_4246:                             ;   in Loop: Header=BB4_3166 Depth=2
	s_or_b32 exec_lo, exec_lo, s28
	v_and_b32_sdwa v58, v17, v103 dst_sel:DWORD dst_unused:UNUSED_PAD src0_sel:WORD_1 src1_sel:DWORD
	s_andn2_b32 vcc_lo, exec_lo, s27
	s_mov_b32 s28, -1
                                        ; implicit-def: $vgpr59
	v_cmp_lt_i16_e64 s12, 0x7f, v58
	s_cbranch_vccnz .LBB4_4260
; %bb.4247:                             ;   in Loop: Header=BB4_3166 Depth=2
	s_mov_b32 s28, 0
	s_and_saveexec_b32 s29, s12
	s_xor_b32 s12, exec_lo, s29
	s_cbranch_execz .LBB4_4556
; %bb.4248:                             ;   in Loop: Header=BB4_3166 Depth=2
	s_mov_b32 s28, -1
	s_mov_b32 s29, exec_lo
	v_cmpx_eq_u16_e32 0x80, v58
; %bb.4249:                             ;   in Loop: Header=BB4_3166 Depth=2
	s_xor_b32 s28, exec_lo, -1
; %bb.4250:                             ;   in Loop: Header=BB4_3166 Depth=2
	s_or_b32 exec_lo, exec_lo, s29
	s_and_b32 s28, s28, exec_lo
	s_or_saveexec_b32 s12, s12
	v_mov_b32_e32 v59, 0x7f800001
	s_xor_b32 exec_lo, exec_lo, s12
	s_cbranch_execnz .LBB4_4557
.LBB4_4251:                             ;   in Loop: Header=BB4_3166 Depth=2
	s_or_b32 exec_lo, exec_lo, s12
	s_and_saveexec_b32 s12, s28
	s_cbranch_execz .LBB4_4253
.LBB4_4252:                             ;   in Loop: Header=BB4_3166 Depth=2
	v_bfe_u32 v59, v17, 16, 2
	v_bfe_u32 v62, v17, 18, 5
	v_lshlrev_b32_sdwa v63, v112, v17 dst_sel:DWORD dst_unused:UNUSED_PAD src0_sel:DWORD src1_sel:WORD_1
	v_ffbh_u32_e32 v60, v59
	v_cmp_eq_u32_e32 vcc_lo, 0, v62
	v_min_u32_e32 v60, 32, v60
	v_subrev_nc_u32_e32 v61, 29, v60
	v_sub_nc_u32_e32 v60, 30, v60
	v_lshlrev_b32_sdwa v61, v61, v17 dst_sel:DWORD dst_unused:UNUSED_PAD src0_sel:DWORD src1_sel:WORD_1
	v_cndmask_b32_e32 v60, v62, v60, vcc_lo
	v_and_b32_e32 v61, 3, v61
	v_lshl_add_u32 v60, v60, 23, 0x37800000
	v_cndmask_b32_e32 v59, v59, v61, vcc_lo
	v_and_b32_e32 v61, 0x80000000, v63
	v_lshlrev_b32_e32 v59, 21, v59
	v_or3_b32 v59, v61, v60, v59
.LBB4_4253:                             ;   in Loop: Header=BB4_3166 Depth=2
	s_or_b32 exec_lo, exec_lo, s12
	v_and_b32_sdwa v61, v13, v103 dst_sel:DWORD dst_unused:UNUSED_PAD src0_sel:WORD_1 src1_sel:DWORD
	s_mov_b32 s12, 0
	s_mov_b32 s28, exec_lo
	v_cmpx_lt_i16_e32 0x7f, v61
	s_xor_b32 s28, exec_lo, s28
	s_cbranch_execz .LBB4_4558
; %bb.4254:                             ;   in Loop: Header=BB4_3166 Depth=2
	s_mov_b32 s12, -1
	s_mov_b32 s29, exec_lo
	v_cmpx_eq_u16_e32 0x80, v61
; %bb.4255:                             ;   in Loop: Header=BB4_3166 Depth=2
	s_xor_b32 s12, exec_lo, -1
; %bb.4256:                             ;   in Loop: Header=BB4_3166 Depth=2
	s_or_b32 exec_lo, exec_lo, s29
	s_and_b32 s12, s12, exec_lo
                                        ; implicit-def: $vgpr61
	s_or_saveexec_b32 s28, s28
	v_mov_b32_e32 v60, 0x7f800001
	s_xor_b32 exec_lo, exec_lo, s28
	s_cbranch_execnz .LBB4_4559
.LBB4_4257:                             ;   in Loop: Header=BB4_3166 Depth=2
	s_or_b32 exec_lo, exec_lo, s28
	s_and_saveexec_b32 s28, s12
	s_cbranch_execz .LBB4_4259
.LBB4_4258:                             ;   in Loop: Header=BB4_3166 Depth=2
	v_bfe_u32 v60, v13, 16, 2
	v_bfe_u32 v63, v13, 18, 5
	v_lshlrev_b32_sdwa v72, v112, v13 dst_sel:DWORD dst_unused:UNUSED_PAD src0_sel:DWORD src1_sel:WORD_1
	v_ffbh_u32_e32 v61, v60
	v_cmp_eq_u32_e32 vcc_lo, 0, v63
	v_min_u32_e32 v61, 32, v61
	v_subrev_nc_u32_e32 v62, 29, v61
	v_sub_nc_u32_e32 v61, 30, v61
	v_lshlrev_b32_sdwa v62, v62, v13 dst_sel:DWORD dst_unused:UNUSED_PAD src0_sel:DWORD src1_sel:WORD_1
	v_cndmask_b32_e32 v61, v63, v61, vcc_lo
	v_and_b32_e32 v62, 3, v62
	v_lshl_add_u32 v61, v61, 23, 0x37800000
	v_cndmask_b32_e32 v60, v60, v62, vcc_lo
	v_and_b32_e32 v62, 0x80000000, v72
	v_lshlrev_b32_e32 v60, 21, v60
	v_or3_b32 v60, v62, v61, v60
.LBB4_4259:                             ;   in Loop: Header=BB4_3166 Depth=2
	s_or_b32 exec_lo, exec_lo, s28
	v_max_f32_e32 v60, v60, v60
	v_max_f32_e32 v59, v59, v59
	s_mov_b32 s28, 0
	v_max_f32_e32 v59, v59, v60
.LBB4_4260:                             ;   in Loop: Header=BB4_3166 Depth=2
	s_and_b32 vcc_lo, exec_lo, s28
	s_cbranch_vccz .LBB4_4274
; %bb.4261:                             ;   in Loop: Header=BB4_3166 Depth=2
	s_mov_b32 s12, 0
	s_mov_b32 s28, exec_lo
	v_cmpx_lt_i16_e32 0x7f, v58
	s_xor_b32 s28, exec_lo, s28
	s_cbranch_execz .LBB4_4560
; %bb.4262:                             ;   in Loop: Header=BB4_3166 Depth=2
	s_mov_b32 s12, -1
	s_mov_b32 s29, exec_lo
	v_cmpx_eq_u16_e32 0x80, v58
; %bb.4263:                             ;   in Loop: Header=BB4_3166 Depth=2
	s_xor_b32 s12, exec_lo, -1
; %bb.4264:                             ;   in Loop: Header=BB4_3166 Depth=2
	s_or_b32 exec_lo, exec_lo, s29
	s_and_b32 s12, s12, exec_lo
                                        ; implicit-def: $vgpr58
	s_or_saveexec_b32 s28, s28
	v_mov_b32_e32 v59, 0x7f800001
	s_xor_b32 exec_lo, exec_lo, s28
	s_cbranch_execnz .LBB4_4561
.LBB4_4265:                             ;   in Loop: Header=BB4_3166 Depth=2
	s_or_b32 exec_lo, exec_lo, s28
	s_and_saveexec_b32 s28, s12
	s_cbranch_execz .LBB4_4267
.LBB4_4266:                             ;   in Loop: Header=BB4_3166 Depth=2
	v_bfe_u32 v58, v17, 16, 2
	v_bfe_u32 v61, v17, 18, 5
	v_lshlrev_b32_sdwa v62, v112, v17 dst_sel:DWORD dst_unused:UNUSED_PAD src0_sel:DWORD src1_sel:WORD_1
	v_ffbh_u32_e32 v59, v58
	v_cmp_eq_u32_e32 vcc_lo, 0, v61
	v_min_u32_e32 v59, 32, v59
	v_subrev_nc_u32_e32 v60, 29, v59
	v_sub_nc_u32_e32 v59, 30, v59
	v_lshlrev_b32_sdwa v60, v60, v17 dst_sel:DWORD dst_unused:UNUSED_PAD src0_sel:DWORD src1_sel:WORD_1
	v_cndmask_b32_e32 v59, v61, v59, vcc_lo
	v_and_b32_e32 v60, 3, v60
	v_lshl_add_u32 v59, v59, 23, 0x37800000
	v_cndmask_b32_e32 v58, v58, v60, vcc_lo
	v_and_b32_e32 v60, 0x80000000, v62
	v_lshlrev_b32_e32 v58, 21, v58
	v_or3_b32 v59, v60, v59, v58
.LBB4_4267:                             ;   in Loop: Header=BB4_3166 Depth=2
	s_or_b32 exec_lo, exec_lo, s28
	v_and_b32_sdwa v60, v13, v103 dst_sel:DWORD dst_unused:UNUSED_PAD src0_sel:WORD_1 src1_sel:DWORD
	s_mov_b32 s12, 0
	s_mov_b32 s28, exec_lo
	v_cmpx_lt_i16_e32 0x7f, v60
	s_xor_b32 s28, exec_lo, s28
	s_cbranch_execz .LBB4_4562
; %bb.4268:                             ;   in Loop: Header=BB4_3166 Depth=2
	s_mov_b32 s12, -1
	s_mov_b32 s29, exec_lo
	v_cmpx_eq_u16_e32 0x80, v60
; %bb.4269:                             ;   in Loop: Header=BB4_3166 Depth=2
	s_xor_b32 s12, exec_lo, -1
; %bb.4270:                             ;   in Loop: Header=BB4_3166 Depth=2
	s_or_b32 exec_lo, exec_lo, s29
	s_and_b32 s12, s12, exec_lo
                                        ; implicit-def: $vgpr60
	s_or_saveexec_b32 s28, s28
	v_mov_b32_e32 v58, 0x7f800001
	s_xor_b32 exec_lo, exec_lo, s28
	s_cbranch_execnz .LBB4_4563
.LBB4_4271:                             ;   in Loop: Header=BB4_3166 Depth=2
	s_or_b32 exec_lo, exec_lo, s28
	s_and_saveexec_b32 s28, s12
	s_cbranch_execz .LBB4_4273
.LBB4_4272:                             ;   in Loop: Header=BB4_3166 Depth=2
	v_bfe_u32 v58, v13, 16, 2
	v_bfe_u32 v62, v13, 18, 5
	v_lshlrev_b32_sdwa v63, v112, v13 dst_sel:DWORD dst_unused:UNUSED_PAD src0_sel:DWORD src1_sel:WORD_1
	v_ffbh_u32_e32 v60, v58
	v_cmp_eq_u32_e32 vcc_lo, 0, v62
	v_min_u32_e32 v60, 32, v60
	v_subrev_nc_u32_e32 v61, 29, v60
	v_sub_nc_u32_e32 v60, 30, v60
	v_lshlrev_b32_sdwa v61, v61, v13 dst_sel:DWORD dst_unused:UNUSED_PAD src0_sel:DWORD src1_sel:WORD_1
	v_cndmask_b32_e32 v60, v62, v60, vcc_lo
	v_and_b32_e32 v61, 3, v61
	v_lshl_add_u32 v60, v60, 23, 0x37800000
	v_cndmask_b32_e32 v58, v58, v61, vcc_lo
	v_and_b32_e32 v61, 0x80000000, v63
	v_lshlrev_b32_e32 v58, 21, v58
	v_or3_b32 v58, v61, v60, v58
.LBB4_4273:                             ;   in Loop: Header=BB4_3166 Depth=2
	s_or_b32 exec_lo, exec_lo, s28
	v_max_f32_e32 v58, v58, v58
	v_max_f32_e32 v59, v59, v59
	v_min_f32_e32 v59, v59, v58
.LBB4_4274:                             ;   in Loop: Header=BB4_3166 Depth=2
	v_and_b32_e32 v58, 0x7f800000, v59
	v_cmp_ne_u32_e32 vcc_lo, 0x7f800000, v58
	v_mov_b32_e32 v58, 0x80
	s_and_saveexec_b32 s28, vcc_lo
	s_cbranch_execz .LBB4_4282
; %bb.4275:                             ;   in Loop: Header=BB4_3166 Depth=2
	v_mov_b32_e32 v58, 0
	s_mov_b32 s29, exec_lo
	v_cmpx_ne_u32_e32 0, v59
	s_cbranch_execz .LBB4_4281
; %bb.4276:                             ;   in Loop: Header=BB4_3166 Depth=2
	v_bfe_u32 v58, v59, 23, 8
	v_and_b32_e32 v60, 0x7fffff, v59
	v_sub_nc_u32_e32 v61, 0x70, v58
	v_cmp_gt_u32_e32 vcc_lo, 0x71, v58
	v_or_b32_e32 v62, 0x800000, v60
	v_cndmask_b32_e32 v61, 0, v61, vcc_lo
	v_cmp_eq_u32_e32 vcc_lo, 0, v58
	v_add_nc_u32_e32 v58, 0xffffff91, v58
	v_cndmask_b32_e64 v61, v61, 0x6f, vcc_lo
	v_cndmask_b32_e32 v60, v62, v60, vcc_lo
	v_cndmask_b32_e64 v58, v58, 0xffffff92, vcc_lo
	v_lshl_add_u32 v62, 0x200000, v61, -1
	v_lshrrev_b32_e32 v63, v61, v60
	v_lshlrev_b32_e64 v73, v61, 0x100000
	v_add_nc_u32_e32 v61, v61, v58
	v_and_b32_e32 v60, v62, v60
	v_bfe_u32 v72, v63, 21, 1
	v_cmp_eq_u32_e64 s12, v60, v73
	v_add_nc_u32_e32 v62, -1, v72
	v_cndmask_b32_e64 v60, 0, v62, s12
	v_lshrrev_b32_e32 v62, 23, v63
	s_mov_b32 s12, exec_lo
	v_add_nc_u32_e32 v60, v60, v63
	v_xor_b32_e32 v62, 1, v62
	v_and_b32_e32 v58, 0x1fffff, v60
	v_add_nc_u32_e32 v60, v58, v63
                                        ; implicit-def: $vgpr58
	v_cmpx_ne_u32_e64 v61, v62
	s_xor_b32 s12, exec_lo, s12
; %bb.4277:                             ;   in Loop: Header=BB4_3166 Depth=2
	v_cmp_lt_u32_e32 vcc_lo, 0xffffff, v60
	v_sub_nc_u32_e32 v58, v61, v62
	v_cndmask_b32_e64 v61, 0, 1, vcc_lo
	v_add_co_ci_u32_e64 v58, null, 0, v58, vcc_lo
	v_lshrrev_b32_e32 v60, v61, v60
; %bb.4278:                             ;   in Loop: Header=BB4_3166 Depth=2
	s_andn2_saveexec_b32 s12, s12
; %bb.4279:                             ;   in Loop: Header=BB4_3166 Depth=2
	v_bfe_u32 v58, v60, 23, 1
; %bb.4280:                             ;   in Loop: Header=BB4_3166 Depth=2
	s_or_b32 exec_lo, exec_lo, s12
	v_lshrrev_b32_e32 v60, 21, v60
	v_min_i32_e32 v61, 31, v58
	v_cmp_gt_i32_e32 vcc_lo, 32, v58
	v_and_b32_sdwa v59, v59, v101 dst_sel:DWORD dst_unused:UNUSED_PAD src0_sel:BYTE_3 src1_sel:DWORD
	v_lshlrev_b32_e32 v61, 2, v61
	v_cndmask_b32_e32 v60, 3, v60, vcc_lo
	v_and_b32_e32 v61, 0xfc, v61
	v_and_b32_e32 v62, 3, v60
	v_or_b32_e32 v58, v58, v60
	v_or3_b32 v59, v61, v59, v62
	v_cmp_ne_u32_e32 vcc_lo, 0, v58
	v_cndmask_b32_e32 v58, 0, v59, vcc_lo
.LBB4_4281:                             ;   in Loop: Header=BB4_3166 Depth=2
	s_or_b32 exec_lo, exec_lo, s29
.LBB4_4282:                             ;   in Loop: Header=BB4_3166 Depth=2
	s_or_b32 exec_lo, exec_lo, s28
	v_cmp_gt_i16_sdwa s28, v17, v100 src0_sel:BYTE_3 src1_sel:DWORD
	s_andn2_b32 vcc_lo, exec_lo, s27
	s_mov_b32 s12, -1
                                        ; implicit-def: $vgpr59
	s_cbranch_vccnz .LBB4_4296
; %bb.4283:                             ;   in Loop: Header=BB4_3166 Depth=2
	s_mov_b32 s12, 0
	s_and_saveexec_b32 s29, s28
	s_xor_b32 s28, exec_lo, s29
	s_cbranch_execz .LBB4_4564
; %bb.4284:                             ;   in Loop: Header=BB4_3166 Depth=2
	v_cmp_eq_u16_sdwa s40, v17, v101 src0_sel:BYTE_3 src1_sel:DWORD
	s_mov_b32 s12, -1
	s_and_saveexec_b32 s29, s40
; %bb.4285:                             ;   in Loop: Header=BB4_3166 Depth=2
	s_xor_b32 s12, exec_lo, -1
; %bb.4286:                             ;   in Loop: Header=BB4_3166 Depth=2
	s_or_b32 exec_lo, exec_lo, s29
	s_and_b32 s12, s12, exec_lo
	s_or_saveexec_b32 s28, s28
	v_mov_b32_e32 v59, 0x7f800001
	s_xor_b32 exec_lo, exec_lo, s28
	s_cbranch_execnz .LBB4_4565
.LBB4_4287:                             ;   in Loop: Header=BB4_3166 Depth=2
	s_or_b32 exec_lo, exec_lo, s28
	s_and_saveexec_b32 s28, s12
	s_cbranch_execz .LBB4_4289
.LBB4_4288:                             ;   in Loop: Header=BB4_3166 Depth=2
	v_bfe_u32 v59, v17, 24, 2
	v_bfe_u32 v62, v17, 26, 5
	v_ffbh_u32_e32 v60, v59
	v_cmp_eq_u32_e32 vcc_lo, 0, v62
	v_min_u32_e32 v60, 32, v60
	v_subrev_nc_u32_e32 v61, 29, v60
	v_sub_nc_u32_e32 v60, 30, v60
	v_lshlrev_b32_sdwa v61, v61, v17 dst_sel:DWORD dst_unused:UNUSED_PAD src0_sel:DWORD src1_sel:BYTE_3
	v_cndmask_b32_e32 v60, v62, v60, vcc_lo
	v_and_b32_e32 v61, 3, v61
	v_lshl_add_u32 v60, v60, 23, 0x37800000
	v_cndmask_b32_e32 v59, v59, v61, vcc_lo
	v_and_b32_e32 v61, 0x80000000, v17
	v_lshlrev_b32_e32 v59, 21, v59
	v_or3_b32 v59, v61, v60, v59
.LBB4_4289:                             ;   in Loop: Header=BB4_3166 Depth=2
	s_or_b32 exec_lo, exec_lo, s28
	v_cmp_gt_i16_sdwa s28, v13, v100 src0_sel:BYTE_3 src1_sel:DWORD
	s_mov_b32 s12, 0
	s_and_saveexec_b32 s29, s28
	s_xor_b32 s28, exec_lo, s29
	s_cbranch_execz .LBB4_4566
; %bb.4290:                             ;   in Loop: Header=BB4_3166 Depth=2
	v_cmp_eq_u16_sdwa s40, v13, v101 src0_sel:BYTE_3 src1_sel:DWORD
	s_mov_b32 s12, -1
	s_and_saveexec_b32 s29, s40
; %bb.4291:                             ;   in Loop: Header=BB4_3166 Depth=2
	s_xor_b32 s12, exec_lo, -1
; %bb.4292:                             ;   in Loop: Header=BB4_3166 Depth=2
	s_or_b32 exec_lo, exec_lo, s29
	s_and_b32 s12, s12, exec_lo
	s_or_saveexec_b32 s28, s28
	v_mov_b32_e32 v60, 0x7f800001
	s_xor_b32 exec_lo, exec_lo, s28
	s_cbranch_execnz .LBB4_4567
.LBB4_4293:                             ;   in Loop: Header=BB4_3166 Depth=2
	s_or_b32 exec_lo, exec_lo, s28
	s_and_saveexec_b32 s28, s12
	s_cbranch_execz .LBB4_4295
.LBB4_4294:                             ;   in Loop: Header=BB4_3166 Depth=2
	v_bfe_u32 v60, v13, 24, 2
	v_bfe_u32 v63, v13, 26, 5
	v_ffbh_u32_e32 v61, v60
	v_cmp_eq_u32_e32 vcc_lo, 0, v63
	v_min_u32_e32 v61, 32, v61
	v_subrev_nc_u32_e32 v62, 29, v61
	v_sub_nc_u32_e32 v61, 30, v61
	v_lshlrev_b32_sdwa v62, v62, v13 dst_sel:DWORD dst_unused:UNUSED_PAD src0_sel:DWORD src1_sel:BYTE_3
	v_cndmask_b32_e32 v61, v63, v61, vcc_lo
	v_and_b32_e32 v62, 3, v62
	v_lshl_add_u32 v61, v61, 23, 0x37800000
	v_cndmask_b32_e32 v60, v60, v62, vcc_lo
	v_and_b32_e32 v62, 0x80000000, v13
	v_lshlrev_b32_e32 v60, 21, v60
	v_or3_b32 v60, v62, v61, v60
.LBB4_4295:                             ;   in Loop: Header=BB4_3166 Depth=2
	s_or_b32 exec_lo, exec_lo, s28
	v_max_f32_e32 v60, v60, v60
	v_max_f32_e32 v59, v59, v59
	s_mov_b32 s12, 0
	v_max_f32_e32 v59, v59, v60
.LBB4_4296:                             ;   in Loop: Header=BB4_3166 Depth=2
	s_and_b32 vcc_lo, exec_lo, s12
	s_cbranch_vccz .LBB4_4310
; %bb.4297:                             ;   in Loop: Header=BB4_3166 Depth=2
	v_cmp_gt_i16_sdwa s28, v17, v100 src0_sel:BYTE_3 src1_sel:DWORD
	s_mov_b32 s12, 0
	s_and_saveexec_b32 s29, s28
	s_xor_b32 s28, exec_lo, s29
	s_cbranch_execz .LBB4_4568
; %bb.4298:                             ;   in Loop: Header=BB4_3166 Depth=2
	v_cmp_eq_u16_sdwa s40, v17, v101 src0_sel:BYTE_3 src1_sel:DWORD
	s_mov_b32 s12, -1
	s_and_saveexec_b32 s29, s40
; %bb.4299:                             ;   in Loop: Header=BB4_3166 Depth=2
	s_xor_b32 s12, exec_lo, -1
; %bb.4300:                             ;   in Loop: Header=BB4_3166 Depth=2
	s_or_b32 exec_lo, exec_lo, s29
	s_and_b32 s12, s12, exec_lo
	s_or_saveexec_b32 s28, s28
	v_mov_b32_e32 v59, 0x7f800001
	s_xor_b32 exec_lo, exec_lo, s28
	s_cbranch_execnz .LBB4_4569
.LBB4_4301:                             ;   in Loop: Header=BB4_3166 Depth=2
	s_or_b32 exec_lo, exec_lo, s28
	s_and_saveexec_b32 s28, s12
	s_cbranch_execz .LBB4_4303
.LBB4_4302:                             ;   in Loop: Header=BB4_3166 Depth=2
	v_bfe_u32 v59, v17, 24, 2
	v_bfe_u32 v62, v17, 26, 5
	v_ffbh_u32_e32 v60, v59
	v_cmp_eq_u32_e32 vcc_lo, 0, v62
	v_min_u32_e32 v60, 32, v60
	v_subrev_nc_u32_e32 v61, 29, v60
	v_sub_nc_u32_e32 v60, 30, v60
	v_lshlrev_b32_sdwa v61, v61, v17 dst_sel:DWORD dst_unused:UNUSED_PAD src0_sel:DWORD src1_sel:BYTE_3
	v_cndmask_b32_e32 v60, v62, v60, vcc_lo
	v_and_b32_e32 v17, 0x80000000, v17
	v_and_b32_e32 v61, 3, v61
	v_lshl_add_u32 v60, v60, 23, 0x37800000
	v_cndmask_b32_e32 v59, v59, v61, vcc_lo
	v_lshlrev_b32_e32 v59, 21, v59
	v_or3_b32 v59, v17, v60, v59
.LBB4_4303:                             ;   in Loop: Header=BB4_3166 Depth=2
	s_or_b32 exec_lo, exec_lo, s28
	v_cmp_gt_i16_sdwa s28, v13, v100 src0_sel:BYTE_3 src1_sel:DWORD
	s_mov_b32 s12, 0
	s_and_saveexec_b32 s29, s28
	s_xor_b32 s28, exec_lo, s29
	s_cbranch_execz .LBB4_4570
; %bb.4304:                             ;   in Loop: Header=BB4_3166 Depth=2
	v_cmp_eq_u16_sdwa s40, v13, v101 src0_sel:BYTE_3 src1_sel:DWORD
	s_mov_b32 s12, -1
	s_and_saveexec_b32 s29, s40
; %bb.4305:                             ;   in Loop: Header=BB4_3166 Depth=2
	s_xor_b32 s12, exec_lo, -1
; %bb.4306:                             ;   in Loop: Header=BB4_3166 Depth=2
	s_or_b32 exec_lo, exec_lo, s29
	s_and_b32 s12, s12, exec_lo
	s_or_saveexec_b32 s28, s28
	v_mov_b32_e32 v17, 0x7f800001
	s_xor_b32 exec_lo, exec_lo, s28
	s_cbranch_execnz .LBB4_4571
.LBB4_4307:                             ;   in Loop: Header=BB4_3166 Depth=2
	s_or_b32 exec_lo, exec_lo, s28
	s_and_saveexec_b32 s28, s12
	s_cbranch_execz .LBB4_4309
.LBB4_4308:                             ;   in Loop: Header=BB4_3166 Depth=2
	v_bfe_u32 v17, v13, 24, 2
	v_bfe_u32 v62, v13, 26, 5
	v_ffbh_u32_e32 v60, v17
	v_cmp_eq_u32_e32 vcc_lo, 0, v62
	v_min_u32_e32 v60, 32, v60
	v_subrev_nc_u32_e32 v61, 29, v60
	v_sub_nc_u32_e32 v60, 30, v60
	v_lshlrev_b32_sdwa v61, v61, v13 dst_sel:DWORD dst_unused:UNUSED_PAD src0_sel:DWORD src1_sel:BYTE_3
	v_cndmask_b32_e32 v60, v62, v60, vcc_lo
	v_and_b32_e32 v13, 0x80000000, v13
	v_and_b32_e32 v61, 3, v61
	v_lshl_add_u32 v60, v60, 23, 0x37800000
	v_cndmask_b32_e32 v17, v17, v61, vcc_lo
	v_lshlrev_b32_e32 v17, 21, v17
	v_or3_b32 v17, v13, v60, v17
.LBB4_4309:                             ;   in Loop: Header=BB4_3166 Depth=2
	s_or_b32 exec_lo, exec_lo, s28
	v_max_f32_e32 v13, v17, v17
	v_max_f32_e32 v17, v59, v59
	v_min_f32_e32 v59, v17, v13
.LBB4_4310:                             ;   in Loop: Header=BB4_3166 Depth=2
	v_and_b32_e32 v13, 0x7f800000, v59
	v_cmp_ne_u32_e32 vcc_lo, 0x7f800000, v13
	v_mov_b32_e32 v13, 0x8000
	s_and_saveexec_b32 s28, vcc_lo
	s_cbranch_execz .LBB4_3165
; %bb.4311:                             ;   in Loop: Header=BB4_3166 Depth=2
	v_mov_b32_e32 v13, 0
	s_mov_b32 s29, exec_lo
	v_cmpx_ne_u32_e32 0, v59
	s_cbranch_execz .LBB4_3164
; %bb.4312:                             ;   in Loop: Header=BB4_3166 Depth=2
	v_bfe_u32 v13, v59, 23, 8
	v_and_b32_e32 v17, 0x7fffff, v59
	v_sub_nc_u32_e32 v60, 0x70, v13
	v_cmp_gt_u32_e32 vcc_lo, 0x71, v13
	v_or_b32_e32 v61, 0x800000, v17
	v_cndmask_b32_e32 v60, 0, v60, vcc_lo
	v_cmp_eq_u32_e32 vcc_lo, 0, v13
	v_add_nc_u32_e32 v13, 0xffffff91, v13
	v_cndmask_b32_e64 v60, v60, 0x6f, vcc_lo
	v_cndmask_b32_e32 v17, v61, v17, vcc_lo
	v_cndmask_b32_e64 v13, v13, 0xffffff92, vcc_lo
	v_lshl_add_u32 v61, 0x200000, v60, -1
	v_lshrrev_b32_e32 v62, v60, v17
	v_lshlrev_b32_e64 v72, v60, 0x100000
	v_add_nc_u32_e32 v60, v60, v13
	v_and_b32_e32 v17, v61, v17
	v_bfe_u32 v63, v62, 21, 1
	v_cmp_eq_u32_e64 s12, v17, v72
	v_add_nc_u32_e32 v61, -1, v63
	v_cndmask_b32_e64 v17, 0, v61, s12
	v_lshrrev_b32_e32 v61, 23, v62
	s_mov_b32 s12, exec_lo
	v_add_nc_u32_e32 v17, v17, v62
	v_xor_b32_e32 v61, 1, v61
	v_and_b32_e32 v13, 0x1fffff, v17
	v_add_nc_u32_e32 v17, v13, v62
                                        ; implicit-def: $vgpr13
	v_cmpx_ne_u32_e64 v60, v61
	s_xor_b32 s12, exec_lo, s12
; %bb.4313:                             ;   in Loop: Header=BB4_3166 Depth=2
	v_cmp_lt_u32_e32 vcc_lo, 0xffffff, v17
	v_sub_nc_u32_e32 v13, v60, v61
	v_cndmask_b32_e64 v60, 0, 1, vcc_lo
	v_add_co_ci_u32_e64 v13, null, 0, v13, vcc_lo
	v_lshrrev_b32_e32 v17, v60, v17
; %bb.4314:                             ;   in Loop: Header=BB4_3166 Depth=2
	s_andn2_saveexec_b32 s12, s12
	s_cbranch_execz .LBB4_3163
; %bb.4315:                             ;   in Loop: Header=BB4_3166 Depth=2
	v_bfe_u32 v13, v17, 23, 1
	s_branch .LBB4_3163
.LBB4_4316:                             ;   in Loop: Header=BB4_3166 Depth=2
	s_or_saveexec_b32 s28, s28
	v_mov_b32_e32 v114, 0x7f800001
	s_xor_b32 exec_lo, exec_lo, s28
	s_cbranch_execz .LBB4_3171
.LBB4_4317:                             ;   in Loop: Header=BB4_3166 Depth=2
	v_cmp_ne_u16_sdwa s29, v22, v51 src0_sel:BYTE_0 src1_sel:DWORD
	v_mov_b32_e32 v114, 0
	s_andn2_b32 s12, s12, exec_lo
	s_and_b32 s29, s29, exec_lo
	s_or_b32 s12, s12, s29
	s_or_b32 exec_lo, exec_lo, s28
	s_and_saveexec_b32 s28, s12
	s_cbranch_execnz .LBB4_3172
	s_branch .LBB4_3173
.LBB4_4318:                             ;   in Loop: Header=BB4_3166 Depth=2
	s_or_saveexec_b32 s28, s28
	v_mov_b32_e32 v115, 0x7f800001
	s_xor_b32 exec_lo, exec_lo, s28
	s_cbranch_execz .LBB4_3177
.LBB4_4319:                             ;   in Loop: Header=BB4_3166 Depth=2
	v_cmp_ne_u16_sdwa s29, v18, v51 src0_sel:BYTE_0 src1_sel:DWORD
	v_mov_b32_e32 v115, 0
	s_andn2_b32 s12, s12, exec_lo
	s_and_b32 s29, s29, exec_lo
	s_or_b32 s12, s12, s29
	s_or_b32 exec_lo, exec_lo, s28
	s_and_saveexec_b32 s28, s12
	s_cbranch_execnz .LBB4_3178
	s_branch .LBB4_3179
.LBB4_4320:                             ;   in Loop: Header=BB4_3166 Depth=2
	s_or_saveexec_b32 s28, s28
	v_mov_b32_e32 v114, 0x7f800001
	s_xor_b32 exec_lo, exec_lo, s28
	s_cbranch_execz .LBB4_3185
.LBB4_4321:                             ;   in Loop: Header=BB4_3166 Depth=2
	v_cmp_ne_u16_sdwa s29, v22, v51 src0_sel:BYTE_0 src1_sel:DWORD
	v_mov_b32_e32 v114, 0
	s_andn2_b32 s12, s12, exec_lo
	s_and_b32 s29, s29, exec_lo
	s_or_b32 s12, s12, s29
	s_or_b32 exec_lo, exec_lo, s28
	s_and_saveexec_b32 s28, s12
	s_cbranch_execnz .LBB4_3186
	s_branch .LBB4_3187
.LBB4_4322:                             ;   in Loop: Header=BB4_3166 Depth=2
	s_or_saveexec_b32 s28, s28
	v_mov_b32_e32 v115, 0x7f800001
	s_xor_b32 exec_lo, exec_lo, s28
	s_cbranch_execz .LBB4_3191
.LBB4_4323:                             ;   in Loop: Header=BB4_3166 Depth=2
	v_cmp_ne_u16_sdwa s29, v18, v51 src0_sel:BYTE_0 src1_sel:DWORD
	v_mov_b32_e32 v115, 0
	s_andn2_b32 s12, s12, exec_lo
	s_and_b32 s29, s29, exec_lo
	s_or_b32 s12, s12, s29
	s_or_b32 exec_lo, exec_lo, s28
	s_and_saveexec_b32 s28, s12
	s_cbranch_execnz .LBB4_3192
	s_branch .LBB4_3193
.LBB4_4324:                             ;   in Loop: Header=BB4_3166 Depth=2
	s_or_saveexec_b32 s28, s28
	v_mov_b32_e32 v115, 0x7f800001
	s_xor_b32 exec_lo, exec_lo, s28
	s_cbranch_execz .LBB4_3207
.LBB4_4325:                             ;   in Loop: Header=BB4_3166 Depth=2
	v_cmp_ne_u16_sdwa s29, v22, v51 src0_sel:BYTE_1 src1_sel:DWORD
	v_mov_b32_e32 v115, 0
	s_andn2_b32 s12, s12, exec_lo
	s_and_b32 s29, s29, exec_lo
	s_or_b32 s12, s12, s29
	s_or_b32 exec_lo, exec_lo, s28
	s_and_saveexec_b32 s28, s12
	s_cbranch_execnz .LBB4_3208
	s_branch .LBB4_3209
.LBB4_4326:                             ;   in Loop: Header=BB4_3166 Depth=2
	s_or_saveexec_b32 s28, s28
	v_mov_b32_e32 v116, 0x7f800001
	s_xor_b32 exec_lo, exec_lo, s28
	s_cbranch_execz .LBB4_3213
.LBB4_4327:                             ;   in Loop: Header=BB4_3166 Depth=2
	v_cmp_ne_u16_sdwa s29, v18, v51 src0_sel:BYTE_1 src1_sel:DWORD
	v_mov_b32_e32 v116, 0
	s_andn2_b32 s12, s12, exec_lo
	s_and_b32 s29, s29, exec_lo
	s_or_b32 s12, s12, s29
	s_or_b32 exec_lo, exec_lo, s28
	s_and_saveexec_b32 s28, s12
	s_cbranch_execnz .LBB4_3214
	s_branch .LBB4_3215
.LBB4_4328:                             ;   in Loop: Header=BB4_3166 Depth=2
	s_or_saveexec_b32 s28, s28
	v_mov_b32_e32 v115, 0x7f800001
	s_xor_b32 exec_lo, exec_lo, s28
	s_cbranch_execz .LBB4_3221
.LBB4_4329:                             ;   in Loop: Header=BB4_3166 Depth=2
	v_cmp_ne_u16_sdwa s29, v22, v51 src0_sel:BYTE_1 src1_sel:DWORD
	v_mov_b32_e32 v115, 0
	s_andn2_b32 s12, s12, exec_lo
	s_and_b32 s29, s29, exec_lo
	s_or_b32 s12, s12, s29
	s_or_b32 exec_lo, exec_lo, s28
	s_and_saveexec_b32 s28, s12
	s_cbranch_execnz .LBB4_3222
	s_branch .LBB4_3223
.LBB4_4330:                             ;   in Loop: Header=BB4_3166 Depth=2
	s_or_saveexec_b32 s28, s28
	v_mov_b32_e32 v116, 0x7f800001
	s_xor_b32 exec_lo, exec_lo, s28
	s_cbranch_execz .LBB4_3227
.LBB4_4331:                             ;   in Loop: Header=BB4_3166 Depth=2
	v_cmp_ne_u16_sdwa s29, v18, v51 src0_sel:BYTE_1 src1_sel:DWORD
	v_mov_b32_e32 v116, 0
	s_andn2_b32 s12, s12, exec_lo
	s_and_b32 s29, s29, exec_lo
	s_or_b32 s12, s12, s29
	s_or_b32 exec_lo, exec_lo, s28
	s_and_saveexec_b32 s28, s12
	s_cbranch_execnz .LBB4_3228
	s_branch .LBB4_3229
.LBB4_4332:                             ;   in Loop: Header=BB4_3166 Depth=2
	s_or_saveexec_b32 s12, s12
	v_mov_b32_e32 v117, 0x7f800001
	s_xor_b32 exec_lo, exec_lo, s12
	s_cbranch_execz .LBB4_3243
.LBB4_4333:                             ;   in Loop: Header=BB4_3166 Depth=2
	v_cmp_ne_u16_e32 vcc_lo, 0, v116
	v_mov_b32_e32 v117, 0
	s_andn2_b32 s28, s28, exec_lo
	s_and_b32 s29, vcc_lo, exec_lo
	s_or_b32 s28, s28, s29
	s_or_b32 exec_lo, exec_lo, s12
	s_and_saveexec_b32 s12, s28
	s_cbranch_execnz .LBB4_3244
	s_branch .LBB4_3245
.LBB4_4334:                             ;   in Loop: Header=BB4_3166 Depth=2
	s_or_saveexec_b32 s28, s28
	v_mov_b32_e32 v118, 0x7f800001
	s_xor_b32 exec_lo, exec_lo, s28
	s_cbranch_execz .LBB4_3249
.LBB4_4335:                             ;   in Loop: Header=BB4_3166 Depth=2
	v_cmp_ne_u16_e32 vcc_lo, 0, v119
	v_mov_b32_e32 v118, 0
	s_andn2_b32 s12, s12, exec_lo
	s_and_b32 s29, vcc_lo, exec_lo
	s_or_b32 s12, s12, s29
	s_or_b32 exec_lo, exec_lo, s28
	s_and_saveexec_b32 s28, s12
	s_cbranch_execnz .LBB4_3250
	s_branch .LBB4_3251
.LBB4_4336:                             ;   in Loop: Header=BB4_3166 Depth=2
	s_or_saveexec_b32 s28, s28
	v_mov_b32_e32 v117, 0x7f800001
	s_xor_b32 exec_lo, exec_lo, s28
	s_cbranch_execz .LBB4_3257
.LBB4_4337:                             ;   in Loop: Header=BB4_3166 Depth=2
	v_cmp_ne_u16_e32 vcc_lo, 0, v116
	v_mov_b32_e32 v117, 0
	s_andn2_b32 s12, s12, exec_lo
	s_and_b32 s29, vcc_lo, exec_lo
	s_or_b32 s12, s12, s29
	s_or_b32 exec_lo, exec_lo, s28
	s_and_saveexec_b32 s28, s12
	s_cbranch_execnz .LBB4_3258
	s_branch .LBB4_3259
.LBB4_4338:                             ;   in Loop: Header=BB4_3166 Depth=2
	s_or_saveexec_b32 s28, s28
	v_mov_b32_e32 v116, 0x7f800001
	s_xor_b32 exec_lo, exec_lo, s28
	s_cbranch_execz .LBB4_3263
.LBB4_4339:                             ;   in Loop: Header=BB4_3166 Depth=2
	v_cmp_ne_u16_e32 vcc_lo, 0, v118
	v_mov_b32_e32 v116, 0
	s_andn2_b32 s12, s12, exec_lo
	s_and_b32 s29, vcc_lo, exec_lo
	s_or_b32 s12, s12, s29
	s_or_b32 exec_lo, exec_lo, s28
	s_and_saveexec_b32 s28, s12
	s_cbranch_execnz .LBB4_3264
	s_branch .LBB4_3265
.LBB4_4340:                             ;   in Loop: Header=BB4_3166 Depth=2
	s_or_saveexec_b32 s28, s28
	v_mov_b32_e32 v117, 0x7f800001
	s_xor_b32 exec_lo, exec_lo, s28
	s_cbranch_execz .LBB4_3279
.LBB4_4341:                             ;   in Loop: Header=BB4_3166 Depth=2
	v_cmp_ne_u16_sdwa s29, v22, v51 src0_sel:BYTE_3 src1_sel:DWORD
	v_mov_b32_e32 v117, 0
	s_andn2_b32 s12, s12, exec_lo
	s_and_b32 s29, s29, exec_lo
	s_or_b32 s12, s12, s29
	s_or_b32 exec_lo, exec_lo, s28
	s_and_saveexec_b32 s28, s12
	s_cbranch_execnz .LBB4_3280
	s_branch .LBB4_3281
.LBB4_4342:                             ;   in Loop: Header=BB4_3166 Depth=2
	s_or_saveexec_b32 s28, s28
	v_mov_b32_e32 v118, 0x7f800001
	s_xor_b32 exec_lo, exec_lo, s28
	s_cbranch_execz .LBB4_3285
.LBB4_4343:                             ;   in Loop: Header=BB4_3166 Depth=2
	v_cmp_ne_u16_sdwa s29, v18, v51 src0_sel:BYTE_3 src1_sel:DWORD
	v_mov_b32_e32 v118, 0
	s_andn2_b32 s12, s12, exec_lo
	s_and_b32 s29, s29, exec_lo
	s_or_b32 s12, s12, s29
	s_or_b32 exec_lo, exec_lo, s28
	s_and_saveexec_b32 s28, s12
	s_cbranch_execnz .LBB4_3286
	s_branch .LBB4_3287
.LBB4_4344:                             ;   in Loop: Header=BB4_3166 Depth=2
	s_or_saveexec_b32 s28, s28
	v_mov_b32_e32 v117, 0x7f800001
	s_xor_b32 exec_lo, exec_lo, s28
	s_cbranch_execz .LBB4_3293
.LBB4_4345:                             ;   in Loop: Header=BB4_3166 Depth=2
	v_cmp_ne_u16_sdwa s29, v22, v51 src0_sel:BYTE_3 src1_sel:DWORD
	v_mov_b32_e32 v117, 0
	s_andn2_b32 s12, s12, exec_lo
	s_and_b32 s29, s29, exec_lo
	s_or_b32 s12, s12, s29
	s_or_b32 exec_lo, exec_lo, s28
	s_and_saveexec_b32 s28, s12
	s_cbranch_execnz .LBB4_3294
	s_branch .LBB4_3295
.LBB4_4346:                             ;   in Loop: Header=BB4_3166 Depth=2
	s_or_saveexec_b32 s28, s28
	v_mov_b32_e32 v22, 0x7f800001
	s_xor_b32 exec_lo, exec_lo, s28
	s_cbranch_execz .LBB4_3299
.LBB4_4347:                             ;   in Loop: Header=BB4_3166 Depth=2
	v_cmp_ne_u16_sdwa s29, v18, v51 src0_sel:BYTE_3 src1_sel:DWORD
	v_mov_b32_e32 v22, 0
	s_andn2_b32 s12, s12, exec_lo
	s_and_b32 s29, s29, exec_lo
	s_or_b32 s12, s12, s29
	s_or_b32 exec_lo, exec_lo, s28
	s_and_saveexec_b32 s28, s12
	s_cbranch_execnz .LBB4_3300
	s_branch .LBB4_3301
.LBB4_4348:                             ;   in Loop: Header=BB4_3166 Depth=2
	s_or_saveexec_b32 s28, s28
	v_mov_b32_e32 v22, 0x7f800001
	s_xor_b32 exec_lo, exec_lo, s28
	s_cbranch_execz .LBB4_3315
.LBB4_4349:                             ;   in Loop: Header=BB4_3166 Depth=2
	v_cmp_ne_u16_sdwa s29, v23, v51 src0_sel:BYTE_0 src1_sel:DWORD
	v_mov_b32_e32 v22, 0
	s_andn2_b32 s12, s12, exec_lo
	s_and_b32 s29, s29, exec_lo
	s_or_b32 s12, s12, s29
	s_or_b32 exec_lo, exec_lo, s28
	s_and_saveexec_b32 s28, s12
	s_cbranch_execnz .LBB4_3316
	s_branch .LBB4_3317
.LBB4_4350:                             ;   in Loop: Header=BB4_3166 Depth=2
	s_or_saveexec_b32 s28, s28
	v_mov_b32_e32 v117, 0x7f800001
	s_xor_b32 exec_lo, exec_lo, s28
	s_cbranch_execz .LBB4_3321
.LBB4_4351:                             ;   in Loop: Header=BB4_3166 Depth=2
	v_cmp_ne_u16_sdwa s29, v19, v51 src0_sel:BYTE_0 src1_sel:DWORD
	v_mov_b32_e32 v117, 0
	s_andn2_b32 s12, s12, exec_lo
	s_and_b32 s29, s29, exec_lo
	s_or_b32 s12, s12, s29
	s_or_b32 exec_lo, exec_lo, s28
	s_and_saveexec_b32 s28, s12
	s_cbranch_execnz .LBB4_3322
	s_branch .LBB4_3323
.LBB4_4352:                             ;   in Loop: Header=BB4_3166 Depth=2
	s_or_saveexec_b32 s28, s28
	v_mov_b32_e32 v22, 0x7f800001
	s_xor_b32 exec_lo, exec_lo, s28
	s_cbranch_execz .LBB4_3329
.LBB4_4353:                             ;   in Loop: Header=BB4_3166 Depth=2
	v_cmp_ne_u16_sdwa s29, v23, v51 src0_sel:BYTE_0 src1_sel:DWORD
	v_mov_b32_e32 v22, 0
	s_andn2_b32 s12, s12, exec_lo
	s_and_b32 s29, s29, exec_lo
	s_or_b32 s12, s12, s29
	s_or_b32 exec_lo, exec_lo, s28
	s_and_saveexec_b32 s28, s12
	s_cbranch_execnz .LBB4_3330
	s_branch .LBB4_3331
.LBB4_4354:                             ;   in Loop: Header=BB4_3166 Depth=2
	s_or_saveexec_b32 s28, s28
	v_mov_b32_e32 v117, 0x7f800001
	s_xor_b32 exec_lo, exec_lo, s28
	s_cbranch_execz .LBB4_3335
.LBB4_4355:                             ;   in Loop: Header=BB4_3166 Depth=2
	v_cmp_ne_u16_sdwa s29, v19, v51 src0_sel:BYTE_0 src1_sel:DWORD
	v_mov_b32_e32 v117, 0
	s_andn2_b32 s12, s12, exec_lo
	s_and_b32 s29, s29, exec_lo
	s_or_b32 s12, s12, s29
	s_or_b32 exec_lo, exec_lo, s28
	s_and_saveexec_b32 s28, s12
	s_cbranch_execnz .LBB4_3336
	s_branch .LBB4_3337
.LBB4_4356:                             ;   in Loop: Header=BB4_3166 Depth=2
	s_or_saveexec_b32 s28, s28
	v_mov_b32_e32 v117, 0x7f800001
	s_xor_b32 exec_lo, exec_lo, s28
	s_cbranch_execz .LBB4_3351
.LBB4_4357:                             ;   in Loop: Header=BB4_3166 Depth=2
	v_cmp_ne_u16_sdwa s29, v23, v51 src0_sel:BYTE_1 src1_sel:DWORD
	v_mov_b32_e32 v117, 0
	s_andn2_b32 s12, s12, exec_lo
	s_and_b32 s29, s29, exec_lo
	s_or_b32 s12, s12, s29
	s_or_b32 exec_lo, exec_lo, s28
	s_and_saveexec_b32 s28, s12
	s_cbranch_execnz .LBB4_3352
	s_branch .LBB4_3353
.LBB4_4358:                             ;   in Loop: Header=BB4_3166 Depth=2
	s_or_saveexec_b32 s28, s28
	v_mov_b32_e32 v118, 0x7f800001
	s_xor_b32 exec_lo, exec_lo, s28
	s_cbranch_execz .LBB4_3357
.LBB4_4359:                             ;   in Loop: Header=BB4_3166 Depth=2
	v_cmp_ne_u16_sdwa s29, v19, v51 src0_sel:BYTE_1 src1_sel:DWORD
	v_mov_b32_e32 v118, 0
	s_andn2_b32 s12, s12, exec_lo
	s_and_b32 s29, s29, exec_lo
	s_or_b32 s12, s12, s29
	s_or_b32 exec_lo, exec_lo, s28
	s_and_saveexec_b32 s28, s12
	s_cbranch_execnz .LBB4_3358
	s_branch .LBB4_3359
.LBB4_4360:                             ;   in Loop: Header=BB4_3166 Depth=2
	s_or_saveexec_b32 s28, s28
	v_mov_b32_e32 v117, 0x7f800001
	s_xor_b32 exec_lo, exec_lo, s28
	s_cbranch_execz .LBB4_3365
.LBB4_4361:                             ;   in Loop: Header=BB4_3166 Depth=2
	v_cmp_ne_u16_sdwa s29, v23, v51 src0_sel:BYTE_1 src1_sel:DWORD
	v_mov_b32_e32 v117, 0
	s_andn2_b32 s12, s12, exec_lo
	s_and_b32 s29, s29, exec_lo
	s_or_b32 s12, s12, s29
	s_or_b32 exec_lo, exec_lo, s28
	s_and_saveexec_b32 s28, s12
	s_cbranch_execnz .LBB4_3366
	s_branch .LBB4_3367
.LBB4_4362:                             ;   in Loop: Header=BB4_3166 Depth=2
	s_or_saveexec_b32 s28, s28
	v_mov_b32_e32 v118, 0x7f800001
	s_xor_b32 exec_lo, exec_lo, s28
	s_cbranch_execz .LBB4_3371
.LBB4_4363:                             ;   in Loop: Header=BB4_3166 Depth=2
	v_cmp_ne_u16_sdwa s29, v19, v51 src0_sel:BYTE_1 src1_sel:DWORD
	v_mov_b32_e32 v118, 0
	s_andn2_b32 s12, s12, exec_lo
	s_and_b32 s29, s29, exec_lo
	s_or_b32 s12, s12, s29
	s_or_b32 exec_lo, exec_lo, s28
	s_and_saveexec_b32 s28, s12
	s_cbranch_execnz .LBB4_3372
	s_branch .LBB4_3373
.LBB4_4364:                             ;   in Loop: Header=BB4_3166 Depth=2
	s_or_saveexec_b32 s12, s12
	v_mov_b32_e32 v119, 0x7f800001
	s_xor_b32 exec_lo, exec_lo, s12
	s_cbranch_execz .LBB4_3387
.LBB4_4365:                             ;   in Loop: Header=BB4_3166 Depth=2
	v_cmp_ne_u16_e32 vcc_lo, 0, v118
	v_mov_b32_e32 v119, 0
	s_andn2_b32 s28, s28, exec_lo
	s_and_b32 s29, vcc_lo, exec_lo
	s_or_b32 s28, s28, s29
	s_or_b32 exec_lo, exec_lo, s12
	s_and_saveexec_b32 s12, s28
	s_cbranch_execnz .LBB4_3388
	s_branch .LBB4_3389
.LBB4_4366:                             ;   in Loop: Header=BB4_3166 Depth=2
	s_or_saveexec_b32 s28, s28
	v_mov_b32_e32 v40, 0x7f800001
	s_xor_b32 exec_lo, exec_lo, s28
	s_cbranch_execz .LBB4_3393
.LBB4_4367:                             ;   in Loop: Header=BB4_3166 Depth=2
	v_cmp_ne_u16_e32 vcc_lo, 0, v41
	v_mov_b32_e32 v40, 0
	s_andn2_b32 s12, s12, exec_lo
	s_and_b32 s29, vcc_lo, exec_lo
	s_or_b32 s12, s12, s29
	s_or_b32 exec_lo, exec_lo, s28
	s_and_saveexec_b32 s28, s12
	s_cbranch_execnz .LBB4_3394
	s_branch .LBB4_3395
.LBB4_4368:                             ;   in Loop: Header=BB4_3166 Depth=2
	s_or_saveexec_b32 s28, s28
	v_mov_b32_e32 v119, 0x7f800001
	s_xor_b32 exec_lo, exec_lo, s28
	s_cbranch_execz .LBB4_3401
.LBB4_4369:                             ;   in Loop: Header=BB4_3166 Depth=2
	v_cmp_ne_u16_e32 vcc_lo, 0, v118
	v_mov_b32_e32 v119, 0
	s_andn2_b32 s12, s12, exec_lo
	s_and_b32 s29, vcc_lo, exec_lo
	s_or_b32 s12, s12, s29
	s_or_b32 exec_lo, exec_lo, s28
	s_and_saveexec_b32 s28, s12
	s_cbranch_execnz .LBB4_3402
	s_branch .LBB4_3403
.LBB4_4370:                             ;   in Loop: Header=BB4_3166 Depth=2
	s_or_saveexec_b32 s28, s28
	v_mov_b32_e32 v118, 0x7f800001
	s_xor_b32 exec_lo, exec_lo, s28
	s_cbranch_execz .LBB4_3407
.LBB4_4371:                             ;   in Loop: Header=BB4_3166 Depth=2
	v_cmp_ne_u16_e32 vcc_lo, 0, v40
	v_mov_b32_e32 v118, 0
	s_andn2_b32 s12, s12, exec_lo
	s_and_b32 s29, vcc_lo, exec_lo
	s_or_b32 s12, s12, s29
	s_or_b32 exec_lo, exec_lo, s28
	s_and_saveexec_b32 s28, s12
	s_cbranch_execnz .LBB4_3408
	s_branch .LBB4_3409
.LBB4_4372:                             ;   in Loop: Header=BB4_3166 Depth=2
	s_or_saveexec_b32 s28, s28
	v_mov_b32_e32 v119, 0x7f800001
	s_xor_b32 exec_lo, exec_lo, s28
	s_cbranch_execz .LBB4_3423
.LBB4_4373:                             ;   in Loop: Header=BB4_3166 Depth=2
	v_cmp_ne_u16_sdwa s29, v23, v51 src0_sel:BYTE_3 src1_sel:DWORD
	v_mov_b32_e32 v119, 0
	s_andn2_b32 s12, s12, exec_lo
	s_and_b32 s29, s29, exec_lo
	s_or_b32 s12, s12, s29
	s_or_b32 exec_lo, exec_lo, s28
	s_and_saveexec_b32 s28, s12
	s_cbranch_execnz .LBB4_3424
	s_branch .LBB4_3425
.LBB4_4374:                             ;   in Loop: Header=BB4_3166 Depth=2
	s_or_saveexec_b32 s28, s28
	v_mov_b32_e32 v40, 0x7f800001
	s_xor_b32 exec_lo, exec_lo, s28
	s_cbranch_execz .LBB4_3429
.LBB4_4375:                             ;   in Loop: Header=BB4_3166 Depth=2
	v_cmp_ne_u16_sdwa s29, v19, v51 src0_sel:BYTE_3 src1_sel:DWORD
	v_mov_b32_e32 v40, 0
	s_andn2_b32 s12, s12, exec_lo
	s_and_b32 s29, s29, exec_lo
	s_or_b32 s12, s12, s29
	s_or_b32 exec_lo, exec_lo, s28
	s_and_saveexec_b32 s28, s12
	s_cbranch_execnz .LBB4_3430
	s_branch .LBB4_3431
.LBB4_4376:                             ;   in Loop: Header=BB4_3166 Depth=2
	s_or_saveexec_b32 s28, s28
	v_mov_b32_e32 v119, 0x7f800001
	s_xor_b32 exec_lo, exec_lo, s28
	s_cbranch_execz .LBB4_3437
.LBB4_4377:                             ;   in Loop: Header=BB4_3166 Depth=2
	v_cmp_ne_u16_sdwa s29, v23, v51 src0_sel:BYTE_3 src1_sel:DWORD
	v_mov_b32_e32 v119, 0
	s_andn2_b32 s12, s12, exec_lo
	s_and_b32 s29, s29, exec_lo
	s_or_b32 s12, s12, s29
	s_or_b32 exec_lo, exec_lo, s28
	s_and_saveexec_b32 s28, s12
	s_cbranch_execnz .LBB4_3438
	s_branch .LBB4_3439
.LBB4_4378:                             ;   in Loop: Header=BB4_3166 Depth=2
	s_or_saveexec_b32 s28, s28
	v_mov_b32_e32 v23, 0x7f800001
	s_xor_b32 exec_lo, exec_lo, s28
	s_cbranch_execz .LBB4_3443
.LBB4_4379:                             ;   in Loop: Header=BB4_3166 Depth=2
	v_cmp_ne_u16_sdwa s29, v19, v51 src0_sel:BYTE_3 src1_sel:DWORD
	v_mov_b32_e32 v23, 0
	s_andn2_b32 s12, s12, exec_lo
	s_and_b32 s29, s29, exec_lo
	s_or_b32 s12, s12, s29
	s_or_b32 exec_lo, exec_lo, s28
	s_and_saveexec_b32 s28, s12
	s_cbranch_execnz .LBB4_3444
	s_branch .LBB4_3445
.LBB4_4380:                             ;   in Loop: Header=BB4_3166 Depth=2
	s_or_saveexec_b32 s28, s28
	v_mov_b32_e32 v23, 0x7f800001
	s_xor_b32 exec_lo, exec_lo, s28
	s_cbranch_execz .LBB4_3459
.LBB4_4381:                             ;   in Loop: Header=BB4_3166 Depth=2
	v_cmp_ne_u16_sdwa s29, v24, v51 src0_sel:BYTE_0 src1_sel:DWORD
	v_mov_b32_e32 v23, 0
	s_andn2_b32 s12, s12, exec_lo
	s_and_b32 s29, s29, exec_lo
	s_or_b32 s12, s12, s29
	s_or_b32 exec_lo, exec_lo, s28
	s_and_saveexec_b32 s28, s12
	s_cbranch_execnz .LBB4_3460
	s_branch .LBB4_3461
.LBB4_4382:                             ;   in Loop: Header=BB4_3166 Depth=2
	s_or_saveexec_b32 s28, s28
	v_mov_b32_e32 v119, 0x7f800001
	s_xor_b32 exec_lo, exec_lo, s28
	s_cbranch_execz .LBB4_3465
.LBB4_4383:                             ;   in Loop: Header=BB4_3166 Depth=2
	v_cmp_ne_u16_sdwa s29, v20, v51 src0_sel:BYTE_0 src1_sel:DWORD
	v_mov_b32_e32 v119, 0
	s_andn2_b32 s12, s12, exec_lo
	s_and_b32 s29, s29, exec_lo
	s_or_b32 s12, s12, s29
	s_or_b32 exec_lo, exec_lo, s28
	s_and_saveexec_b32 s28, s12
	s_cbranch_execnz .LBB4_3466
	s_branch .LBB4_3467
.LBB4_4384:                             ;   in Loop: Header=BB4_3166 Depth=2
	s_or_saveexec_b32 s28, s28
	v_mov_b32_e32 v23, 0x7f800001
	s_xor_b32 exec_lo, exec_lo, s28
	s_cbranch_execz .LBB4_3473
.LBB4_4385:                             ;   in Loop: Header=BB4_3166 Depth=2
	v_cmp_ne_u16_sdwa s29, v24, v51 src0_sel:BYTE_0 src1_sel:DWORD
	v_mov_b32_e32 v23, 0
	s_andn2_b32 s12, s12, exec_lo
	s_and_b32 s29, s29, exec_lo
	s_or_b32 s12, s12, s29
	s_or_b32 exec_lo, exec_lo, s28
	s_and_saveexec_b32 s28, s12
	s_cbranch_execnz .LBB4_3474
	s_branch .LBB4_3475
.LBB4_4386:                             ;   in Loop: Header=BB4_3166 Depth=2
	s_or_saveexec_b32 s28, s28
	v_mov_b32_e32 v119, 0x7f800001
	s_xor_b32 exec_lo, exec_lo, s28
	s_cbranch_execz .LBB4_3479
.LBB4_4387:                             ;   in Loop: Header=BB4_3166 Depth=2
	v_cmp_ne_u16_sdwa s29, v20, v51 src0_sel:BYTE_0 src1_sel:DWORD
	v_mov_b32_e32 v119, 0
	s_andn2_b32 s12, s12, exec_lo
	s_and_b32 s29, s29, exec_lo
	s_or_b32 s12, s12, s29
	s_or_b32 exec_lo, exec_lo, s28
	s_and_saveexec_b32 s28, s12
	s_cbranch_execnz .LBB4_3480
	s_branch .LBB4_3481
.LBB4_4388:                             ;   in Loop: Header=BB4_3166 Depth=2
	s_or_saveexec_b32 s28, s28
	v_mov_b32_e32 v119, 0x7f800001
	s_xor_b32 exec_lo, exec_lo, s28
	s_cbranch_execz .LBB4_3495
.LBB4_4389:                             ;   in Loop: Header=BB4_3166 Depth=2
	v_cmp_ne_u16_sdwa s29, v24, v51 src0_sel:BYTE_1 src1_sel:DWORD
	v_mov_b32_e32 v119, 0
	s_andn2_b32 s12, s12, exec_lo
	s_and_b32 s29, s29, exec_lo
	s_or_b32 s12, s12, s29
	s_or_b32 exec_lo, exec_lo, s28
	s_and_saveexec_b32 s28, s12
	s_cbranch_execnz .LBB4_3496
	s_branch .LBB4_3497
.LBB4_4390:                             ;   in Loop: Header=BB4_3166 Depth=2
	s_or_saveexec_b32 s28, s28
	v_mov_b32_e32 v40, 0x7f800001
	s_xor_b32 exec_lo, exec_lo, s28
	s_cbranch_execz .LBB4_3501
.LBB4_4391:                             ;   in Loop: Header=BB4_3166 Depth=2
	v_cmp_ne_u16_sdwa s29, v20, v51 src0_sel:BYTE_1 src1_sel:DWORD
	v_mov_b32_e32 v40, 0
	s_andn2_b32 s12, s12, exec_lo
	s_and_b32 s29, s29, exec_lo
	s_or_b32 s12, s12, s29
	s_or_b32 exec_lo, exec_lo, s28
	s_and_saveexec_b32 s28, s12
	s_cbranch_execnz .LBB4_3502
	s_branch .LBB4_3503
.LBB4_4392:                             ;   in Loop: Header=BB4_3166 Depth=2
	s_or_saveexec_b32 s28, s28
	v_mov_b32_e32 v119, 0x7f800001
	s_xor_b32 exec_lo, exec_lo, s28
	s_cbranch_execz .LBB4_3509
.LBB4_4393:                             ;   in Loop: Header=BB4_3166 Depth=2
	v_cmp_ne_u16_sdwa s29, v24, v51 src0_sel:BYTE_1 src1_sel:DWORD
	v_mov_b32_e32 v119, 0
	s_andn2_b32 s12, s12, exec_lo
	s_and_b32 s29, s29, exec_lo
	s_or_b32 s12, s12, s29
	s_or_b32 exec_lo, exec_lo, s28
	s_and_saveexec_b32 s28, s12
	s_cbranch_execnz .LBB4_3510
	s_branch .LBB4_3511
.LBB4_4394:                             ;   in Loop: Header=BB4_3166 Depth=2
	s_or_saveexec_b32 s28, s28
	v_mov_b32_e32 v40, 0x7f800001
	s_xor_b32 exec_lo, exec_lo, s28
	s_cbranch_execz .LBB4_3515
.LBB4_4395:                             ;   in Loop: Header=BB4_3166 Depth=2
	v_cmp_ne_u16_sdwa s29, v20, v51 src0_sel:BYTE_1 src1_sel:DWORD
	v_mov_b32_e32 v40, 0
	s_andn2_b32 s12, s12, exec_lo
	s_and_b32 s29, s29, exec_lo
	s_or_b32 s12, s12, s29
	s_or_b32 exec_lo, exec_lo, s28
	s_and_saveexec_b32 s28, s12
	s_cbranch_execnz .LBB4_3516
	s_branch .LBB4_3517
.LBB4_4396:                             ;   in Loop: Header=BB4_3166 Depth=2
	s_or_saveexec_b32 s12, s12
	v_mov_b32_e32 v41, 0x7f800001
	s_xor_b32 exec_lo, exec_lo, s12
	s_cbranch_execz .LBB4_3531
.LBB4_4397:                             ;   in Loop: Header=BB4_3166 Depth=2
	v_cmp_ne_u16_e32 vcc_lo, 0, v40
	v_mov_b32_e32 v41, 0
	s_andn2_b32 s28, s28, exec_lo
	s_and_b32 s29, vcc_lo, exec_lo
	s_or_b32 s28, s28, s29
	s_or_b32 exec_lo, exec_lo, s12
	s_and_saveexec_b32 s12, s28
	s_cbranch_execnz .LBB4_3532
	s_branch .LBB4_3533
.LBB4_4398:                             ;   in Loop: Header=BB4_3166 Depth=2
	s_or_saveexec_b32 s28, s28
	v_mov_b32_e32 v42, 0x7f800001
	s_xor_b32 exec_lo, exec_lo, s28
	s_cbranch_execz .LBB4_3537
.LBB4_4399:                             ;   in Loop: Header=BB4_3166 Depth=2
	v_cmp_ne_u16_e32 vcc_lo, 0, v43
	v_mov_b32_e32 v42, 0
	s_andn2_b32 s12, s12, exec_lo
	s_and_b32 s29, vcc_lo, exec_lo
	s_or_b32 s12, s12, s29
	s_or_b32 exec_lo, exec_lo, s28
	s_and_saveexec_b32 s28, s12
	s_cbranch_execnz .LBB4_3538
	s_branch .LBB4_3539
.LBB4_4400:                             ;   in Loop: Header=BB4_3166 Depth=2
	s_or_saveexec_b32 s28, s28
	v_mov_b32_e32 v41, 0x7f800001
	s_xor_b32 exec_lo, exec_lo, s28
	s_cbranch_execz .LBB4_3545
.LBB4_4401:                             ;   in Loop: Header=BB4_3166 Depth=2
	v_cmp_ne_u16_e32 vcc_lo, 0, v40
	v_mov_b32_e32 v41, 0
	s_andn2_b32 s12, s12, exec_lo
	s_and_b32 s29, vcc_lo, exec_lo
	s_or_b32 s12, s12, s29
	s_or_b32 exec_lo, exec_lo, s28
	s_and_saveexec_b32 s28, s12
	s_cbranch_execnz .LBB4_3546
	s_branch .LBB4_3547
.LBB4_4402:                             ;   in Loop: Header=BB4_3166 Depth=2
	s_or_saveexec_b32 s28, s28
	v_mov_b32_e32 v40, 0x7f800001
	s_xor_b32 exec_lo, exec_lo, s28
	s_cbranch_execz .LBB4_3551
.LBB4_4403:                             ;   in Loop: Header=BB4_3166 Depth=2
	v_cmp_ne_u16_e32 vcc_lo, 0, v42
	v_mov_b32_e32 v40, 0
	s_andn2_b32 s12, s12, exec_lo
	s_and_b32 s29, vcc_lo, exec_lo
	s_or_b32 s12, s12, s29
	s_or_b32 exec_lo, exec_lo, s28
	s_and_saveexec_b32 s28, s12
	s_cbranch_execnz .LBB4_3552
	s_branch .LBB4_3553
.LBB4_4404:                             ;   in Loop: Header=BB4_3166 Depth=2
	s_or_saveexec_b32 s28, s28
	v_mov_b32_e32 v41, 0x7f800001
	s_xor_b32 exec_lo, exec_lo, s28
	s_cbranch_execz .LBB4_3567
.LBB4_4405:                             ;   in Loop: Header=BB4_3166 Depth=2
	v_cmp_ne_u16_sdwa s29, v24, v51 src0_sel:BYTE_3 src1_sel:DWORD
	v_mov_b32_e32 v41, 0
	s_andn2_b32 s12, s12, exec_lo
	s_and_b32 s29, s29, exec_lo
	s_or_b32 s12, s12, s29
	s_or_b32 exec_lo, exec_lo, s28
	s_and_saveexec_b32 s28, s12
	s_cbranch_execnz .LBB4_3568
	s_branch .LBB4_3569
.LBB4_4406:                             ;   in Loop: Header=BB4_3166 Depth=2
	s_or_saveexec_b32 s28, s28
	v_mov_b32_e32 v42, 0x7f800001
	s_xor_b32 exec_lo, exec_lo, s28
	s_cbranch_execz .LBB4_3573
.LBB4_4407:                             ;   in Loop: Header=BB4_3166 Depth=2
	v_cmp_ne_u16_sdwa s29, v20, v51 src0_sel:BYTE_3 src1_sel:DWORD
	v_mov_b32_e32 v42, 0
	s_andn2_b32 s12, s12, exec_lo
	s_and_b32 s29, s29, exec_lo
	s_or_b32 s12, s12, s29
	s_or_b32 exec_lo, exec_lo, s28
	s_and_saveexec_b32 s28, s12
	s_cbranch_execnz .LBB4_3574
	s_branch .LBB4_3575
.LBB4_4408:                             ;   in Loop: Header=BB4_3166 Depth=2
	s_or_saveexec_b32 s28, s28
	v_mov_b32_e32 v41, 0x7f800001
	s_xor_b32 exec_lo, exec_lo, s28
	s_cbranch_execz .LBB4_3581
.LBB4_4409:                             ;   in Loop: Header=BB4_3166 Depth=2
	v_cmp_ne_u16_sdwa s29, v24, v51 src0_sel:BYTE_3 src1_sel:DWORD
	v_mov_b32_e32 v41, 0
	s_andn2_b32 s12, s12, exec_lo
	s_and_b32 s29, s29, exec_lo
	s_or_b32 s12, s12, s29
	s_or_b32 exec_lo, exec_lo, s28
	s_and_saveexec_b32 s28, s12
	s_cbranch_execnz .LBB4_3582
	s_branch .LBB4_3583
.LBB4_4410:                             ;   in Loop: Header=BB4_3166 Depth=2
	s_or_saveexec_b32 s28, s28
	v_mov_b32_e32 v24, 0x7f800001
	s_xor_b32 exec_lo, exec_lo, s28
	s_cbranch_execz .LBB4_3587
.LBB4_4411:                             ;   in Loop: Header=BB4_3166 Depth=2
	v_cmp_ne_u16_sdwa s29, v20, v51 src0_sel:BYTE_3 src1_sel:DWORD
	v_mov_b32_e32 v24, 0
	s_andn2_b32 s12, s12, exec_lo
	s_and_b32 s29, s29, exec_lo
	s_or_b32 s12, s12, s29
	s_or_b32 exec_lo, exec_lo, s28
	s_and_saveexec_b32 s28, s12
	s_cbranch_execnz .LBB4_3588
	s_branch .LBB4_3589
.LBB4_4412:                             ;   in Loop: Header=BB4_3166 Depth=2
	s_or_saveexec_b32 s28, s28
	v_mov_b32_e32 v24, 0x7f800001
	s_xor_b32 exec_lo, exec_lo, s28
	s_cbranch_execz .LBB4_3603
.LBB4_4413:                             ;   in Loop: Header=BB4_3166 Depth=2
	v_cmp_ne_u16_sdwa s29, v25, v51 src0_sel:BYTE_0 src1_sel:DWORD
	v_mov_b32_e32 v24, 0
	s_andn2_b32 s12, s12, exec_lo
	s_and_b32 s29, s29, exec_lo
	s_or_b32 s12, s12, s29
	s_or_b32 exec_lo, exec_lo, s28
	s_and_saveexec_b32 s28, s12
	s_cbranch_execnz .LBB4_3604
	s_branch .LBB4_3605
.LBB4_4414:                             ;   in Loop: Header=BB4_3166 Depth=2
	s_or_saveexec_b32 s28, s28
	v_mov_b32_e32 v41, 0x7f800001
	s_xor_b32 exec_lo, exec_lo, s28
	s_cbranch_execz .LBB4_3609
.LBB4_4415:                             ;   in Loop: Header=BB4_3166 Depth=2
	v_cmp_ne_u16_sdwa s29, v21, v51 src0_sel:BYTE_0 src1_sel:DWORD
	v_mov_b32_e32 v41, 0
	s_andn2_b32 s12, s12, exec_lo
	s_and_b32 s29, s29, exec_lo
	s_or_b32 s12, s12, s29
	s_or_b32 exec_lo, exec_lo, s28
	s_and_saveexec_b32 s28, s12
	s_cbranch_execnz .LBB4_3610
	s_branch .LBB4_3611
.LBB4_4416:                             ;   in Loop: Header=BB4_3166 Depth=2
	s_or_saveexec_b32 s28, s28
	v_mov_b32_e32 v24, 0x7f800001
	s_xor_b32 exec_lo, exec_lo, s28
	s_cbranch_execz .LBB4_3617
.LBB4_4417:                             ;   in Loop: Header=BB4_3166 Depth=2
	v_cmp_ne_u16_sdwa s29, v25, v51 src0_sel:BYTE_0 src1_sel:DWORD
	v_mov_b32_e32 v24, 0
	s_andn2_b32 s12, s12, exec_lo
	s_and_b32 s29, s29, exec_lo
	s_or_b32 s12, s12, s29
	s_or_b32 exec_lo, exec_lo, s28
	s_and_saveexec_b32 s28, s12
	s_cbranch_execnz .LBB4_3618
	s_branch .LBB4_3619
.LBB4_4418:                             ;   in Loop: Header=BB4_3166 Depth=2
	s_or_saveexec_b32 s28, s28
	v_mov_b32_e32 v41, 0x7f800001
	s_xor_b32 exec_lo, exec_lo, s28
	s_cbranch_execz .LBB4_3623
.LBB4_4419:                             ;   in Loop: Header=BB4_3166 Depth=2
	v_cmp_ne_u16_sdwa s29, v21, v51 src0_sel:BYTE_0 src1_sel:DWORD
	v_mov_b32_e32 v41, 0
	s_andn2_b32 s12, s12, exec_lo
	s_and_b32 s29, s29, exec_lo
	s_or_b32 s12, s12, s29
	s_or_b32 exec_lo, exec_lo, s28
	s_and_saveexec_b32 s28, s12
	s_cbranch_execnz .LBB4_3624
	s_branch .LBB4_3625
.LBB4_4420:                             ;   in Loop: Header=BB4_3166 Depth=2
	s_or_saveexec_b32 s28, s28
	v_mov_b32_e32 v41, 0x7f800001
	s_xor_b32 exec_lo, exec_lo, s28
	s_cbranch_execz .LBB4_3639
.LBB4_4421:                             ;   in Loop: Header=BB4_3166 Depth=2
	v_cmp_ne_u16_sdwa s29, v25, v51 src0_sel:BYTE_1 src1_sel:DWORD
	v_mov_b32_e32 v41, 0
	s_andn2_b32 s12, s12, exec_lo
	s_and_b32 s29, s29, exec_lo
	s_or_b32 s12, s12, s29
	s_or_b32 exec_lo, exec_lo, s28
	s_and_saveexec_b32 s28, s12
	s_cbranch_execnz .LBB4_3640
	s_branch .LBB4_3641
.LBB4_4422:                             ;   in Loop: Header=BB4_3166 Depth=2
	s_or_saveexec_b32 s28, s28
	v_mov_b32_e32 v42, 0x7f800001
	s_xor_b32 exec_lo, exec_lo, s28
	s_cbranch_execz .LBB4_3645
.LBB4_4423:                             ;   in Loop: Header=BB4_3166 Depth=2
	v_cmp_ne_u16_sdwa s29, v21, v51 src0_sel:BYTE_1 src1_sel:DWORD
	v_mov_b32_e32 v42, 0
	s_andn2_b32 s12, s12, exec_lo
	s_and_b32 s29, s29, exec_lo
	s_or_b32 s12, s12, s29
	s_or_b32 exec_lo, exec_lo, s28
	s_and_saveexec_b32 s28, s12
	s_cbranch_execnz .LBB4_3646
	s_branch .LBB4_3647
.LBB4_4424:                             ;   in Loop: Header=BB4_3166 Depth=2
	s_or_saveexec_b32 s28, s28
	v_mov_b32_e32 v41, 0x7f800001
	s_xor_b32 exec_lo, exec_lo, s28
	s_cbranch_execz .LBB4_3653
.LBB4_4425:                             ;   in Loop: Header=BB4_3166 Depth=2
	v_cmp_ne_u16_sdwa s29, v25, v51 src0_sel:BYTE_1 src1_sel:DWORD
	v_mov_b32_e32 v41, 0
	s_andn2_b32 s12, s12, exec_lo
	s_and_b32 s29, s29, exec_lo
	s_or_b32 s12, s12, s29
	s_or_b32 exec_lo, exec_lo, s28
	s_and_saveexec_b32 s28, s12
	s_cbranch_execnz .LBB4_3654
	s_branch .LBB4_3655
.LBB4_4426:                             ;   in Loop: Header=BB4_3166 Depth=2
	s_or_saveexec_b32 s28, s28
	v_mov_b32_e32 v42, 0x7f800001
	s_xor_b32 exec_lo, exec_lo, s28
	s_cbranch_execz .LBB4_3659
.LBB4_4427:                             ;   in Loop: Header=BB4_3166 Depth=2
	v_cmp_ne_u16_sdwa s29, v21, v51 src0_sel:BYTE_1 src1_sel:DWORD
	v_mov_b32_e32 v42, 0
	s_andn2_b32 s12, s12, exec_lo
	s_and_b32 s29, s29, exec_lo
	s_or_b32 s12, s12, s29
	s_or_b32 exec_lo, exec_lo, s28
	s_and_saveexec_b32 s28, s12
	s_cbranch_execnz .LBB4_3660
	s_branch .LBB4_3661
.LBB4_4428:                             ;   in Loop: Header=BB4_3166 Depth=2
	s_or_saveexec_b32 s12, s12
	v_mov_b32_e32 v43, 0x7f800001
	s_xor_b32 exec_lo, exec_lo, s12
	s_cbranch_execz .LBB4_3675
.LBB4_4429:                             ;   in Loop: Header=BB4_3166 Depth=2
	v_cmp_ne_u16_e32 vcc_lo, 0, v42
	v_mov_b32_e32 v43, 0
	s_andn2_b32 s28, s28, exec_lo
	s_and_b32 s29, vcc_lo, exec_lo
	s_or_b32 s28, s28, s29
	s_or_b32 exec_lo, exec_lo, s12
	s_and_saveexec_b32 s12, s28
	s_cbranch_execnz .LBB4_3676
	s_branch .LBB4_3677
.LBB4_4430:                             ;   in Loop: Header=BB4_3166 Depth=2
	s_or_saveexec_b32 s28, s28
	v_mov_b32_e32 v44, 0x7f800001
	s_xor_b32 exec_lo, exec_lo, s28
	s_cbranch_execz .LBB4_3681
.LBB4_4431:                             ;   in Loop: Header=BB4_3166 Depth=2
	v_cmp_ne_u16_e32 vcc_lo, 0, v45
	v_mov_b32_e32 v44, 0
	s_andn2_b32 s12, s12, exec_lo
	s_and_b32 s29, vcc_lo, exec_lo
	s_or_b32 s12, s12, s29
	s_or_b32 exec_lo, exec_lo, s28
	s_and_saveexec_b32 s28, s12
	s_cbranch_execnz .LBB4_3682
	s_branch .LBB4_3683
.LBB4_4432:                             ;   in Loop: Header=BB4_3166 Depth=2
	s_or_saveexec_b32 s28, s28
	v_mov_b32_e32 v43, 0x7f800001
	s_xor_b32 exec_lo, exec_lo, s28
	s_cbranch_execz .LBB4_3689
.LBB4_4433:                             ;   in Loop: Header=BB4_3166 Depth=2
	v_cmp_ne_u16_e32 vcc_lo, 0, v42
	v_mov_b32_e32 v43, 0
	s_andn2_b32 s12, s12, exec_lo
	s_and_b32 s29, vcc_lo, exec_lo
	s_or_b32 s12, s12, s29
	s_or_b32 exec_lo, exec_lo, s28
	s_and_saveexec_b32 s28, s12
	s_cbranch_execnz .LBB4_3690
	s_branch .LBB4_3691
.LBB4_4434:                             ;   in Loop: Header=BB4_3166 Depth=2
	s_or_saveexec_b32 s28, s28
	v_mov_b32_e32 v42, 0x7f800001
	s_xor_b32 exec_lo, exec_lo, s28
	s_cbranch_execz .LBB4_3695
.LBB4_4435:                             ;   in Loop: Header=BB4_3166 Depth=2
	v_cmp_ne_u16_e32 vcc_lo, 0, v44
	v_mov_b32_e32 v42, 0
	s_andn2_b32 s12, s12, exec_lo
	s_and_b32 s29, vcc_lo, exec_lo
	s_or_b32 s12, s12, s29
	s_or_b32 exec_lo, exec_lo, s28
	s_and_saveexec_b32 s28, s12
	s_cbranch_execnz .LBB4_3696
	s_branch .LBB4_3697
.LBB4_4436:                             ;   in Loop: Header=BB4_3166 Depth=2
	s_or_saveexec_b32 s28, s28
	v_mov_b32_e32 v43, 0x7f800001
	s_xor_b32 exec_lo, exec_lo, s28
	s_cbranch_execz .LBB4_3711
.LBB4_4437:                             ;   in Loop: Header=BB4_3166 Depth=2
	v_cmp_ne_u16_sdwa s29, v25, v51 src0_sel:BYTE_3 src1_sel:DWORD
	v_mov_b32_e32 v43, 0
	s_andn2_b32 s12, s12, exec_lo
	s_and_b32 s29, s29, exec_lo
	s_or_b32 s12, s12, s29
	s_or_b32 exec_lo, exec_lo, s28
	s_and_saveexec_b32 s28, s12
	s_cbranch_execnz .LBB4_3712
	s_branch .LBB4_3713
.LBB4_4438:                             ;   in Loop: Header=BB4_3166 Depth=2
	s_or_saveexec_b32 s28, s28
	v_mov_b32_e32 v44, 0x7f800001
	s_xor_b32 exec_lo, exec_lo, s28
	s_cbranch_execz .LBB4_3717
.LBB4_4439:                             ;   in Loop: Header=BB4_3166 Depth=2
	v_cmp_ne_u16_sdwa s29, v21, v51 src0_sel:BYTE_3 src1_sel:DWORD
	v_mov_b32_e32 v44, 0
	s_andn2_b32 s12, s12, exec_lo
	s_and_b32 s29, s29, exec_lo
	s_or_b32 s12, s12, s29
	s_or_b32 exec_lo, exec_lo, s28
	s_and_saveexec_b32 s28, s12
	s_cbranch_execnz .LBB4_3718
	s_branch .LBB4_3719
.LBB4_4440:                             ;   in Loop: Header=BB4_3166 Depth=2
	s_or_saveexec_b32 s28, s28
	v_mov_b32_e32 v43, 0x7f800001
	s_xor_b32 exec_lo, exec_lo, s28
	s_cbranch_execz .LBB4_3725
.LBB4_4441:                             ;   in Loop: Header=BB4_3166 Depth=2
	v_cmp_ne_u16_sdwa s29, v25, v51 src0_sel:BYTE_3 src1_sel:DWORD
	v_mov_b32_e32 v43, 0
	s_andn2_b32 s12, s12, exec_lo
	s_and_b32 s29, s29, exec_lo
	s_or_b32 s12, s12, s29
	s_or_b32 exec_lo, exec_lo, s28
	s_and_saveexec_b32 s28, s12
	s_cbranch_execnz .LBB4_3726
	s_branch .LBB4_3727
.LBB4_4442:                             ;   in Loop: Header=BB4_3166 Depth=2
	s_or_saveexec_b32 s28, s28
	v_mov_b32_e32 v25, 0x7f800001
	s_xor_b32 exec_lo, exec_lo, s28
	s_cbranch_execz .LBB4_3731
.LBB4_4443:                             ;   in Loop: Header=BB4_3166 Depth=2
	v_cmp_ne_u16_sdwa s29, v21, v51 src0_sel:BYTE_3 src1_sel:DWORD
	v_mov_b32_e32 v25, 0
	s_andn2_b32 s12, s12, exec_lo
	s_and_b32 s29, s29, exec_lo
	s_or_b32 s12, s12, s29
	s_or_b32 exec_lo, exec_lo, s28
	s_and_saveexec_b32 s28, s12
	s_cbranch_execnz .LBB4_3732
	s_branch .LBB4_3733
.LBB4_4444:                             ;   in Loop: Header=BB4_3166 Depth=2
	s_or_saveexec_b32 s28, s28
	v_mov_b32_e32 v25, 0x7f800001
	s_xor_b32 exec_lo, exec_lo, s28
	s_cbranch_execz .LBB4_3747
.LBB4_4445:                             ;   in Loop: Header=BB4_3166 Depth=2
	v_cmp_ne_u16_sdwa s29, v14, v51 src0_sel:BYTE_0 src1_sel:DWORD
	v_mov_b32_e32 v25, 0
	s_andn2_b32 s12, s12, exec_lo
	s_and_b32 s29, s29, exec_lo
	s_or_b32 s12, s12, s29
	s_or_b32 exec_lo, exec_lo, s28
	s_and_saveexec_b32 s28, s12
	s_cbranch_execnz .LBB4_3748
	s_branch .LBB4_3749
.LBB4_4446:                             ;   in Loop: Header=BB4_3166 Depth=2
	s_or_saveexec_b32 s28, s28
	v_mov_b32_e32 v43, 0x7f800001
	s_xor_b32 exec_lo, exec_lo, s28
	s_cbranch_execz .LBB4_3753
.LBB4_4447:                             ;   in Loop: Header=BB4_3166 Depth=2
	v_cmp_ne_u16_sdwa s29, v10, v51 src0_sel:BYTE_0 src1_sel:DWORD
	v_mov_b32_e32 v43, 0
	s_andn2_b32 s12, s12, exec_lo
	s_and_b32 s29, s29, exec_lo
	s_or_b32 s12, s12, s29
	s_or_b32 exec_lo, exec_lo, s28
	s_and_saveexec_b32 s28, s12
	s_cbranch_execnz .LBB4_3754
	s_branch .LBB4_3755
.LBB4_4448:                             ;   in Loop: Header=BB4_3166 Depth=2
	s_or_saveexec_b32 s28, s28
	v_mov_b32_e32 v25, 0x7f800001
	s_xor_b32 exec_lo, exec_lo, s28
	s_cbranch_execz .LBB4_3761
.LBB4_4449:                             ;   in Loop: Header=BB4_3166 Depth=2
	v_cmp_ne_u16_sdwa s29, v14, v51 src0_sel:BYTE_0 src1_sel:DWORD
	v_mov_b32_e32 v25, 0
	s_andn2_b32 s12, s12, exec_lo
	s_and_b32 s29, s29, exec_lo
	s_or_b32 s12, s12, s29
	s_or_b32 exec_lo, exec_lo, s28
	s_and_saveexec_b32 s28, s12
	s_cbranch_execnz .LBB4_3762
	s_branch .LBB4_3763
.LBB4_4450:                             ;   in Loop: Header=BB4_3166 Depth=2
	s_or_saveexec_b32 s28, s28
	v_mov_b32_e32 v43, 0x7f800001
	s_xor_b32 exec_lo, exec_lo, s28
	s_cbranch_execz .LBB4_3767
.LBB4_4451:                             ;   in Loop: Header=BB4_3166 Depth=2
	v_cmp_ne_u16_sdwa s29, v10, v51 src0_sel:BYTE_0 src1_sel:DWORD
	v_mov_b32_e32 v43, 0
	s_andn2_b32 s12, s12, exec_lo
	s_and_b32 s29, s29, exec_lo
	s_or_b32 s12, s12, s29
	s_or_b32 exec_lo, exec_lo, s28
	s_and_saveexec_b32 s28, s12
	s_cbranch_execnz .LBB4_3768
	s_branch .LBB4_3769
.LBB4_4452:                             ;   in Loop: Header=BB4_3166 Depth=2
	s_or_saveexec_b32 s28, s28
	v_mov_b32_e32 v43, 0x7f800001
	s_xor_b32 exec_lo, exec_lo, s28
	s_cbranch_execz .LBB4_3783
.LBB4_4453:                             ;   in Loop: Header=BB4_3166 Depth=2
	v_cmp_ne_u16_sdwa s29, v14, v51 src0_sel:BYTE_1 src1_sel:DWORD
	v_mov_b32_e32 v43, 0
	s_andn2_b32 s12, s12, exec_lo
	s_and_b32 s29, s29, exec_lo
	s_or_b32 s12, s12, s29
	s_or_b32 exec_lo, exec_lo, s28
	s_and_saveexec_b32 s28, s12
	s_cbranch_execnz .LBB4_3784
	s_branch .LBB4_3785
.LBB4_4454:                             ;   in Loop: Header=BB4_3166 Depth=2
	s_or_saveexec_b32 s28, s28
	v_mov_b32_e32 v44, 0x7f800001
	s_xor_b32 exec_lo, exec_lo, s28
	s_cbranch_execz .LBB4_3789
.LBB4_4455:                             ;   in Loop: Header=BB4_3166 Depth=2
	v_cmp_ne_u16_sdwa s29, v10, v51 src0_sel:BYTE_1 src1_sel:DWORD
	v_mov_b32_e32 v44, 0
	s_andn2_b32 s12, s12, exec_lo
	s_and_b32 s29, s29, exec_lo
	s_or_b32 s12, s12, s29
	s_or_b32 exec_lo, exec_lo, s28
	s_and_saveexec_b32 s28, s12
	s_cbranch_execnz .LBB4_3790
	s_branch .LBB4_3791
.LBB4_4456:                             ;   in Loop: Header=BB4_3166 Depth=2
	s_or_saveexec_b32 s28, s28
	v_mov_b32_e32 v43, 0x7f800001
	s_xor_b32 exec_lo, exec_lo, s28
	s_cbranch_execz .LBB4_3797
.LBB4_4457:                             ;   in Loop: Header=BB4_3166 Depth=2
	v_cmp_ne_u16_sdwa s29, v14, v51 src0_sel:BYTE_1 src1_sel:DWORD
	v_mov_b32_e32 v43, 0
	s_andn2_b32 s12, s12, exec_lo
	s_and_b32 s29, s29, exec_lo
	s_or_b32 s12, s12, s29
	s_or_b32 exec_lo, exec_lo, s28
	s_and_saveexec_b32 s28, s12
	s_cbranch_execnz .LBB4_3798
	s_branch .LBB4_3799
.LBB4_4458:                             ;   in Loop: Header=BB4_3166 Depth=2
	s_or_saveexec_b32 s28, s28
	v_mov_b32_e32 v44, 0x7f800001
	s_xor_b32 exec_lo, exec_lo, s28
	s_cbranch_execz .LBB4_3803
.LBB4_4459:                             ;   in Loop: Header=BB4_3166 Depth=2
	v_cmp_ne_u16_sdwa s29, v10, v51 src0_sel:BYTE_1 src1_sel:DWORD
	v_mov_b32_e32 v44, 0
	s_andn2_b32 s12, s12, exec_lo
	s_and_b32 s29, s29, exec_lo
	s_or_b32 s12, s12, s29
	s_or_b32 exec_lo, exec_lo, s28
	s_and_saveexec_b32 s28, s12
	s_cbranch_execnz .LBB4_3804
	s_branch .LBB4_3805
.LBB4_4460:                             ;   in Loop: Header=BB4_3166 Depth=2
	s_or_saveexec_b32 s12, s12
	v_mov_b32_e32 v45, 0x7f800001
	s_xor_b32 exec_lo, exec_lo, s12
	s_cbranch_execz .LBB4_3819
.LBB4_4461:                             ;   in Loop: Header=BB4_3166 Depth=2
	v_cmp_ne_u16_e32 vcc_lo, 0, v44
	v_mov_b32_e32 v45, 0
	s_andn2_b32 s28, s28, exec_lo
	s_and_b32 s29, vcc_lo, exec_lo
	s_or_b32 s28, s28, s29
	s_or_b32 exec_lo, exec_lo, s12
	s_and_saveexec_b32 s12, s28
	s_cbranch_execnz .LBB4_3820
	s_branch .LBB4_3821
.LBB4_4462:                             ;   in Loop: Header=BB4_3166 Depth=2
	s_or_saveexec_b32 s28, s28
	v_mov_b32_e32 v46, 0x7f800001
	s_xor_b32 exec_lo, exec_lo, s28
	s_cbranch_execz .LBB4_3825
.LBB4_4463:                             ;   in Loop: Header=BB4_3166 Depth=2
	v_cmp_ne_u16_e32 vcc_lo, 0, v47
	v_mov_b32_e32 v46, 0
	s_andn2_b32 s12, s12, exec_lo
	s_and_b32 s29, vcc_lo, exec_lo
	s_or_b32 s12, s12, s29
	s_or_b32 exec_lo, exec_lo, s28
	s_and_saveexec_b32 s28, s12
	s_cbranch_execnz .LBB4_3826
	s_branch .LBB4_3827
.LBB4_4464:                             ;   in Loop: Header=BB4_3166 Depth=2
	s_or_saveexec_b32 s28, s28
	v_mov_b32_e32 v45, 0x7f800001
	s_xor_b32 exec_lo, exec_lo, s28
	s_cbranch_execz .LBB4_3833
.LBB4_4465:                             ;   in Loop: Header=BB4_3166 Depth=2
	v_cmp_ne_u16_e32 vcc_lo, 0, v44
	v_mov_b32_e32 v45, 0
	s_andn2_b32 s12, s12, exec_lo
	s_and_b32 s29, vcc_lo, exec_lo
	s_or_b32 s12, s12, s29
	s_or_b32 exec_lo, exec_lo, s28
	s_and_saveexec_b32 s28, s12
	s_cbranch_execnz .LBB4_3834
	s_branch .LBB4_3835
.LBB4_4466:                             ;   in Loop: Header=BB4_3166 Depth=2
	s_or_saveexec_b32 s28, s28
	v_mov_b32_e32 v44, 0x7f800001
	s_xor_b32 exec_lo, exec_lo, s28
	s_cbranch_execz .LBB4_3839
.LBB4_4467:                             ;   in Loop: Header=BB4_3166 Depth=2
	v_cmp_ne_u16_e32 vcc_lo, 0, v46
	v_mov_b32_e32 v44, 0
	s_andn2_b32 s12, s12, exec_lo
	s_and_b32 s29, vcc_lo, exec_lo
	s_or_b32 s12, s12, s29
	s_or_b32 exec_lo, exec_lo, s28
	s_and_saveexec_b32 s28, s12
	s_cbranch_execnz .LBB4_3840
	s_branch .LBB4_3841
.LBB4_4468:                             ;   in Loop: Header=BB4_3166 Depth=2
	s_or_saveexec_b32 s28, s28
	v_mov_b32_e32 v45, 0x7f800001
	s_xor_b32 exec_lo, exec_lo, s28
	s_cbranch_execz .LBB4_3855
.LBB4_4469:                             ;   in Loop: Header=BB4_3166 Depth=2
	v_cmp_ne_u16_sdwa s29, v14, v51 src0_sel:BYTE_3 src1_sel:DWORD
	v_mov_b32_e32 v45, 0
	s_andn2_b32 s12, s12, exec_lo
	s_and_b32 s29, s29, exec_lo
	s_or_b32 s12, s12, s29
	s_or_b32 exec_lo, exec_lo, s28
	s_and_saveexec_b32 s28, s12
	s_cbranch_execnz .LBB4_3856
	s_branch .LBB4_3857
.LBB4_4470:                             ;   in Loop: Header=BB4_3166 Depth=2
	s_or_saveexec_b32 s28, s28
	v_mov_b32_e32 v46, 0x7f800001
	s_xor_b32 exec_lo, exec_lo, s28
	s_cbranch_execz .LBB4_3861
.LBB4_4471:                             ;   in Loop: Header=BB4_3166 Depth=2
	v_cmp_ne_u16_sdwa s29, v10, v51 src0_sel:BYTE_3 src1_sel:DWORD
	v_mov_b32_e32 v46, 0
	s_andn2_b32 s12, s12, exec_lo
	s_and_b32 s29, s29, exec_lo
	s_or_b32 s12, s12, s29
	s_or_b32 exec_lo, exec_lo, s28
	s_and_saveexec_b32 s28, s12
	s_cbranch_execnz .LBB4_3862
	s_branch .LBB4_3863
.LBB4_4472:                             ;   in Loop: Header=BB4_3166 Depth=2
	s_or_saveexec_b32 s28, s28
	v_mov_b32_e32 v45, 0x7f800001
	s_xor_b32 exec_lo, exec_lo, s28
	s_cbranch_execz .LBB4_3869
.LBB4_4473:                             ;   in Loop: Header=BB4_3166 Depth=2
	v_cmp_ne_u16_sdwa s29, v14, v51 src0_sel:BYTE_3 src1_sel:DWORD
	v_mov_b32_e32 v45, 0
	s_andn2_b32 s12, s12, exec_lo
	s_and_b32 s29, s29, exec_lo
	s_or_b32 s12, s12, s29
	s_or_b32 exec_lo, exec_lo, s28
	s_and_saveexec_b32 s28, s12
	s_cbranch_execnz .LBB4_3870
	s_branch .LBB4_3871
.LBB4_4474:                             ;   in Loop: Header=BB4_3166 Depth=2
	s_or_saveexec_b32 s28, s28
	v_mov_b32_e32 v14, 0x7f800001
	s_xor_b32 exec_lo, exec_lo, s28
	s_cbranch_execz .LBB4_3875
.LBB4_4475:                             ;   in Loop: Header=BB4_3166 Depth=2
	v_cmp_ne_u16_sdwa s29, v10, v51 src0_sel:BYTE_3 src1_sel:DWORD
	v_mov_b32_e32 v14, 0
	s_andn2_b32 s12, s12, exec_lo
	s_and_b32 s29, s29, exec_lo
	s_or_b32 s12, s12, s29
	s_or_b32 exec_lo, exec_lo, s28
	s_and_saveexec_b32 s28, s12
	s_cbranch_execnz .LBB4_3876
	s_branch .LBB4_3877
.LBB4_4476:                             ;   in Loop: Header=BB4_3166 Depth=2
	s_or_saveexec_b32 s28, s28
	v_mov_b32_e32 v14, 0x7f800001
	s_xor_b32 exec_lo, exec_lo, s28
	s_cbranch_execz .LBB4_3891
.LBB4_4477:                             ;   in Loop: Header=BB4_3166 Depth=2
	v_cmp_ne_u16_sdwa s29, v15, v51 src0_sel:BYTE_0 src1_sel:DWORD
	v_mov_b32_e32 v14, 0
	s_andn2_b32 s12, s12, exec_lo
	s_and_b32 s29, s29, exec_lo
	s_or_b32 s12, s12, s29
	s_or_b32 exec_lo, exec_lo, s28
	s_and_saveexec_b32 s28, s12
	s_cbranch_execnz .LBB4_3892
	s_branch .LBB4_3893
.LBB4_4478:                             ;   in Loop: Header=BB4_3166 Depth=2
	s_or_saveexec_b32 s28, s28
	v_mov_b32_e32 v45, 0x7f800001
	s_xor_b32 exec_lo, exec_lo, s28
	s_cbranch_execz .LBB4_3897
.LBB4_4479:                             ;   in Loop: Header=BB4_3166 Depth=2
	v_cmp_ne_u16_sdwa s29, v11, v51 src0_sel:BYTE_0 src1_sel:DWORD
	v_mov_b32_e32 v45, 0
	s_andn2_b32 s12, s12, exec_lo
	s_and_b32 s29, s29, exec_lo
	s_or_b32 s12, s12, s29
	s_or_b32 exec_lo, exec_lo, s28
	s_and_saveexec_b32 s28, s12
	s_cbranch_execnz .LBB4_3898
	s_branch .LBB4_3899
.LBB4_4480:                             ;   in Loop: Header=BB4_3166 Depth=2
	s_or_saveexec_b32 s28, s28
	v_mov_b32_e32 v14, 0x7f800001
	s_xor_b32 exec_lo, exec_lo, s28
	s_cbranch_execz .LBB4_3905
.LBB4_4481:                             ;   in Loop: Header=BB4_3166 Depth=2
	v_cmp_ne_u16_sdwa s29, v15, v51 src0_sel:BYTE_0 src1_sel:DWORD
	v_mov_b32_e32 v14, 0
	s_andn2_b32 s12, s12, exec_lo
	s_and_b32 s29, s29, exec_lo
	s_or_b32 s12, s12, s29
	s_or_b32 exec_lo, exec_lo, s28
	s_and_saveexec_b32 s28, s12
	s_cbranch_execnz .LBB4_3906
	s_branch .LBB4_3907
.LBB4_4482:                             ;   in Loop: Header=BB4_3166 Depth=2
	s_or_saveexec_b32 s28, s28
	v_mov_b32_e32 v45, 0x7f800001
	s_xor_b32 exec_lo, exec_lo, s28
	s_cbranch_execz .LBB4_3911
.LBB4_4483:                             ;   in Loop: Header=BB4_3166 Depth=2
	v_cmp_ne_u16_sdwa s29, v11, v51 src0_sel:BYTE_0 src1_sel:DWORD
	v_mov_b32_e32 v45, 0
	s_andn2_b32 s12, s12, exec_lo
	s_and_b32 s29, s29, exec_lo
	s_or_b32 s12, s12, s29
	s_or_b32 exec_lo, exec_lo, s28
	s_and_saveexec_b32 s28, s12
	s_cbranch_execnz .LBB4_3912
	s_branch .LBB4_3913
.LBB4_4484:                             ;   in Loop: Header=BB4_3166 Depth=2
	s_or_saveexec_b32 s28, s28
	v_mov_b32_e32 v45, 0x7f800001
	s_xor_b32 exec_lo, exec_lo, s28
	s_cbranch_execz .LBB4_3927
.LBB4_4485:                             ;   in Loop: Header=BB4_3166 Depth=2
	v_cmp_ne_u16_sdwa s29, v15, v51 src0_sel:BYTE_1 src1_sel:DWORD
	v_mov_b32_e32 v45, 0
	s_andn2_b32 s12, s12, exec_lo
	s_and_b32 s29, s29, exec_lo
	s_or_b32 s12, s12, s29
	s_or_b32 exec_lo, exec_lo, s28
	s_and_saveexec_b32 s28, s12
	s_cbranch_execnz .LBB4_3928
	s_branch .LBB4_3929
.LBB4_4486:                             ;   in Loop: Header=BB4_3166 Depth=2
	s_or_saveexec_b32 s28, s28
	v_mov_b32_e32 v46, 0x7f800001
	s_xor_b32 exec_lo, exec_lo, s28
	s_cbranch_execz .LBB4_3933
.LBB4_4487:                             ;   in Loop: Header=BB4_3166 Depth=2
	v_cmp_ne_u16_sdwa s29, v11, v51 src0_sel:BYTE_1 src1_sel:DWORD
	v_mov_b32_e32 v46, 0
	s_andn2_b32 s12, s12, exec_lo
	s_and_b32 s29, s29, exec_lo
	s_or_b32 s12, s12, s29
	s_or_b32 exec_lo, exec_lo, s28
	s_and_saveexec_b32 s28, s12
	s_cbranch_execnz .LBB4_3934
	s_branch .LBB4_3935
.LBB4_4488:                             ;   in Loop: Header=BB4_3166 Depth=2
	s_or_saveexec_b32 s28, s28
	v_mov_b32_e32 v45, 0x7f800001
	s_xor_b32 exec_lo, exec_lo, s28
	s_cbranch_execz .LBB4_3941
.LBB4_4489:                             ;   in Loop: Header=BB4_3166 Depth=2
	v_cmp_ne_u16_sdwa s29, v15, v51 src0_sel:BYTE_1 src1_sel:DWORD
	v_mov_b32_e32 v45, 0
	s_andn2_b32 s12, s12, exec_lo
	s_and_b32 s29, s29, exec_lo
	s_or_b32 s12, s12, s29
	s_or_b32 exec_lo, exec_lo, s28
	s_and_saveexec_b32 s28, s12
	s_cbranch_execnz .LBB4_3942
	s_branch .LBB4_3943
.LBB4_4490:                             ;   in Loop: Header=BB4_3166 Depth=2
	s_or_saveexec_b32 s28, s28
	v_mov_b32_e32 v46, 0x7f800001
	s_xor_b32 exec_lo, exec_lo, s28
	s_cbranch_execz .LBB4_3947
.LBB4_4491:                             ;   in Loop: Header=BB4_3166 Depth=2
	v_cmp_ne_u16_sdwa s29, v11, v51 src0_sel:BYTE_1 src1_sel:DWORD
	v_mov_b32_e32 v46, 0
	s_andn2_b32 s12, s12, exec_lo
	s_and_b32 s29, s29, exec_lo
	s_or_b32 s12, s12, s29
	s_or_b32 exec_lo, exec_lo, s28
	s_and_saveexec_b32 s28, s12
	s_cbranch_execnz .LBB4_3948
	s_branch .LBB4_3949
.LBB4_4492:                             ;   in Loop: Header=BB4_3166 Depth=2
	s_or_saveexec_b32 s12, s12
	v_mov_b32_e32 v47, 0x7f800001
	s_xor_b32 exec_lo, exec_lo, s12
	s_cbranch_execz .LBB4_3963
.LBB4_4493:                             ;   in Loop: Header=BB4_3166 Depth=2
	v_cmp_ne_u16_e32 vcc_lo, 0, v46
	v_mov_b32_e32 v47, 0
	s_andn2_b32 s28, s28, exec_lo
	s_and_b32 s29, vcc_lo, exec_lo
	s_or_b32 s28, s28, s29
	s_or_b32 exec_lo, exec_lo, s12
	s_and_saveexec_b32 s12, s28
	s_cbranch_execnz .LBB4_3964
	s_branch .LBB4_3965
.LBB4_4494:                             ;   in Loop: Header=BB4_3166 Depth=2
	s_or_saveexec_b32 s28, s28
	v_mov_b32_e32 v56, 0x7f800001
	s_xor_b32 exec_lo, exec_lo, s28
	s_cbranch_execz .LBB4_3969
.LBB4_4495:                             ;   in Loop: Header=BB4_3166 Depth=2
	v_cmp_ne_u16_e32 vcc_lo, 0, v57
	v_mov_b32_e32 v56, 0
	s_andn2_b32 s12, s12, exec_lo
	s_and_b32 s29, vcc_lo, exec_lo
	s_or_b32 s12, s12, s29
	s_or_b32 exec_lo, exec_lo, s28
	s_and_saveexec_b32 s28, s12
	s_cbranch_execnz .LBB4_3970
	s_branch .LBB4_3971
.LBB4_4496:                             ;   in Loop: Header=BB4_3166 Depth=2
	s_or_saveexec_b32 s28, s28
	v_mov_b32_e32 v47, 0x7f800001
	s_xor_b32 exec_lo, exec_lo, s28
	s_cbranch_execz .LBB4_3977
.LBB4_4497:                             ;   in Loop: Header=BB4_3166 Depth=2
	v_cmp_ne_u16_e32 vcc_lo, 0, v46
	v_mov_b32_e32 v47, 0
	s_andn2_b32 s12, s12, exec_lo
	s_and_b32 s29, vcc_lo, exec_lo
	s_or_b32 s12, s12, s29
	s_or_b32 exec_lo, exec_lo, s28
	s_and_saveexec_b32 s28, s12
	s_cbranch_execnz .LBB4_3978
	s_branch .LBB4_3979
.LBB4_4498:                             ;   in Loop: Header=BB4_3166 Depth=2
	s_or_saveexec_b32 s28, s28
	v_mov_b32_e32 v46, 0x7f800001
	s_xor_b32 exec_lo, exec_lo, s28
	s_cbranch_execz .LBB4_3983
.LBB4_4499:                             ;   in Loop: Header=BB4_3166 Depth=2
	v_cmp_ne_u16_e32 vcc_lo, 0, v56
	v_mov_b32_e32 v46, 0
	s_andn2_b32 s12, s12, exec_lo
	s_and_b32 s29, vcc_lo, exec_lo
	s_or_b32 s12, s12, s29
	s_or_b32 exec_lo, exec_lo, s28
	s_and_saveexec_b32 s28, s12
	s_cbranch_execnz .LBB4_3984
	s_branch .LBB4_3985
.LBB4_4500:                             ;   in Loop: Header=BB4_3166 Depth=2
	s_or_saveexec_b32 s28, s28
	v_mov_b32_e32 v47, 0x7f800001
	s_xor_b32 exec_lo, exec_lo, s28
	s_cbranch_execz .LBB4_3999
.LBB4_4501:                             ;   in Loop: Header=BB4_3166 Depth=2
	v_cmp_ne_u16_sdwa s29, v15, v51 src0_sel:BYTE_3 src1_sel:DWORD
	v_mov_b32_e32 v47, 0
	s_andn2_b32 s12, s12, exec_lo
	s_and_b32 s29, s29, exec_lo
	s_or_b32 s12, s12, s29
	s_or_b32 exec_lo, exec_lo, s28
	s_and_saveexec_b32 s28, s12
	s_cbranch_execnz .LBB4_4000
	s_branch .LBB4_4001
.LBB4_4502:                             ;   in Loop: Header=BB4_3166 Depth=2
	s_or_saveexec_b32 s28, s28
	v_mov_b32_e32 v56, 0x7f800001
	s_xor_b32 exec_lo, exec_lo, s28
	s_cbranch_execz .LBB4_4005
.LBB4_4503:                             ;   in Loop: Header=BB4_3166 Depth=2
	v_cmp_ne_u16_sdwa s29, v11, v51 src0_sel:BYTE_3 src1_sel:DWORD
	v_mov_b32_e32 v56, 0
	s_andn2_b32 s12, s12, exec_lo
	s_and_b32 s29, s29, exec_lo
	s_or_b32 s12, s12, s29
	s_or_b32 exec_lo, exec_lo, s28
	s_and_saveexec_b32 s28, s12
	s_cbranch_execnz .LBB4_4006
	s_branch .LBB4_4007
.LBB4_4504:                             ;   in Loop: Header=BB4_3166 Depth=2
	s_or_saveexec_b32 s28, s28
	v_mov_b32_e32 v47, 0x7f800001
	s_xor_b32 exec_lo, exec_lo, s28
	s_cbranch_execz .LBB4_4013
.LBB4_4505:                             ;   in Loop: Header=BB4_3166 Depth=2
	v_cmp_ne_u16_sdwa s29, v15, v51 src0_sel:BYTE_3 src1_sel:DWORD
	v_mov_b32_e32 v47, 0
	s_andn2_b32 s12, s12, exec_lo
	s_and_b32 s29, s29, exec_lo
	s_or_b32 s12, s12, s29
	s_or_b32 exec_lo, exec_lo, s28
	s_and_saveexec_b32 s28, s12
	s_cbranch_execnz .LBB4_4014
	s_branch .LBB4_4015
.LBB4_4506:                             ;   in Loop: Header=BB4_3166 Depth=2
	s_or_saveexec_b32 s28, s28
	v_mov_b32_e32 v15, 0x7f800001
	s_xor_b32 exec_lo, exec_lo, s28
	s_cbranch_execz .LBB4_4019
.LBB4_4507:                             ;   in Loop: Header=BB4_3166 Depth=2
	v_cmp_ne_u16_sdwa s29, v11, v51 src0_sel:BYTE_3 src1_sel:DWORD
	v_mov_b32_e32 v15, 0
	s_andn2_b32 s12, s12, exec_lo
	s_and_b32 s29, s29, exec_lo
	s_or_b32 s12, s12, s29
	s_or_b32 exec_lo, exec_lo, s28
	s_and_saveexec_b32 s28, s12
	s_cbranch_execnz .LBB4_4020
	s_branch .LBB4_4021
.LBB4_4508:                             ;   in Loop: Header=BB4_3166 Depth=2
	s_or_saveexec_b32 s28, s28
	v_mov_b32_e32 v15, 0x7f800001
	s_xor_b32 exec_lo, exec_lo, s28
	s_cbranch_execz .LBB4_4035
.LBB4_4509:                             ;   in Loop: Header=BB4_3166 Depth=2
	v_cmp_ne_u16_sdwa s29, v16, v51 src0_sel:BYTE_0 src1_sel:DWORD
	v_mov_b32_e32 v15, 0
	s_andn2_b32 s12, s12, exec_lo
	s_and_b32 s29, s29, exec_lo
	s_or_b32 s12, s12, s29
	s_or_b32 exec_lo, exec_lo, s28
	s_and_saveexec_b32 s28, s12
	s_cbranch_execnz .LBB4_4036
	s_branch .LBB4_4037
.LBB4_4510:                             ;   in Loop: Header=BB4_3166 Depth=2
	s_or_saveexec_b32 s28, s28
	v_mov_b32_e32 v47, 0x7f800001
	s_xor_b32 exec_lo, exec_lo, s28
	s_cbranch_execz .LBB4_4041
.LBB4_4511:                             ;   in Loop: Header=BB4_3166 Depth=2
	v_cmp_ne_u16_sdwa s29, v12, v51 src0_sel:BYTE_0 src1_sel:DWORD
	v_mov_b32_e32 v47, 0
	s_andn2_b32 s12, s12, exec_lo
	s_and_b32 s29, s29, exec_lo
	s_or_b32 s12, s12, s29
	s_or_b32 exec_lo, exec_lo, s28
	s_and_saveexec_b32 s28, s12
	s_cbranch_execnz .LBB4_4042
	s_branch .LBB4_4043
.LBB4_4512:                             ;   in Loop: Header=BB4_3166 Depth=2
	s_or_saveexec_b32 s28, s28
	v_mov_b32_e32 v15, 0x7f800001
	s_xor_b32 exec_lo, exec_lo, s28
	s_cbranch_execz .LBB4_4049
.LBB4_4513:                             ;   in Loop: Header=BB4_3166 Depth=2
	v_cmp_ne_u16_sdwa s29, v16, v51 src0_sel:BYTE_0 src1_sel:DWORD
	v_mov_b32_e32 v15, 0
	s_andn2_b32 s12, s12, exec_lo
	s_and_b32 s29, s29, exec_lo
	s_or_b32 s12, s12, s29
	s_or_b32 exec_lo, exec_lo, s28
	s_and_saveexec_b32 s28, s12
	s_cbranch_execnz .LBB4_4050
	s_branch .LBB4_4051
.LBB4_4514:                             ;   in Loop: Header=BB4_3166 Depth=2
	s_or_saveexec_b32 s28, s28
	v_mov_b32_e32 v47, 0x7f800001
	s_xor_b32 exec_lo, exec_lo, s28
	s_cbranch_execz .LBB4_4055
.LBB4_4515:                             ;   in Loop: Header=BB4_3166 Depth=2
	v_cmp_ne_u16_sdwa s29, v12, v51 src0_sel:BYTE_0 src1_sel:DWORD
	v_mov_b32_e32 v47, 0
	s_andn2_b32 s12, s12, exec_lo
	s_and_b32 s29, s29, exec_lo
	s_or_b32 s12, s12, s29
	s_or_b32 exec_lo, exec_lo, s28
	s_and_saveexec_b32 s28, s12
	s_cbranch_execnz .LBB4_4056
	s_branch .LBB4_4057
.LBB4_4516:                             ;   in Loop: Header=BB4_3166 Depth=2
	s_or_saveexec_b32 s28, s28
	v_mov_b32_e32 v47, 0x7f800001
	s_xor_b32 exec_lo, exec_lo, s28
	s_cbranch_execz .LBB4_4071
.LBB4_4517:                             ;   in Loop: Header=BB4_3166 Depth=2
	v_cmp_ne_u16_sdwa s29, v16, v51 src0_sel:BYTE_1 src1_sel:DWORD
	v_mov_b32_e32 v47, 0
	s_andn2_b32 s12, s12, exec_lo
	s_and_b32 s29, s29, exec_lo
	s_or_b32 s12, s12, s29
	s_or_b32 exec_lo, exec_lo, s28
	s_and_saveexec_b32 s28, s12
	s_cbranch_execnz .LBB4_4072
	s_branch .LBB4_4073
.LBB4_4518:                             ;   in Loop: Header=BB4_3166 Depth=2
	s_or_saveexec_b32 s28, s28
	v_mov_b32_e32 v56, 0x7f800001
	s_xor_b32 exec_lo, exec_lo, s28
	s_cbranch_execz .LBB4_4077
.LBB4_4519:                             ;   in Loop: Header=BB4_3166 Depth=2
	v_cmp_ne_u16_sdwa s29, v12, v51 src0_sel:BYTE_1 src1_sel:DWORD
	v_mov_b32_e32 v56, 0
	s_andn2_b32 s12, s12, exec_lo
	s_and_b32 s29, s29, exec_lo
	s_or_b32 s12, s12, s29
	s_or_b32 exec_lo, exec_lo, s28
	s_and_saveexec_b32 s28, s12
	s_cbranch_execnz .LBB4_4078
	s_branch .LBB4_4079
.LBB4_4520:                             ;   in Loop: Header=BB4_3166 Depth=2
	s_or_saveexec_b32 s28, s28
	v_mov_b32_e32 v47, 0x7f800001
	s_xor_b32 exec_lo, exec_lo, s28
	s_cbranch_execz .LBB4_4085
.LBB4_4521:                             ;   in Loop: Header=BB4_3166 Depth=2
	v_cmp_ne_u16_sdwa s29, v16, v51 src0_sel:BYTE_1 src1_sel:DWORD
	v_mov_b32_e32 v47, 0
	s_andn2_b32 s12, s12, exec_lo
	s_and_b32 s29, s29, exec_lo
	s_or_b32 s12, s12, s29
	s_or_b32 exec_lo, exec_lo, s28
	s_and_saveexec_b32 s28, s12
	s_cbranch_execnz .LBB4_4086
	s_branch .LBB4_4087
.LBB4_4522:                             ;   in Loop: Header=BB4_3166 Depth=2
	s_or_saveexec_b32 s28, s28
	v_mov_b32_e32 v56, 0x7f800001
	s_xor_b32 exec_lo, exec_lo, s28
	s_cbranch_execz .LBB4_4091
.LBB4_4523:                             ;   in Loop: Header=BB4_3166 Depth=2
	v_cmp_ne_u16_sdwa s29, v12, v51 src0_sel:BYTE_1 src1_sel:DWORD
	v_mov_b32_e32 v56, 0
	s_andn2_b32 s12, s12, exec_lo
	s_and_b32 s29, s29, exec_lo
	s_or_b32 s12, s12, s29
	s_or_b32 exec_lo, exec_lo, s28
	s_and_saveexec_b32 s28, s12
	s_cbranch_execnz .LBB4_4092
	s_branch .LBB4_4093
.LBB4_4524:                             ;   in Loop: Header=BB4_3166 Depth=2
	s_or_saveexec_b32 s12, s12
	v_mov_b32_e32 v57, 0x7f800001
	s_xor_b32 exec_lo, exec_lo, s12
	s_cbranch_execz .LBB4_4107
.LBB4_4525:                             ;   in Loop: Header=BB4_3166 Depth=2
	v_cmp_ne_u16_e32 vcc_lo, 0, v56
	v_mov_b32_e32 v57, 0
	s_andn2_b32 s28, s28, exec_lo
	s_and_b32 s29, vcc_lo, exec_lo
	s_or_b32 s28, s28, s29
	s_or_b32 exec_lo, exec_lo, s12
	s_and_saveexec_b32 s12, s28
	s_cbranch_execnz .LBB4_4108
	s_branch .LBB4_4109
.LBB4_4526:                             ;   in Loop: Header=BB4_3166 Depth=2
	s_or_saveexec_b32 s28, s28
	v_mov_b32_e32 v58, 0x7f800001
	s_xor_b32 exec_lo, exec_lo, s28
	s_cbranch_execz .LBB4_4113
.LBB4_4527:                             ;   in Loop: Header=BB4_3166 Depth=2
	v_cmp_ne_u16_e32 vcc_lo, 0, v59
	v_mov_b32_e32 v58, 0
	s_andn2_b32 s12, s12, exec_lo
	s_and_b32 s29, vcc_lo, exec_lo
	s_or_b32 s12, s12, s29
	s_or_b32 exec_lo, exec_lo, s28
	s_and_saveexec_b32 s28, s12
	s_cbranch_execnz .LBB4_4114
	s_branch .LBB4_4115
.LBB4_4528:                             ;   in Loop: Header=BB4_3166 Depth=2
	s_or_saveexec_b32 s28, s28
	v_mov_b32_e32 v57, 0x7f800001
	s_xor_b32 exec_lo, exec_lo, s28
	s_cbranch_execz .LBB4_4121
.LBB4_4529:                             ;   in Loop: Header=BB4_3166 Depth=2
	v_cmp_ne_u16_e32 vcc_lo, 0, v56
	v_mov_b32_e32 v57, 0
	s_andn2_b32 s12, s12, exec_lo
	s_and_b32 s29, vcc_lo, exec_lo
	s_or_b32 s12, s12, s29
	s_or_b32 exec_lo, exec_lo, s28
	s_and_saveexec_b32 s28, s12
	s_cbranch_execnz .LBB4_4122
	s_branch .LBB4_4123
.LBB4_4530:                             ;   in Loop: Header=BB4_3166 Depth=2
	s_or_saveexec_b32 s28, s28
	v_mov_b32_e32 v56, 0x7f800001
	s_xor_b32 exec_lo, exec_lo, s28
	s_cbranch_execz .LBB4_4127
.LBB4_4531:                             ;   in Loop: Header=BB4_3166 Depth=2
	v_cmp_ne_u16_e32 vcc_lo, 0, v58
	v_mov_b32_e32 v56, 0
	s_andn2_b32 s12, s12, exec_lo
	s_and_b32 s29, vcc_lo, exec_lo
	s_or_b32 s12, s12, s29
	s_or_b32 exec_lo, exec_lo, s28
	s_and_saveexec_b32 s28, s12
	s_cbranch_execnz .LBB4_4128
	s_branch .LBB4_4129
.LBB4_4532:                             ;   in Loop: Header=BB4_3166 Depth=2
	s_or_saveexec_b32 s28, s28
	v_mov_b32_e32 v57, 0x7f800001
	s_xor_b32 exec_lo, exec_lo, s28
	s_cbranch_execz .LBB4_4143
.LBB4_4533:                             ;   in Loop: Header=BB4_3166 Depth=2
	v_cmp_ne_u16_sdwa s29, v16, v51 src0_sel:BYTE_3 src1_sel:DWORD
	v_mov_b32_e32 v57, 0
	s_andn2_b32 s12, s12, exec_lo
	s_and_b32 s29, s29, exec_lo
	s_or_b32 s12, s12, s29
	s_or_b32 exec_lo, exec_lo, s28
	s_and_saveexec_b32 s28, s12
	s_cbranch_execnz .LBB4_4144
	s_branch .LBB4_4145
.LBB4_4534:                             ;   in Loop: Header=BB4_3166 Depth=2
	s_or_saveexec_b32 s28, s28
	v_mov_b32_e32 v58, 0x7f800001
	s_xor_b32 exec_lo, exec_lo, s28
	s_cbranch_execz .LBB4_4149
.LBB4_4535:                             ;   in Loop: Header=BB4_3166 Depth=2
	v_cmp_ne_u16_sdwa s29, v12, v51 src0_sel:BYTE_3 src1_sel:DWORD
	v_mov_b32_e32 v58, 0
	s_andn2_b32 s12, s12, exec_lo
	s_and_b32 s29, s29, exec_lo
	s_or_b32 s12, s12, s29
	s_or_b32 exec_lo, exec_lo, s28
	s_and_saveexec_b32 s28, s12
	s_cbranch_execnz .LBB4_4150
	s_branch .LBB4_4151
.LBB4_4536:                             ;   in Loop: Header=BB4_3166 Depth=2
	s_or_saveexec_b32 s28, s28
	v_mov_b32_e32 v57, 0x7f800001
	s_xor_b32 exec_lo, exec_lo, s28
	s_cbranch_execz .LBB4_4157
.LBB4_4537:                             ;   in Loop: Header=BB4_3166 Depth=2
	v_cmp_ne_u16_sdwa s29, v16, v51 src0_sel:BYTE_3 src1_sel:DWORD
	v_mov_b32_e32 v57, 0
	s_andn2_b32 s12, s12, exec_lo
	s_and_b32 s29, s29, exec_lo
	s_or_b32 s12, s12, s29
	s_or_b32 exec_lo, exec_lo, s28
	s_and_saveexec_b32 s28, s12
	s_cbranch_execnz .LBB4_4158
	s_branch .LBB4_4159
.LBB4_4538:                             ;   in Loop: Header=BB4_3166 Depth=2
	s_or_saveexec_b32 s28, s28
	v_mov_b32_e32 v16, 0x7f800001
	s_xor_b32 exec_lo, exec_lo, s28
	s_cbranch_execz .LBB4_4163
.LBB4_4539:                             ;   in Loop: Header=BB4_3166 Depth=2
	v_cmp_ne_u16_sdwa s29, v12, v51 src0_sel:BYTE_3 src1_sel:DWORD
	v_mov_b32_e32 v16, 0
	s_andn2_b32 s12, s12, exec_lo
	s_and_b32 s29, s29, exec_lo
	s_or_b32 s12, s12, s29
	s_or_b32 exec_lo, exec_lo, s28
	s_and_saveexec_b32 s28, s12
	s_cbranch_execnz .LBB4_4164
	s_branch .LBB4_4165
.LBB4_4540:                             ;   in Loop: Header=BB4_3166 Depth=2
	s_or_saveexec_b32 s28, s28
	v_mov_b32_e32 v16, 0x7f800001
	s_xor_b32 exec_lo, exec_lo, s28
	s_cbranch_execz .LBB4_4179
.LBB4_4541:                             ;   in Loop: Header=BB4_3166 Depth=2
	v_cmp_ne_u16_sdwa s29, v17, v51 src0_sel:BYTE_0 src1_sel:DWORD
	v_mov_b32_e32 v16, 0
	s_andn2_b32 s12, s12, exec_lo
	s_and_b32 s29, s29, exec_lo
	s_or_b32 s12, s12, s29
	s_or_b32 exec_lo, exec_lo, s28
	s_and_saveexec_b32 s28, s12
	s_cbranch_execnz .LBB4_4180
	s_branch .LBB4_4181
.LBB4_4542:                             ;   in Loop: Header=BB4_3166 Depth=2
	s_or_saveexec_b32 s28, s28
	v_mov_b32_e32 v57, 0x7f800001
	s_xor_b32 exec_lo, exec_lo, s28
	s_cbranch_execz .LBB4_4185
.LBB4_4543:                             ;   in Loop: Header=BB4_3166 Depth=2
	v_cmp_ne_u16_sdwa s29, v13, v51 src0_sel:BYTE_0 src1_sel:DWORD
	v_mov_b32_e32 v57, 0
	s_andn2_b32 s12, s12, exec_lo
	s_and_b32 s29, s29, exec_lo
	s_or_b32 s12, s12, s29
	s_or_b32 exec_lo, exec_lo, s28
	s_and_saveexec_b32 s28, s12
	s_cbranch_execnz .LBB4_4186
	s_branch .LBB4_4187
.LBB4_4544:                             ;   in Loop: Header=BB4_3166 Depth=2
	s_or_saveexec_b32 s28, s28
	v_mov_b32_e32 v16, 0x7f800001
	s_xor_b32 exec_lo, exec_lo, s28
	s_cbranch_execz .LBB4_4193
.LBB4_4545:                             ;   in Loop: Header=BB4_3166 Depth=2
	v_cmp_ne_u16_sdwa s29, v17, v51 src0_sel:BYTE_0 src1_sel:DWORD
	v_mov_b32_e32 v16, 0
	s_andn2_b32 s12, s12, exec_lo
	s_and_b32 s29, s29, exec_lo
	s_or_b32 s12, s12, s29
	s_or_b32 exec_lo, exec_lo, s28
	s_and_saveexec_b32 s28, s12
	s_cbranch_execnz .LBB4_4194
	s_branch .LBB4_4195
.LBB4_4546:                             ;   in Loop: Header=BB4_3166 Depth=2
	s_or_saveexec_b32 s28, s28
	v_mov_b32_e32 v57, 0x7f800001
	s_xor_b32 exec_lo, exec_lo, s28
	s_cbranch_execz .LBB4_4199
.LBB4_4547:                             ;   in Loop: Header=BB4_3166 Depth=2
	v_cmp_ne_u16_sdwa s29, v13, v51 src0_sel:BYTE_0 src1_sel:DWORD
	v_mov_b32_e32 v57, 0
	s_andn2_b32 s12, s12, exec_lo
	s_and_b32 s29, s29, exec_lo
	s_or_b32 s12, s12, s29
	s_or_b32 exec_lo, exec_lo, s28
	s_and_saveexec_b32 s28, s12
	s_cbranch_execnz .LBB4_4200
	s_branch .LBB4_4201
.LBB4_4548:                             ;   in Loop: Header=BB4_3166 Depth=2
	s_or_saveexec_b32 s28, s28
	v_mov_b32_e32 v57, 0x7f800001
	s_xor_b32 exec_lo, exec_lo, s28
	s_cbranch_execz .LBB4_4215
.LBB4_4549:                             ;   in Loop: Header=BB4_3166 Depth=2
	v_cmp_ne_u16_sdwa s29, v17, v51 src0_sel:BYTE_1 src1_sel:DWORD
	v_mov_b32_e32 v57, 0
	s_andn2_b32 s12, s12, exec_lo
	s_and_b32 s29, s29, exec_lo
	s_or_b32 s12, s12, s29
	s_or_b32 exec_lo, exec_lo, s28
	s_and_saveexec_b32 s28, s12
	s_cbranch_execnz .LBB4_4216
	s_branch .LBB4_4217
.LBB4_4550:                             ;   in Loop: Header=BB4_3166 Depth=2
	s_or_saveexec_b32 s28, s28
	v_mov_b32_e32 v58, 0x7f800001
	s_xor_b32 exec_lo, exec_lo, s28
	s_cbranch_execz .LBB4_4221
.LBB4_4551:                             ;   in Loop: Header=BB4_3166 Depth=2
	v_cmp_ne_u16_sdwa s29, v13, v51 src0_sel:BYTE_1 src1_sel:DWORD
	v_mov_b32_e32 v58, 0
	s_andn2_b32 s12, s12, exec_lo
	s_and_b32 s29, s29, exec_lo
	s_or_b32 s12, s12, s29
	s_or_b32 exec_lo, exec_lo, s28
	s_and_saveexec_b32 s28, s12
	s_cbranch_execnz .LBB4_4222
	s_branch .LBB4_4223
.LBB4_4552:                             ;   in Loop: Header=BB4_3166 Depth=2
	s_or_saveexec_b32 s28, s28
	v_mov_b32_e32 v57, 0x7f800001
	s_xor_b32 exec_lo, exec_lo, s28
	s_cbranch_execz .LBB4_4229
.LBB4_4553:                             ;   in Loop: Header=BB4_3166 Depth=2
	v_cmp_ne_u16_sdwa s29, v17, v51 src0_sel:BYTE_1 src1_sel:DWORD
	v_mov_b32_e32 v57, 0
	s_andn2_b32 s12, s12, exec_lo
	s_and_b32 s29, s29, exec_lo
	s_or_b32 s12, s12, s29
	s_or_b32 exec_lo, exec_lo, s28
	s_and_saveexec_b32 s28, s12
	s_cbranch_execnz .LBB4_4230
	s_branch .LBB4_4231
.LBB4_4554:                             ;   in Loop: Header=BB4_3166 Depth=2
	s_or_saveexec_b32 s28, s28
	v_mov_b32_e32 v58, 0x7f800001
	s_xor_b32 exec_lo, exec_lo, s28
	s_cbranch_execz .LBB4_4235
.LBB4_4555:                             ;   in Loop: Header=BB4_3166 Depth=2
	v_cmp_ne_u16_sdwa s29, v13, v51 src0_sel:BYTE_1 src1_sel:DWORD
	v_mov_b32_e32 v58, 0
	s_andn2_b32 s12, s12, exec_lo
	s_and_b32 s29, s29, exec_lo
	s_or_b32 s12, s12, s29
	s_or_b32 exec_lo, exec_lo, s28
	s_and_saveexec_b32 s28, s12
	s_cbranch_execnz .LBB4_4236
	s_branch .LBB4_4237
.LBB4_4556:                             ;   in Loop: Header=BB4_3166 Depth=2
	s_or_saveexec_b32 s12, s12
	v_mov_b32_e32 v59, 0x7f800001
	s_xor_b32 exec_lo, exec_lo, s12
	s_cbranch_execz .LBB4_4251
.LBB4_4557:                             ;   in Loop: Header=BB4_3166 Depth=2
	v_cmp_ne_u16_e32 vcc_lo, 0, v58
	v_mov_b32_e32 v59, 0
	s_andn2_b32 s28, s28, exec_lo
	s_and_b32 s29, vcc_lo, exec_lo
	s_or_b32 s28, s28, s29
	s_or_b32 exec_lo, exec_lo, s12
	s_and_saveexec_b32 s12, s28
	s_cbranch_execnz .LBB4_4252
	s_branch .LBB4_4253
.LBB4_4558:                             ;   in Loop: Header=BB4_3166 Depth=2
	s_or_saveexec_b32 s28, s28
	v_mov_b32_e32 v60, 0x7f800001
	s_xor_b32 exec_lo, exec_lo, s28
	s_cbranch_execz .LBB4_4257
.LBB4_4559:                             ;   in Loop: Header=BB4_3166 Depth=2
	v_cmp_ne_u16_e32 vcc_lo, 0, v61
	v_mov_b32_e32 v60, 0
	s_andn2_b32 s12, s12, exec_lo
	s_and_b32 s29, vcc_lo, exec_lo
	s_or_b32 s12, s12, s29
	s_or_b32 exec_lo, exec_lo, s28
	s_and_saveexec_b32 s28, s12
	s_cbranch_execnz .LBB4_4258
	s_branch .LBB4_4259
.LBB4_4560:                             ;   in Loop: Header=BB4_3166 Depth=2
	s_or_saveexec_b32 s28, s28
	v_mov_b32_e32 v59, 0x7f800001
	s_xor_b32 exec_lo, exec_lo, s28
	s_cbranch_execz .LBB4_4265
.LBB4_4561:                             ;   in Loop: Header=BB4_3166 Depth=2
	v_cmp_ne_u16_e32 vcc_lo, 0, v58
	v_mov_b32_e32 v59, 0
	s_andn2_b32 s12, s12, exec_lo
	s_and_b32 s29, vcc_lo, exec_lo
	s_or_b32 s12, s12, s29
	s_or_b32 exec_lo, exec_lo, s28
	s_and_saveexec_b32 s28, s12
	s_cbranch_execnz .LBB4_4266
	s_branch .LBB4_4267
.LBB4_4562:                             ;   in Loop: Header=BB4_3166 Depth=2
	s_or_saveexec_b32 s28, s28
	v_mov_b32_e32 v58, 0x7f800001
	s_xor_b32 exec_lo, exec_lo, s28
	s_cbranch_execz .LBB4_4271
.LBB4_4563:                             ;   in Loop: Header=BB4_3166 Depth=2
	v_cmp_ne_u16_e32 vcc_lo, 0, v60
	v_mov_b32_e32 v58, 0
	s_andn2_b32 s12, s12, exec_lo
	s_and_b32 s29, vcc_lo, exec_lo
	s_or_b32 s12, s12, s29
	s_or_b32 exec_lo, exec_lo, s28
	s_and_saveexec_b32 s28, s12
	s_cbranch_execnz .LBB4_4272
	s_branch .LBB4_4273
.LBB4_4564:                             ;   in Loop: Header=BB4_3166 Depth=2
	s_or_saveexec_b32 s28, s28
	v_mov_b32_e32 v59, 0x7f800001
	s_xor_b32 exec_lo, exec_lo, s28
	s_cbranch_execz .LBB4_4287
.LBB4_4565:                             ;   in Loop: Header=BB4_3166 Depth=2
	v_cmp_ne_u16_sdwa s29, v17, v51 src0_sel:BYTE_3 src1_sel:DWORD
	v_mov_b32_e32 v59, 0
	s_andn2_b32 s12, s12, exec_lo
	s_and_b32 s29, s29, exec_lo
	s_or_b32 s12, s12, s29
	s_or_b32 exec_lo, exec_lo, s28
	s_and_saveexec_b32 s28, s12
	s_cbranch_execnz .LBB4_4288
	s_branch .LBB4_4289
.LBB4_4566:                             ;   in Loop: Header=BB4_3166 Depth=2
	s_or_saveexec_b32 s28, s28
	v_mov_b32_e32 v60, 0x7f800001
	s_xor_b32 exec_lo, exec_lo, s28
	s_cbranch_execz .LBB4_4293
.LBB4_4567:                             ;   in Loop: Header=BB4_3166 Depth=2
	v_cmp_ne_u16_sdwa s29, v13, v51 src0_sel:BYTE_3 src1_sel:DWORD
	v_mov_b32_e32 v60, 0
	s_andn2_b32 s12, s12, exec_lo
	s_and_b32 s29, s29, exec_lo
	s_or_b32 s12, s12, s29
	s_or_b32 exec_lo, exec_lo, s28
	s_and_saveexec_b32 s28, s12
	s_cbranch_execnz .LBB4_4294
	s_branch .LBB4_4295
.LBB4_4568:                             ;   in Loop: Header=BB4_3166 Depth=2
	s_or_saveexec_b32 s28, s28
	v_mov_b32_e32 v59, 0x7f800001
	s_xor_b32 exec_lo, exec_lo, s28
	s_cbranch_execz .LBB4_4301
.LBB4_4569:                             ;   in Loop: Header=BB4_3166 Depth=2
	v_cmp_ne_u16_sdwa s29, v17, v51 src0_sel:BYTE_3 src1_sel:DWORD
	v_mov_b32_e32 v59, 0
	s_andn2_b32 s12, s12, exec_lo
	s_and_b32 s29, s29, exec_lo
	s_or_b32 s12, s12, s29
	s_or_b32 exec_lo, exec_lo, s28
	s_and_saveexec_b32 s28, s12
	s_cbranch_execnz .LBB4_4302
	s_branch .LBB4_4303
.LBB4_4570:                             ;   in Loop: Header=BB4_3166 Depth=2
	s_or_saveexec_b32 s28, s28
	v_mov_b32_e32 v17, 0x7f800001
	s_xor_b32 exec_lo, exec_lo, s28
	s_cbranch_execz .LBB4_4307
.LBB4_4571:                             ;   in Loop: Header=BB4_3166 Depth=2
	v_cmp_ne_u16_sdwa s29, v13, v51 src0_sel:BYTE_3 src1_sel:DWORD
	v_mov_b32_e32 v17, 0
	s_andn2_b32 s12, s12, exec_lo
	s_and_b32 s29, s29, exec_lo
	s_or_b32 s12, s12, s29
	s_or_b32 exec_lo, exec_lo, s28
	s_and_saveexec_b32 s28, s12
	s_cbranch_execnz .LBB4_4308
	s_branch .LBB4_4309
.LBB4_4572:                             ;   in Loop: Header=BB4_3089 Depth=1
	s_or_b32 exec_lo, exec_lo, s26
.LBB4_4573:                             ;   in Loop: Header=BB4_3089 Depth=1
	s_or_b32 exec_lo, exec_lo, s13
	v_and_b32_e32 v10, 0x3ffffc00, v50
	v_mov_b32_e32 v16, 0
	s_mov_b32 s12, 0
	s_mov_b32 s26, exec_lo
                                        ; implicit-def: $vgpr17
                                        ; implicit-def: $vgpr18
	v_cmpx_ne_u32_e64 v50, v10
	s_cbranch_execz .LBB4_5283
; %bb.4574:                             ;   in Loop: Header=BB4_3089 Depth=1
	v_lshlrev_b32_e32 v11, 5, v113
	v_and_b32_e32 v25, 0x1ff, v50
	v_bfe_u32 v14, v50, 9, 1
	s_mov_b32 s27, exec_lo
	v_sub_nc_u32_e32 v11, v83, v11
	v_cmp_lt_u32_e64 s12, 15, v25
	v_ashrrev_i32_e32 v12, 31, v11
	v_add_co_ci_u32_e64 v14, null, 0, v14, s12
	v_lshrrev_b32_e32 v12, 27, v12
	v_add_nc_u32_e32 v12, v11, v12
	v_and_b32_e32 v13, 0xffffffe0, v12
	v_ashrrev_i32_e32 v12, 5, v12
	v_sub_nc_u32_e32 v24, v11, v13
	v_and_b32_e32 v13, 0x3ff, v50
	v_sub_nc_u32_e32 v68, v14, v12
	v_lshlrev_b32_e32 v11, 4, v24
	v_lshl_add_u32 v11, v12, 9, v11
	v_sub_nc_u32_e32 v69, v13, v11
	v_cmpx_lt_i32_e32 15, v69
	s_cbranch_execz .LBB4_5282
; %bb.4575:                             ;   in Loop: Header=BB4_3089 Depth=1
	s_trap 2
	ds_read_b64 v[12:13], v0
	v_add_nc_u32_e32 v10, v11, v10
	s_bitcmp1_b32 s25, 0
	s_mov_b32 s28, 0
	s_cselect_b32 s29, -1, 0
	v_ashrrev_i32_e32 v11, 31, v10
	v_add_co_u32 v18, vcc_lo, v10, v64
	v_add_co_ci_u32_e64 v19, null, v11, v65, vcc_lo
	s_waitcnt lgkmcnt(0)
	v_add_co_u32 v20, vcc_lo, v12, v10
	v_add_co_ci_u32_e64 v21, null, v13, v11, vcc_lo
	v_add_co_u32 v22, vcc_lo, v10, v66
	v_add_co_ci_u32_e64 v23, null, v11, v67, vcc_lo
	s_branch .LBB4_4579
.LBB4_4576:                             ;   in Loop: Header=BB4_4579 Depth=2
	s_or_b32 exec_lo, exec_lo, s13
	v_lshrrev_b32_e32 v12, 21, v12
	v_min_i32_e32 v13, 31, v11
	v_cmp_gt_i32_e32 vcc_lo, 32, v11
	v_and_b32_sdwa v10, v10, v101 dst_sel:DWORD dst_unused:UNUSED_PAD src0_sel:BYTE_3 src1_sel:DWORD
	v_lshlrev_b32_e32 v13, 2, v13
	v_cndmask_b32_e32 v12, 3, v12, vcc_lo
	v_and_b32_e32 v13, 0xfc, v13
	v_and_b32_e32 v17, 3, v12
	v_or_b32_e32 v11, v11, v12
	v_or3_b32 v10, v10, v13, v17
	v_cmp_ne_u32_e32 vcc_lo, 0, v11
	v_lshlrev_b32_e32 v10, 8, v10
	v_cndmask_b32_e32 v11, 0, v10, vcc_lo
.LBB4_4577:                             ;   in Loop: Header=BB4_4579 Depth=2
	s_or_b32 exec_lo, exec_lo, s41
.LBB4_4578:                             ;   in Loop: Header=BB4_4579 Depth=2
	s_or_b32 exec_lo, exec_lo, s40
	v_or_b32_sdwa v10, v15, v114 dst_sel:WORD_1 dst_unused:UNUSED_PAD src0_sel:DWORD src1_sel:DWORD
	v_or_b32_sdwa v12, v14, v80 dst_sel:WORD_1 dst_unused:UNUSED_PAD src0_sel:DWORD src1_sel:DWORD
	;; [unrolled: 1-line block ×4, first 2 shown]
	v_sub_nc_u32_e32 v69, v69, v97
	v_or3_b32 v11, v113, v81, v10
	v_or3_b32 v10, v71, v70, v12
	;; [unrolled: 1-line block ×4, first 2 shown]
	v_add_co_u32 v18, vcc_lo, v18, v97
	v_add_co_ci_u32_e64 v19, null, 0, v19, vcc_lo
	v_add_co_u32 v20, vcc_lo, v20, v97
	global_store_dwordx4 v[22:23], v[10:13], off glc slc
	v_add_co_ci_u32_e64 v21, null, 0, v21, vcc_lo
	v_cmp_gt_i32_e32 vcc_lo, 16, v69
	v_add_co_u32 v22, s13, v22, v97
	v_add_co_ci_u32_e64 v23, null, 0, v23, s13
	v_sub_nc_u32_e32 v68, v68, v86
	s_or_b32 s28, vcc_lo, s28
	s_andn2_b32 exec_lo, exec_lo, s28
	s_cbranch_execz .LBB4_5281
.LBB4_4579:                             ;   Parent Loop BB4_3089 Depth=1
                                        ; =>  This Inner Loop Header: Depth=2
	global_load_dwordx4 v[10:13], v[20:21], off slc
	global_load_dwordx4 v[14:17], v[18:19], off slc
	s_mov_b32 s13, -1
	s_waitcnt vmcnt(1)
	v_and_b32_e32 v70, 3, v10
	v_bfe_u32 v81, v10, 2, 5
	v_lshlrev_b32_e32 v113, 24, v10
	s_waitcnt vmcnt(0)
	v_cmp_gt_i16_sdwa s40, v14, v100 src0_sel:BYTE_0 src1_sel:DWORD
	v_ffbh_u32_e32 v71, v70
	v_cmp_eq_u32_e32 vcc_lo, 0, v81
	v_min_u32_e32 v71, 32, v71
	v_subrev_nc_u32_e32 v80, 29, v71
	v_sub_nc_u32_e32 v71, 30, v71
	v_lshlrev_b32_e32 v80, v80, v10
	v_cndmask_b32_e32 v71, v81, v71, vcc_lo
	v_and_b32_e32 v80, 3, v80
	v_lshl_add_u32 v71, v71, 23, 0x37800000
	v_cndmask_b32_e32 v70, v70, v80, vcc_lo
	v_and_b32_e32 v80, 0x80000000, v113
	s_and_b32 vcc_lo, exec_lo, s29
	v_lshlrev_b32_e32 v70, 21, v70
	v_or3_b32 v70, v80, v71, v70
                                        ; implicit-def: $vgpr71
	s_cbranch_vccz .LBB4_4593
; %bb.4580:                             ;   in Loop: Header=BB4_4579 Depth=2
	s_mov_b32 s13, 0
	s_and_saveexec_b32 s41, s40
	s_xor_b32 s40, exec_lo, s41
	s_cbranch_execz .LBB4_5153
; %bb.4581:                             ;   in Loop: Header=BB4_4579 Depth=2
	v_cmp_eq_u16_sdwa s42, v14, v101 src0_sel:BYTE_0 src1_sel:DWORD
	s_mov_b32 s13, -1
	s_and_saveexec_b32 s41, s42
; %bb.4582:                             ;   in Loop: Header=BB4_4579 Depth=2
	s_xor_b32 s13, exec_lo, -1
; %bb.4583:                             ;   in Loop: Header=BB4_4579 Depth=2
	s_or_b32 exec_lo, exec_lo, s41
	s_and_b32 s13, s13, exec_lo
	s_or_saveexec_b32 s40, s40
	v_mov_b32_e32 v71, 0x7f800001
	s_xor_b32 exec_lo, exec_lo, s40
	s_cbranch_execnz .LBB4_5154
.LBB4_4584:                             ;   in Loop: Header=BB4_4579 Depth=2
	s_or_b32 exec_lo, exec_lo, s40
	s_and_saveexec_b32 s40, s13
	s_cbranch_execz .LBB4_4586
.LBB4_4585:                             ;   in Loop: Header=BB4_4579 Depth=2
	v_and_b32_e32 v71, 3, v14
	v_bfe_u32 v113, v14, 2, 5
	v_lshlrev_b32_e32 v114, 24, v14
	v_ffbh_u32_e32 v80, v71
	v_cmp_eq_u32_e32 vcc_lo, 0, v113
	v_min_u32_e32 v80, 32, v80
	v_subrev_nc_u32_e32 v81, 29, v80
	v_sub_nc_u32_e32 v80, 30, v80
	v_lshlrev_b32_e32 v81, v81, v14
	v_cndmask_b32_e32 v80, v113, v80, vcc_lo
	v_and_b32_e32 v81, 3, v81
	v_lshl_add_u32 v80, v80, 23, 0x37800000
	v_cndmask_b32_e32 v71, v71, v81, vcc_lo
	v_and_b32_e32 v81, 0x80000000, v114
	v_lshlrev_b32_e32 v71, 21, v71
	v_or3_b32 v71, v81, v80, v71
.LBB4_4586:                             ;   in Loop: Header=BB4_4579 Depth=2
	s_or_b32 exec_lo, exec_lo, s40
	v_cmp_gt_i16_sdwa s40, v10, v100 src0_sel:BYTE_0 src1_sel:DWORD
	s_mov_b32 s13, 0
	s_and_saveexec_b32 s41, s40
	s_xor_b32 s40, exec_lo, s41
	s_cbranch_execz .LBB4_5155
; %bb.4587:                             ;   in Loop: Header=BB4_4579 Depth=2
	v_cmp_eq_u16_sdwa s42, v10, v101 src0_sel:BYTE_0 src1_sel:DWORD
	s_mov_b32 s13, -1
	s_and_saveexec_b32 s41, s42
; %bb.4588:                             ;   in Loop: Header=BB4_4579 Depth=2
	s_xor_b32 s13, exec_lo, -1
; %bb.4589:                             ;   in Loop: Header=BB4_4579 Depth=2
	s_or_b32 exec_lo, exec_lo, s41
	s_and_b32 s13, s13, exec_lo
	s_or_saveexec_b32 s40, s40
	v_mov_b32_e32 v80, 0x7f800001
	s_xor_b32 exec_lo, exec_lo, s40
	s_cbranch_execnz .LBB4_5156
.LBB4_4590:                             ;   in Loop: Header=BB4_4579 Depth=2
	s_or_b32 exec_lo, exec_lo, s40
	s_and_saveexec_b32 s40, s13
.LBB4_4591:                             ;   in Loop: Header=BB4_4579 Depth=2
	v_mov_b32_e32 v80, v70
.LBB4_4592:                             ;   in Loop: Header=BB4_4579 Depth=2
	s_or_b32 exec_lo, exec_lo, s40
	v_max_f32_e32 v80, v80, v80
	v_max_f32_e32 v71, v71, v71
	s_mov_b32 s13, 0
	v_max_f32_e32 v71, v71, v80
.LBB4_4593:                             ;   in Loop: Header=BB4_4579 Depth=2
	s_and_b32 vcc_lo, exec_lo, s13
	s_cbranch_vccz .LBB4_4607
; %bb.4594:                             ;   in Loop: Header=BB4_4579 Depth=2
	v_cmp_gt_i16_sdwa s40, v14, v100 src0_sel:BYTE_0 src1_sel:DWORD
	s_mov_b32 s13, 0
	s_and_saveexec_b32 s41, s40
	s_xor_b32 s40, exec_lo, s41
	s_cbranch_execz .LBB4_5157
; %bb.4595:                             ;   in Loop: Header=BB4_4579 Depth=2
	v_cmp_eq_u16_sdwa s42, v14, v101 src0_sel:BYTE_0 src1_sel:DWORD
	s_mov_b32 s13, -1
	s_and_saveexec_b32 s41, s42
; %bb.4596:                             ;   in Loop: Header=BB4_4579 Depth=2
	s_xor_b32 s13, exec_lo, -1
; %bb.4597:                             ;   in Loop: Header=BB4_4579 Depth=2
	s_or_b32 exec_lo, exec_lo, s41
	s_and_b32 s13, s13, exec_lo
	s_or_saveexec_b32 s40, s40
	v_mov_b32_e32 v71, 0x7f800001
	s_xor_b32 exec_lo, exec_lo, s40
	s_cbranch_execnz .LBB4_5158
.LBB4_4598:                             ;   in Loop: Header=BB4_4579 Depth=2
	s_or_b32 exec_lo, exec_lo, s40
	s_and_saveexec_b32 s40, s13
	s_cbranch_execz .LBB4_4600
.LBB4_4599:                             ;   in Loop: Header=BB4_4579 Depth=2
	v_and_b32_e32 v71, 3, v14
	v_bfe_u32 v113, v14, 2, 5
	v_lshlrev_b32_e32 v114, 24, v14
	v_ffbh_u32_e32 v80, v71
	v_cmp_eq_u32_e32 vcc_lo, 0, v113
	v_min_u32_e32 v80, 32, v80
	v_subrev_nc_u32_e32 v81, 29, v80
	v_sub_nc_u32_e32 v80, 30, v80
	v_lshlrev_b32_e32 v81, v81, v14
	v_cndmask_b32_e32 v80, v113, v80, vcc_lo
	v_and_b32_e32 v81, 3, v81
	v_lshl_add_u32 v80, v80, 23, 0x37800000
	v_cndmask_b32_e32 v71, v71, v81, vcc_lo
	v_and_b32_e32 v81, 0x80000000, v114
	v_lshlrev_b32_e32 v71, 21, v71
	v_or3_b32 v71, v81, v80, v71
.LBB4_4600:                             ;   in Loop: Header=BB4_4579 Depth=2
	s_or_b32 exec_lo, exec_lo, s40
	v_cmp_gt_i16_sdwa s40, v10, v100 src0_sel:BYTE_0 src1_sel:DWORD
	s_mov_b32 s13, 0
	s_and_saveexec_b32 s41, s40
	s_xor_b32 s40, exec_lo, s41
	s_cbranch_execz .LBB4_5159
; %bb.4601:                             ;   in Loop: Header=BB4_4579 Depth=2
	v_cmp_eq_u16_sdwa s42, v10, v101 src0_sel:BYTE_0 src1_sel:DWORD
	s_mov_b32 s13, -1
	s_and_saveexec_b32 s41, s42
; %bb.4602:                             ;   in Loop: Header=BB4_4579 Depth=2
	s_xor_b32 s13, exec_lo, -1
; %bb.4603:                             ;   in Loop: Header=BB4_4579 Depth=2
	s_or_b32 exec_lo, exec_lo, s41
	s_and_b32 s13, s13, exec_lo
	s_or_saveexec_b32 s40, s40
	v_mov_b32_e32 v80, 0x7f800001
	s_xor_b32 exec_lo, exec_lo, s40
	s_cbranch_execnz .LBB4_5160
.LBB4_4604:                             ;   in Loop: Header=BB4_4579 Depth=2
	s_or_b32 exec_lo, exec_lo, s40
	s_and_saveexec_b32 s40, s13
.LBB4_4605:                             ;   in Loop: Header=BB4_4579 Depth=2
	v_mov_b32_e32 v80, v70
.LBB4_4606:                             ;   in Loop: Header=BB4_4579 Depth=2
	s_or_b32 exec_lo, exec_lo, s40
	v_max_f32_e32 v70, v80, v80
	v_max_f32_e32 v71, v71, v71
	v_min_f32_e32 v71, v71, v70
.LBB4_4607:                             ;   in Loop: Header=BB4_4579 Depth=2
	v_and_b32_e32 v70, 0x7f800000, v71
	v_cmp_ne_u32_e32 vcc_lo, 0x7f800000, v70
	v_mov_b32_e32 v70, 0x80
	s_and_saveexec_b32 s40, vcc_lo
	s_cbranch_execz .LBB4_4615
; %bb.4608:                             ;   in Loop: Header=BB4_4579 Depth=2
	v_mov_b32_e32 v70, 0
	s_mov_b32 s41, exec_lo
	v_cmpx_ne_u32_e32 0, v71
	s_cbranch_execz .LBB4_4614
; %bb.4609:                             ;   in Loop: Header=BB4_4579 Depth=2
	v_bfe_u32 v70, v71, 23, 8
	v_and_b32_e32 v80, 0x7fffff, v71
	v_sub_nc_u32_e32 v81, 0x70, v70
	v_cmp_gt_u32_e32 vcc_lo, 0x71, v70
	v_or_b32_e32 v113, 0x800000, v80
	v_cndmask_b32_e32 v81, 0, v81, vcc_lo
	v_cmp_eq_u32_e32 vcc_lo, 0, v70
	v_add_nc_u32_e32 v70, 0xffffff91, v70
	v_cndmask_b32_e64 v81, v81, 0x6f, vcc_lo
	v_cndmask_b32_e32 v80, v113, v80, vcc_lo
	v_cndmask_b32_e64 v70, v70, 0xffffff92, vcc_lo
	v_lshl_add_u32 v113, 0x200000, v81, -1
	v_lshrrev_b32_e32 v114, v81, v80
	v_lshlrev_b32_e64 v116, v81, 0x100000
	v_add_nc_u32_e32 v81, v81, v70
	v_and_b32_e32 v80, v113, v80
	v_bfe_u32 v115, v114, 21, 1
	v_cmp_eq_u32_e64 s13, v80, v116
	v_add_nc_u32_e32 v113, -1, v115
	v_cndmask_b32_e64 v80, 0, v113, s13
	v_lshrrev_b32_e32 v113, 23, v114
	s_mov_b32 s13, exec_lo
	v_add_nc_u32_e32 v80, v80, v114
	v_xor_b32_e32 v113, 1, v113
	v_and_b32_e32 v70, 0x1fffff, v80
	v_add_nc_u32_e32 v80, v70, v114
                                        ; implicit-def: $vgpr70
	v_cmpx_ne_u32_e64 v81, v113
	s_xor_b32 s13, exec_lo, s13
; %bb.4610:                             ;   in Loop: Header=BB4_4579 Depth=2
	v_cmp_lt_u32_e32 vcc_lo, 0xffffff, v80
	v_sub_nc_u32_e32 v70, v81, v113
	v_cndmask_b32_e64 v81, 0, 1, vcc_lo
	v_add_co_ci_u32_e64 v70, null, 0, v70, vcc_lo
	v_lshrrev_b32_e32 v80, v81, v80
; %bb.4611:                             ;   in Loop: Header=BB4_4579 Depth=2
	s_andn2_saveexec_b32 s13, s13
; %bb.4612:                             ;   in Loop: Header=BB4_4579 Depth=2
	v_bfe_u32 v70, v80, 23, 1
; %bb.4613:                             ;   in Loop: Header=BB4_4579 Depth=2
	s_or_b32 exec_lo, exec_lo, s13
	v_lshrrev_b32_e32 v80, 21, v80
	v_min_i32_e32 v81, 31, v70
	v_cmp_gt_i32_e32 vcc_lo, 32, v70
	v_and_b32_sdwa v71, v71, v101 dst_sel:DWORD dst_unused:UNUSED_PAD src0_sel:BYTE_3 src1_sel:DWORD
	v_lshlrev_b32_e32 v81, 2, v81
	v_cndmask_b32_e32 v80, 3, v80, vcc_lo
	v_and_b32_e32 v81, 0xfc, v81
	v_and_b32_e32 v113, 3, v80
	v_or_b32_e32 v70, v70, v80
	v_or3_b32 v71, v81, v71, v113
	v_cmp_ne_u32_e32 vcc_lo, 0, v70
	v_cndmask_b32_e32 v70, 0, v71, vcc_lo
.LBB4_4614:                             ;   in Loop: Header=BB4_4579 Depth=2
	s_or_b32 exec_lo, exec_lo, s41
.LBB4_4615:                             ;   in Loop: Header=BB4_4579 Depth=2
	s_or_b32 exec_lo, exec_lo, s40
	v_and_b32_sdwa v71, v102, v10 dst_sel:DWORD dst_unused:UNUSED_PAD src0_sel:DWORD src1_sel:BYTE_1
	v_cmp_gt_i16_sdwa s40, v14, v100 src0_sel:BYTE_1 src1_sel:DWORD
	s_mov_b32 s13, -1
	v_and_b32_e32 v80, 3, v71
	v_bfe_u32 v114, v71, 2, 5
	v_ffbh_u32_e32 v81, v80
	v_cmp_eq_u32_e32 vcc_lo, 0, v114
	v_min_u32_e32 v81, 32, v81
	v_subrev_nc_u32_e32 v113, 29, v81
	v_sub_nc_u32_e32 v81, 30, v81
	v_lshlrev_b32_e32 v71, v113, v71
	v_lshlrev_b32_sdwa v113, v112, v10 dst_sel:DWORD dst_unused:UNUSED_PAD src0_sel:DWORD src1_sel:BYTE_1
	v_cndmask_b32_e32 v81, v114, v81, vcc_lo
	v_and_b32_e32 v71, 3, v71
	v_lshl_add_u32 v81, v81, 23, 0x37800000
	v_cndmask_b32_e32 v71, v80, v71, vcc_lo
	v_and_b32_e32 v80, 0x80000000, v113
	s_and_b32 vcc_lo, exec_lo, s29
	v_lshlrev_b32_e32 v71, 21, v71
	v_or3_b32 v71, v80, v81, v71
                                        ; implicit-def: $vgpr80
	s_cbranch_vccz .LBB4_4629
; %bb.4616:                             ;   in Loop: Header=BB4_4579 Depth=2
	s_mov_b32 s13, 0
	s_and_saveexec_b32 s41, s40
	s_xor_b32 s40, exec_lo, s41
	s_cbranch_execz .LBB4_5161
; %bb.4617:                             ;   in Loop: Header=BB4_4579 Depth=2
	v_cmp_eq_u16_sdwa s42, v14, v101 src0_sel:BYTE_1 src1_sel:DWORD
	s_mov_b32 s13, -1
	s_and_saveexec_b32 s41, s42
; %bb.4618:                             ;   in Loop: Header=BB4_4579 Depth=2
	s_xor_b32 s13, exec_lo, -1
; %bb.4619:                             ;   in Loop: Header=BB4_4579 Depth=2
	s_or_b32 exec_lo, exec_lo, s41
	s_and_b32 s13, s13, exec_lo
	s_or_saveexec_b32 s40, s40
	v_mov_b32_e32 v80, 0x7f800001
	s_xor_b32 exec_lo, exec_lo, s40
	s_cbranch_execnz .LBB4_5162
.LBB4_4620:                             ;   in Loop: Header=BB4_4579 Depth=2
	s_or_b32 exec_lo, exec_lo, s40
	s_and_saveexec_b32 s40, s13
	s_cbranch_execz .LBB4_4622
.LBB4_4621:                             ;   in Loop: Header=BB4_4579 Depth=2
	v_and_b32_sdwa v80, v102, v14 dst_sel:DWORD dst_unused:UNUSED_PAD src0_sel:DWORD src1_sel:BYTE_1
	v_and_b32_e32 v81, 3, v80
	v_bfe_u32 v115, v80, 2, 5
	v_ffbh_u32_e32 v113, v81
	v_cmp_eq_u32_e32 vcc_lo, 0, v115
	v_min_u32_e32 v113, 32, v113
	v_subrev_nc_u32_e32 v114, 29, v113
	v_sub_nc_u32_e32 v113, 30, v113
	v_lshlrev_b32_e32 v80, v114, v80
	v_lshlrev_b32_e32 v114, 16, v14
	v_cndmask_b32_e32 v113, v115, v113, vcc_lo
	v_and_b32_e32 v80, 3, v80
	v_lshl_add_u32 v113, v113, 23, 0x37800000
	v_cndmask_b32_e32 v80, v81, v80, vcc_lo
	v_and_b32_e32 v81, 0x80000000, v114
	v_lshlrev_b32_e32 v80, 21, v80
	v_or3_b32 v80, v81, v113, v80
.LBB4_4622:                             ;   in Loop: Header=BB4_4579 Depth=2
	s_or_b32 exec_lo, exec_lo, s40
	v_cmp_gt_i16_sdwa s40, v10, v100 src0_sel:BYTE_1 src1_sel:DWORD
	s_mov_b32 s13, 0
	s_and_saveexec_b32 s41, s40
	s_xor_b32 s40, exec_lo, s41
	s_cbranch_execz .LBB4_5163
; %bb.4623:                             ;   in Loop: Header=BB4_4579 Depth=2
	v_cmp_eq_u16_sdwa s42, v10, v101 src0_sel:BYTE_1 src1_sel:DWORD
	s_mov_b32 s13, -1
	s_and_saveexec_b32 s41, s42
; %bb.4624:                             ;   in Loop: Header=BB4_4579 Depth=2
	s_xor_b32 s13, exec_lo, -1
; %bb.4625:                             ;   in Loop: Header=BB4_4579 Depth=2
	s_or_b32 exec_lo, exec_lo, s41
	s_and_b32 s13, s13, exec_lo
	s_or_saveexec_b32 s40, s40
	v_mov_b32_e32 v81, 0x7f800001
	s_xor_b32 exec_lo, exec_lo, s40
	s_cbranch_execnz .LBB4_5164
.LBB4_4626:                             ;   in Loop: Header=BB4_4579 Depth=2
	s_or_b32 exec_lo, exec_lo, s40
	s_and_saveexec_b32 s40, s13
.LBB4_4627:                             ;   in Loop: Header=BB4_4579 Depth=2
	v_mov_b32_e32 v81, v71
.LBB4_4628:                             ;   in Loop: Header=BB4_4579 Depth=2
	s_or_b32 exec_lo, exec_lo, s40
	v_max_f32_e32 v81, v81, v81
	v_max_f32_e32 v80, v80, v80
	s_mov_b32 s13, 0
	v_max_f32_e32 v80, v80, v81
.LBB4_4629:                             ;   in Loop: Header=BB4_4579 Depth=2
	s_and_b32 vcc_lo, exec_lo, s13
	s_cbranch_vccz .LBB4_4643
; %bb.4630:                             ;   in Loop: Header=BB4_4579 Depth=2
	v_cmp_gt_i16_sdwa s40, v14, v100 src0_sel:BYTE_1 src1_sel:DWORD
	s_mov_b32 s13, 0
	s_and_saveexec_b32 s41, s40
	s_xor_b32 s40, exec_lo, s41
	s_cbranch_execz .LBB4_5165
; %bb.4631:                             ;   in Loop: Header=BB4_4579 Depth=2
	v_cmp_eq_u16_sdwa s42, v14, v101 src0_sel:BYTE_1 src1_sel:DWORD
	s_mov_b32 s13, -1
	s_and_saveexec_b32 s41, s42
; %bb.4632:                             ;   in Loop: Header=BB4_4579 Depth=2
	s_xor_b32 s13, exec_lo, -1
; %bb.4633:                             ;   in Loop: Header=BB4_4579 Depth=2
	s_or_b32 exec_lo, exec_lo, s41
	s_and_b32 s13, s13, exec_lo
	s_or_saveexec_b32 s40, s40
	v_mov_b32_e32 v80, 0x7f800001
	s_xor_b32 exec_lo, exec_lo, s40
	s_cbranch_execnz .LBB4_5166
.LBB4_4634:                             ;   in Loop: Header=BB4_4579 Depth=2
	s_or_b32 exec_lo, exec_lo, s40
	s_and_saveexec_b32 s40, s13
	s_cbranch_execz .LBB4_4636
.LBB4_4635:                             ;   in Loop: Header=BB4_4579 Depth=2
	v_and_b32_sdwa v80, v102, v14 dst_sel:DWORD dst_unused:UNUSED_PAD src0_sel:DWORD src1_sel:BYTE_1
	v_and_b32_e32 v81, 3, v80
	v_bfe_u32 v115, v80, 2, 5
	v_ffbh_u32_e32 v113, v81
	v_cmp_eq_u32_e32 vcc_lo, 0, v115
	v_min_u32_e32 v113, 32, v113
	v_subrev_nc_u32_e32 v114, 29, v113
	v_sub_nc_u32_e32 v113, 30, v113
	v_lshlrev_b32_e32 v80, v114, v80
	v_lshlrev_b32_e32 v114, 16, v14
	v_cndmask_b32_e32 v113, v115, v113, vcc_lo
	v_and_b32_e32 v80, 3, v80
	v_lshl_add_u32 v113, v113, 23, 0x37800000
	v_cndmask_b32_e32 v80, v81, v80, vcc_lo
	v_and_b32_e32 v81, 0x80000000, v114
	v_lshlrev_b32_e32 v80, 21, v80
	v_or3_b32 v80, v81, v113, v80
.LBB4_4636:                             ;   in Loop: Header=BB4_4579 Depth=2
	s_or_b32 exec_lo, exec_lo, s40
	v_cmp_gt_i16_sdwa s40, v10, v100 src0_sel:BYTE_1 src1_sel:DWORD
	s_mov_b32 s13, 0
	s_and_saveexec_b32 s41, s40
	s_xor_b32 s40, exec_lo, s41
	s_cbranch_execz .LBB4_5167
; %bb.4637:                             ;   in Loop: Header=BB4_4579 Depth=2
	v_cmp_eq_u16_sdwa s42, v10, v101 src0_sel:BYTE_1 src1_sel:DWORD
	s_mov_b32 s13, -1
	s_and_saveexec_b32 s41, s42
; %bb.4638:                             ;   in Loop: Header=BB4_4579 Depth=2
	s_xor_b32 s13, exec_lo, -1
; %bb.4639:                             ;   in Loop: Header=BB4_4579 Depth=2
	s_or_b32 exec_lo, exec_lo, s41
	s_and_b32 s13, s13, exec_lo
	s_or_saveexec_b32 s40, s40
	v_mov_b32_e32 v81, 0x7f800001
	s_xor_b32 exec_lo, exec_lo, s40
	s_cbranch_execnz .LBB4_5168
.LBB4_4640:                             ;   in Loop: Header=BB4_4579 Depth=2
	s_or_b32 exec_lo, exec_lo, s40
	s_and_saveexec_b32 s40, s13
.LBB4_4641:                             ;   in Loop: Header=BB4_4579 Depth=2
	v_mov_b32_e32 v81, v71
.LBB4_4642:                             ;   in Loop: Header=BB4_4579 Depth=2
	s_or_b32 exec_lo, exec_lo, s40
	v_max_f32_e32 v71, v81, v81
	v_max_f32_e32 v80, v80, v80
	v_min_f32_e32 v80, v80, v71
.LBB4_4643:                             ;   in Loop: Header=BB4_4579 Depth=2
	v_and_b32_e32 v71, 0x7f800000, v80
	v_cmp_ne_u32_e32 vcc_lo, 0x7f800000, v71
	v_mov_b32_e32 v71, 0x8000
	s_and_saveexec_b32 s40, vcc_lo
	s_cbranch_execz .LBB4_4651
; %bb.4644:                             ;   in Loop: Header=BB4_4579 Depth=2
	v_mov_b32_e32 v71, 0
	s_mov_b32 s41, exec_lo
	v_cmpx_ne_u32_e32 0, v80
	s_cbranch_execz .LBB4_4650
; %bb.4645:                             ;   in Loop: Header=BB4_4579 Depth=2
	v_bfe_u32 v71, v80, 23, 8
	v_and_b32_e32 v81, 0x7fffff, v80
	v_sub_nc_u32_e32 v113, 0x70, v71
	v_cmp_gt_u32_e32 vcc_lo, 0x71, v71
	v_or_b32_e32 v114, 0x800000, v81
	v_cndmask_b32_e32 v113, 0, v113, vcc_lo
	v_cmp_eq_u32_e32 vcc_lo, 0, v71
	v_add_nc_u32_e32 v71, 0xffffff91, v71
	v_cndmask_b32_e64 v113, v113, 0x6f, vcc_lo
	v_cndmask_b32_e32 v81, v114, v81, vcc_lo
	v_cndmask_b32_e64 v71, v71, 0xffffff92, vcc_lo
	v_lshl_add_u32 v114, 0x200000, v113, -1
	v_lshrrev_b32_e32 v115, v113, v81
	v_lshlrev_b32_e64 v117, v113, 0x100000
	v_add_nc_u32_e32 v113, v113, v71
	v_and_b32_e32 v81, v114, v81
	v_bfe_u32 v116, v115, 21, 1
	v_cmp_eq_u32_e64 s13, v81, v117
	v_add_nc_u32_e32 v114, -1, v116
	v_cndmask_b32_e64 v81, 0, v114, s13
	v_lshrrev_b32_e32 v114, 23, v115
	s_mov_b32 s13, exec_lo
	v_add_nc_u32_e32 v81, v81, v115
	v_xor_b32_e32 v114, 1, v114
	v_and_b32_e32 v71, 0x1fffff, v81
	v_add_nc_u32_e32 v81, v71, v115
                                        ; implicit-def: $vgpr71
	v_cmpx_ne_u32_e64 v113, v114
	s_xor_b32 s13, exec_lo, s13
; %bb.4646:                             ;   in Loop: Header=BB4_4579 Depth=2
	v_cmp_lt_u32_e32 vcc_lo, 0xffffff, v81
	v_sub_nc_u32_e32 v71, v113, v114
	v_cndmask_b32_e64 v113, 0, 1, vcc_lo
	v_add_co_ci_u32_e64 v71, null, 0, v71, vcc_lo
	v_lshrrev_b32_e32 v81, v113, v81
; %bb.4647:                             ;   in Loop: Header=BB4_4579 Depth=2
	s_andn2_saveexec_b32 s13, s13
; %bb.4648:                             ;   in Loop: Header=BB4_4579 Depth=2
	v_bfe_u32 v71, v81, 23, 1
; %bb.4649:                             ;   in Loop: Header=BB4_4579 Depth=2
	s_or_b32 exec_lo, exec_lo, s13
	v_lshrrev_b32_e32 v81, 21, v81
	v_min_i32_e32 v113, 31, v71
	v_cmp_gt_i32_e32 vcc_lo, 32, v71
	v_and_b32_sdwa v80, v80, v101 dst_sel:DWORD dst_unused:UNUSED_PAD src0_sel:BYTE_3 src1_sel:DWORD
	v_lshlrev_b32_e32 v113, 2, v113
	v_cndmask_b32_e32 v81, 3, v81, vcc_lo
	v_and_b32_e32 v113, 0xfc, v113
	v_and_b32_e32 v114, 3, v81
	v_or_b32_e32 v71, v71, v81
	v_or3_b32 v80, v80, v113, v114
	v_cmp_ne_u32_e32 vcc_lo, 0, v71
	v_lshlrev_b32_e32 v80, 8, v80
	v_cndmask_b32_e32 v71, 0, v80, vcc_lo
.LBB4_4650:                             ;   in Loop: Header=BB4_4579 Depth=2
	s_or_b32 exec_lo, exec_lo, s41
.LBB4_4651:                             ;   in Loop: Header=BB4_4579 Depth=2
	s_or_b32 exec_lo, exec_lo, s40
	v_bfe_u32 v80, v10, 16, 2
	v_bfe_u32 v114, v10, 18, 5
	v_lshlrev_b32_e32 v115, 8, v10
	s_mov_b32 s40, -1
	v_ffbh_u32_e32 v81, v80
	v_cmp_eq_u32_e32 vcc_lo, 0, v114
	v_min_u32_e32 v81, 32, v81
	v_subrev_nc_u32_e32 v113, 29, v81
	v_sub_nc_u32_e32 v81, 30, v81
	v_lshlrev_b32_sdwa v113, v113, v10 dst_sel:DWORD dst_unused:UNUSED_PAD src0_sel:DWORD src1_sel:WORD_1
	v_cndmask_b32_e32 v81, v114, v81, vcc_lo
	v_and_b32_e32 v113, 3, v113
	v_lshl_add_u32 v114, v81, 23, 0x37800000
	v_and_b32_sdwa v81, v14, v103 dst_sel:DWORD dst_unused:UNUSED_PAD src0_sel:WORD_1 src1_sel:DWORD
	v_cndmask_b32_e32 v80, v80, v113, vcc_lo
	v_and_b32_e32 v113, 0x80000000, v115
	v_cmp_lt_i16_e64 s13, 0x7f, v81
	s_and_b32 vcc_lo, exec_lo, s29
	v_lshlrev_b32_e32 v80, 21, v80
	v_or3_b32 v80, v113, v114, v80
                                        ; implicit-def: $vgpr113
	s_cbranch_vccz .LBB4_4665
; %bb.4652:                             ;   in Loop: Header=BB4_4579 Depth=2
	s_mov_b32 s40, 0
	s_and_saveexec_b32 s41, s13
	s_xor_b32 s13, exec_lo, s41
	s_cbranch_execz .LBB4_5169
; %bb.4653:                             ;   in Loop: Header=BB4_4579 Depth=2
	s_mov_b32 s40, -1
	s_mov_b32 s41, exec_lo
	v_cmpx_eq_u16_e32 0x80, v81
; %bb.4654:                             ;   in Loop: Header=BB4_4579 Depth=2
	s_xor_b32 s40, exec_lo, -1
; %bb.4655:                             ;   in Loop: Header=BB4_4579 Depth=2
	s_or_b32 exec_lo, exec_lo, s41
	s_and_b32 s40, s40, exec_lo
	s_or_saveexec_b32 s13, s13
	v_mov_b32_e32 v113, 0x7f800001
	s_xor_b32 exec_lo, exec_lo, s13
	s_cbranch_execnz .LBB4_5170
.LBB4_4656:                             ;   in Loop: Header=BB4_4579 Depth=2
	s_or_b32 exec_lo, exec_lo, s13
	s_and_saveexec_b32 s13, s40
	s_cbranch_execz .LBB4_4658
.LBB4_4657:                             ;   in Loop: Header=BB4_4579 Depth=2
	v_bfe_u32 v113, v14, 16, 2
	v_bfe_u32 v116, v14, 18, 5
	v_lshlrev_b32_sdwa v117, v112, v14 dst_sel:DWORD dst_unused:UNUSED_PAD src0_sel:DWORD src1_sel:WORD_1
	v_ffbh_u32_e32 v114, v113
	v_cmp_eq_u32_e32 vcc_lo, 0, v116
	v_min_u32_e32 v114, 32, v114
	v_subrev_nc_u32_e32 v115, 29, v114
	v_sub_nc_u32_e32 v114, 30, v114
	v_lshlrev_b32_sdwa v115, v115, v14 dst_sel:DWORD dst_unused:UNUSED_PAD src0_sel:DWORD src1_sel:WORD_1
	v_cndmask_b32_e32 v114, v116, v114, vcc_lo
	v_and_b32_e32 v115, 3, v115
	v_lshl_add_u32 v114, v114, 23, 0x37800000
	v_cndmask_b32_e32 v113, v113, v115, vcc_lo
	v_and_b32_e32 v115, 0x80000000, v117
	v_lshlrev_b32_e32 v113, 21, v113
	v_or3_b32 v113, v115, v114, v113
.LBB4_4658:                             ;   in Loop: Header=BB4_4579 Depth=2
	s_or_b32 exec_lo, exec_lo, s13
	v_and_b32_sdwa v115, v10, v103 dst_sel:DWORD dst_unused:UNUSED_PAD src0_sel:WORD_1 src1_sel:DWORD
	s_mov_b32 s13, 0
	s_mov_b32 s40, exec_lo
	v_cmpx_lt_i16_e32 0x7f, v115
	s_xor_b32 s40, exec_lo, s40
	s_cbranch_execz .LBB4_5171
; %bb.4659:                             ;   in Loop: Header=BB4_4579 Depth=2
	s_mov_b32 s13, -1
	s_mov_b32 s41, exec_lo
	v_cmpx_eq_u16_e32 0x80, v115
; %bb.4660:                             ;   in Loop: Header=BB4_4579 Depth=2
	s_xor_b32 s13, exec_lo, -1
; %bb.4661:                             ;   in Loop: Header=BB4_4579 Depth=2
	s_or_b32 exec_lo, exec_lo, s41
	s_and_b32 s13, s13, exec_lo
                                        ; implicit-def: $vgpr115
	s_or_saveexec_b32 s40, s40
	v_mov_b32_e32 v114, 0x7f800001
	s_xor_b32 exec_lo, exec_lo, s40
	s_cbranch_execnz .LBB4_5172
.LBB4_4662:                             ;   in Loop: Header=BB4_4579 Depth=2
	s_or_b32 exec_lo, exec_lo, s40
	s_and_saveexec_b32 s40, s13
.LBB4_4663:                             ;   in Loop: Header=BB4_4579 Depth=2
	v_mov_b32_e32 v114, v80
.LBB4_4664:                             ;   in Loop: Header=BB4_4579 Depth=2
	s_or_b32 exec_lo, exec_lo, s40
	v_max_f32_e32 v114, v114, v114
	v_max_f32_e32 v113, v113, v113
	s_mov_b32 s40, 0
	v_max_f32_e32 v113, v113, v114
.LBB4_4665:                             ;   in Loop: Header=BB4_4579 Depth=2
	s_and_b32 vcc_lo, exec_lo, s40
	s_cbranch_vccz .LBB4_4679
; %bb.4666:                             ;   in Loop: Header=BB4_4579 Depth=2
	s_mov_b32 s13, 0
	s_mov_b32 s40, exec_lo
	v_cmpx_lt_i16_e32 0x7f, v81
	s_xor_b32 s40, exec_lo, s40
	s_cbranch_execz .LBB4_5173
; %bb.4667:                             ;   in Loop: Header=BB4_4579 Depth=2
	s_mov_b32 s13, -1
	s_mov_b32 s41, exec_lo
	v_cmpx_eq_u16_e32 0x80, v81
; %bb.4668:                             ;   in Loop: Header=BB4_4579 Depth=2
	s_xor_b32 s13, exec_lo, -1
; %bb.4669:                             ;   in Loop: Header=BB4_4579 Depth=2
	s_or_b32 exec_lo, exec_lo, s41
	s_and_b32 s13, s13, exec_lo
                                        ; implicit-def: $vgpr81
	s_or_saveexec_b32 s40, s40
	v_mov_b32_e32 v113, 0x7f800001
	s_xor_b32 exec_lo, exec_lo, s40
	s_cbranch_execnz .LBB4_5174
.LBB4_4670:                             ;   in Loop: Header=BB4_4579 Depth=2
	s_or_b32 exec_lo, exec_lo, s40
	s_and_saveexec_b32 s40, s13
	s_cbranch_execz .LBB4_4672
.LBB4_4671:                             ;   in Loop: Header=BB4_4579 Depth=2
	v_bfe_u32 v81, v14, 16, 2
	v_bfe_u32 v115, v14, 18, 5
	v_lshlrev_b32_sdwa v116, v112, v14 dst_sel:DWORD dst_unused:UNUSED_PAD src0_sel:DWORD src1_sel:WORD_1
	v_ffbh_u32_e32 v113, v81
	v_cmp_eq_u32_e32 vcc_lo, 0, v115
	v_min_u32_e32 v113, 32, v113
	v_subrev_nc_u32_e32 v114, 29, v113
	v_sub_nc_u32_e32 v113, 30, v113
	v_lshlrev_b32_sdwa v114, v114, v14 dst_sel:DWORD dst_unused:UNUSED_PAD src0_sel:DWORD src1_sel:WORD_1
	v_cndmask_b32_e32 v113, v115, v113, vcc_lo
	v_and_b32_e32 v114, 3, v114
	v_lshl_add_u32 v113, v113, 23, 0x37800000
	v_cndmask_b32_e32 v81, v81, v114, vcc_lo
	v_and_b32_e32 v114, 0x80000000, v116
	v_lshlrev_b32_e32 v81, 21, v81
	v_or3_b32 v113, v114, v113, v81
.LBB4_4672:                             ;   in Loop: Header=BB4_4579 Depth=2
	s_or_b32 exec_lo, exec_lo, s40
	v_and_b32_sdwa v114, v10, v103 dst_sel:DWORD dst_unused:UNUSED_PAD src0_sel:WORD_1 src1_sel:DWORD
	s_mov_b32 s13, 0
	s_mov_b32 s40, exec_lo
	v_cmpx_lt_i16_e32 0x7f, v114
	s_xor_b32 s40, exec_lo, s40
	s_cbranch_execz .LBB4_5175
; %bb.4673:                             ;   in Loop: Header=BB4_4579 Depth=2
	s_mov_b32 s13, -1
	s_mov_b32 s41, exec_lo
	v_cmpx_eq_u16_e32 0x80, v114
; %bb.4674:                             ;   in Loop: Header=BB4_4579 Depth=2
	s_xor_b32 s13, exec_lo, -1
; %bb.4675:                             ;   in Loop: Header=BB4_4579 Depth=2
	s_or_b32 exec_lo, exec_lo, s41
	s_and_b32 s13, s13, exec_lo
                                        ; implicit-def: $vgpr114
	s_or_saveexec_b32 s40, s40
	v_mov_b32_e32 v81, 0x7f800001
	s_xor_b32 exec_lo, exec_lo, s40
	s_cbranch_execnz .LBB4_5176
.LBB4_4676:                             ;   in Loop: Header=BB4_4579 Depth=2
	s_or_b32 exec_lo, exec_lo, s40
	s_and_saveexec_b32 s40, s13
.LBB4_4677:                             ;   in Loop: Header=BB4_4579 Depth=2
	v_mov_b32_e32 v81, v80
.LBB4_4678:                             ;   in Loop: Header=BB4_4579 Depth=2
	s_or_b32 exec_lo, exec_lo, s40
	v_max_f32_e32 v80, v81, v81
	v_max_f32_e32 v81, v113, v113
	v_min_f32_e32 v113, v81, v80
.LBB4_4679:                             ;   in Loop: Header=BB4_4579 Depth=2
	v_and_b32_e32 v80, 0x7f800000, v113
	v_cmp_ne_u32_e32 vcc_lo, 0x7f800000, v80
	v_mov_b32_e32 v80, 0x80
	s_and_saveexec_b32 s40, vcc_lo
	s_cbranch_execz .LBB4_4687
; %bb.4680:                             ;   in Loop: Header=BB4_4579 Depth=2
	v_mov_b32_e32 v80, 0
	s_mov_b32 s41, exec_lo
	v_cmpx_ne_u32_e32 0, v113
	s_cbranch_execz .LBB4_4686
; %bb.4681:                             ;   in Loop: Header=BB4_4579 Depth=2
	v_bfe_u32 v80, v113, 23, 8
	v_and_b32_e32 v81, 0x7fffff, v113
	v_sub_nc_u32_e32 v114, 0x70, v80
	v_cmp_gt_u32_e32 vcc_lo, 0x71, v80
	v_or_b32_e32 v115, 0x800000, v81
	v_cndmask_b32_e32 v114, 0, v114, vcc_lo
	v_cmp_eq_u32_e32 vcc_lo, 0, v80
	v_add_nc_u32_e32 v80, 0xffffff91, v80
	v_cndmask_b32_e64 v114, v114, 0x6f, vcc_lo
	v_cndmask_b32_e32 v81, v115, v81, vcc_lo
	v_cndmask_b32_e64 v80, v80, 0xffffff92, vcc_lo
	v_lshl_add_u32 v115, 0x200000, v114, -1
	v_lshrrev_b32_e32 v116, v114, v81
	v_lshlrev_b32_e64 v118, v114, 0x100000
	v_add_nc_u32_e32 v114, v114, v80
	v_and_b32_e32 v81, v115, v81
	v_bfe_u32 v117, v116, 21, 1
	v_cmp_eq_u32_e64 s13, v81, v118
	v_add_nc_u32_e32 v115, -1, v117
	v_cndmask_b32_e64 v81, 0, v115, s13
	v_lshrrev_b32_e32 v115, 23, v116
	s_mov_b32 s13, exec_lo
	v_add_nc_u32_e32 v81, v81, v116
	v_xor_b32_e32 v115, 1, v115
	v_and_b32_e32 v80, 0x1fffff, v81
	v_add_nc_u32_e32 v81, v80, v116
                                        ; implicit-def: $vgpr80
	v_cmpx_ne_u32_e64 v114, v115
	s_xor_b32 s13, exec_lo, s13
; %bb.4682:                             ;   in Loop: Header=BB4_4579 Depth=2
	v_cmp_lt_u32_e32 vcc_lo, 0xffffff, v81
	v_sub_nc_u32_e32 v80, v114, v115
	v_cndmask_b32_e64 v114, 0, 1, vcc_lo
	v_add_co_ci_u32_e64 v80, null, 0, v80, vcc_lo
	v_lshrrev_b32_e32 v81, v114, v81
; %bb.4683:                             ;   in Loop: Header=BB4_4579 Depth=2
	s_andn2_saveexec_b32 s13, s13
; %bb.4684:                             ;   in Loop: Header=BB4_4579 Depth=2
	v_bfe_u32 v80, v81, 23, 1
; %bb.4685:                             ;   in Loop: Header=BB4_4579 Depth=2
	s_or_b32 exec_lo, exec_lo, s13
	v_lshrrev_b32_e32 v81, 21, v81
	v_min_i32_e32 v114, 31, v80
	v_cmp_gt_i32_e32 vcc_lo, 32, v80
	v_and_b32_sdwa v113, v113, v101 dst_sel:DWORD dst_unused:UNUSED_PAD src0_sel:BYTE_3 src1_sel:DWORD
	v_lshlrev_b32_e32 v114, 2, v114
	v_cndmask_b32_e32 v81, 3, v81, vcc_lo
	v_and_b32_e32 v114, 0xfc, v114
	v_and_b32_e32 v115, 3, v81
	v_or_b32_e32 v80, v80, v81
	v_or3_b32 v81, v114, v113, v115
	v_cmp_ne_u32_e32 vcc_lo, 0, v80
	v_cndmask_b32_e32 v80, 0, v81, vcc_lo
.LBB4_4686:                             ;   in Loop: Header=BB4_4579 Depth=2
	s_or_b32 exec_lo, exec_lo, s41
.LBB4_4687:                             ;   in Loop: Header=BB4_4579 Depth=2
	s_or_b32 exec_lo, exec_lo, s40
	v_bfe_u32 v81, v10, 24, 2
	v_bfe_u32 v115, v10, 26, 5
	v_cmp_gt_i16_sdwa s40, v14, v100 src0_sel:BYTE_3 src1_sel:DWORD
	s_mov_b32 s13, -1
	v_ffbh_u32_e32 v113, v81
	v_cmp_eq_u32_e32 vcc_lo, 0, v115
	v_min_u32_e32 v113, 32, v113
	v_subrev_nc_u32_e32 v114, 29, v113
	v_sub_nc_u32_e32 v113, 30, v113
	v_lshlrev_b32_sdwa v114, v114, v10 dst_sel:DWORD dst_unused:UNUSED_PAD src0_sel:DWORD src1_sel:BYTE_3
	v_cndmask_b32_e32 v113, v115, v113, vcc_lo
	v_and_b32_e32 v114, 3, v114
	v_lshl_add_u32 v113, v113, 23, 0x37800000
	v_cndmask_b32_e32 v81, v81, v114, vcc_lo
	v_and_b32_e32 v114, 0x80000000, v10
	s_and_b32 vcc_lo, exec_lo, s29
	v_lshlrev_b32_e32 v81, 21, v81
	v_or3_b32 v81, v114, v113, v81
                                        ; implicit-def: $vgpr113
	s_cbranch_vccz .LBB4_4701
; %bb.4688:                             ;   in Loop: Header=BB4_4579 Depth=2
	s_mov_b32 s13, 0
	s_and_saveexec_b32 s41, s40
	s_xor_b32 s40, exec_lo, s41
	s_cbranch_execz .LBB4_5177
; %bb.4689:                             ;   in Loop: Header=BB4_4579 Depth=2
	v_cmp_eq_u16_sdwa s42, v14, v101 src0_sel:BYTE_3 src1_sel:DWORD
	s_mov_b32 s13, -1
	s_and_saveexec_b32 s41, s42
; %bb.4690:                             ;   in Loop: Header=BB4_4579 Depth=2
	s_xor_b32 s13, exec_lo, -1
; %bb.4691:                             ;   in Loop: Header=BB4_4579 Depth=2
	s_or_b32 exec_lo, exec_lo, s41
	s_and_b32 s13, s13, exec_lo
	s_or_saveexec_b32 s40, s40
	v_mov_b32_e32 v113, 0x7f800001
	s_xor_b32 exec_lo, exec_lo, s40
	s_cbranch_execnz .LBB4_5178
.LBB4_4692:                             ;   in Loop: Header=BB4_4579 Depth=2
	s_or_b32 exec_lo, exec_lo, s40
	s_and_saveexec_b32 s40, s13
	s_cbranch_execz .LBB4_4694
.LBB4_4693:                             ;   in Loop: Header=BB4_4579 Depth=2
	v_bfe_u32 v113, v14, 24, 2
	v_bfe_u32 v116, v14, 26, 5
	v_ffbh_u32_e32 v114, v113
	v_cmp_eq_u32_e32 vcc_lo, 0, v116
	v_min_u32_e32 v114, 32, v114
	v_subrev_nc_u32_e32 v115, 29, v114
	v_sub_nc_u32_e32 v114, 30, v114
	v_lshlrev_b32_sdwa v115, v115, v14 dst_sel:DWORD dst_unused:UNUSED_PAD src0_sel:DWORD src1_sel:BYTE_3
	v_cndmask_b32_e32 v114, v116, v114, vcc_lo
	v_and_b32_e32 v115, 3, v115
	v_lshl_add_u32 v114, v114, 23, 0x37800000
	v_cndmask_b32_e32 v113, v113, v115, vcc_lo
	v_and_b32_e32 v115, 0x80000000, v14
	v_lshlrev_b32_e32 v113, 21, v113
	v_or3_b32 v113, v115, v114, v113
.LBB4_4694:                             ;   in Loop: Header=BB4_4579 Depth=2
	s_or_b32 exec_lo, exec_lo, s40
	v_cmp_gt_i16_sdwa s40, v10, v100 src0_sel:BYTE_3 src1_sel:DWORD
	s_mov_b32 s13, 0
	s_and_saveexec_b32 s41, s40
	s_xor_b32 s40, exec_lo, s41
	s_cbranch_execz .LBB4_5179
; %bb.4695:                             ;   in Loop: Header=BB4_4579 Depth=2
	v_cmp_eq_u16_sdwa s42, v10, v101 src0_sel:BYTE_3 src1_sel:DWORD
	s_mov_b32 s13, -1
	s_and_saveexec_b32 s41, s42
; %bb.4696:                             ;   in Loop: Header=BB4_4579 Depth=2
	s_xor_b32 s13, exec_lo, -1
; %bb.4697:                             ;   in Loop: Header=BB4_4579 Depth=2
	s_or_b32 exec_lo, exec_lo, s41
	s_and_b32 s13, s13, exec_lo
	s_or_saveexec_b32 s40, s40
	v_mov_b32_e32 v114, 0x7f800001
	s_xor_b32 exec_lo, exec_lo, s40
	s_cbranch_execnz .LBB4_5180
.LBB4_4698:                             ;   in Loop: Header=BB4_4579 Depth=2
	s_or_b32 exec_lo, exec_lo, s40
	s_and_saveexec_b32 s40, s13
.LBB4_4699:                             ;   in Loop: Header=BB4_4579 Depth=2
	v_mov_b32_e32 v114, v81
.LBB4_4700:                             ;   in Loop: Header=BB4_4579 Depth=2
	s_or_b32 exec_lo, exec_lo, s40
	v_max_f32_e32 v114, v114, v114
	v_max_f32_e32 v113, v113, v113
	s_mov_b32 s13, 0
	v_max_f32_e32 v113, v113, v114
.LBB4_4701:                             ;   in Loop: Header=BB4_4579 Depth=2
	s_and_b32 vcc_lo, exec_lo, s13
	s_cbranch_vccz .LBB4_4715
; %bb.4702:                             ;   in Loop: Header=BB4_4579 Depth=2
	v_cmp_gt_i16_sdwa s40, v14, v100 src0_sel:BYTE_3 src1_sel:DWORD
	s_mov_b32 s13, 0
	s_and_saveexec_b32 s41, s40
	s_xor_b32 s40, exec_lo, s41
	s_cbranch_execz .LBB4_5181
; %bb.4703:                             ;   in Loop: Header=BB4_4579 Depth=2
	v_cmp_eq_u16_sdwa s42, v14, v101 src0_sel:BYTE_3 src1_sel:DWORD
	s_mov_b32 s13, -1
	s_and_saveexec_b32 s41, s42
; %bb.4704:                             ;   in Loop: Header=BB4_4579 Depth=2
	s_xor_b32 s13, exec_lo, -1
; %bb.4705:                             ;   in Loop: Header=BB4_4579 Depth=2
	s_or_b32 exec_lo, exec_lo, s41
	s_and_b32 s13, s13, exec_lo
	s_or_saveexec_b32 s40, s40
	v_mov_b32_e32 v113, 0x7f800001
	s_xor_b32 exec_lo, exec_lo, s40
	s_cbranch_execnz .LBB4_5182
.LBB4_4706:                             ;   in Loop: Header=BB4_4579 Depth=2
	s_or_b32 exec_lo, exec_lo, s40
	s_and_saveexec_b32 s40, s13
	s_cbranch_execz .LBB4_4708
.LBB4_4707:                             ;   in Loop: Header=BB4_4579 Depth=2
	v_bfe_u32 v113, v14, 24, 2
	v_bfe_u32 v116, v14, 26, 5
	v_ffbh_u32_e32 v114, v113
	v_cmp_eq_u32_e32 vcc_lo, 0, v116
	v_min_u32_e32 v114, 32, v114
	v_subrev_nc_u32_e32 v115, 29, v114
	v_sub_nc_u32_e32 v114, 30, v114
	v_lshlrev_b32_sdwa v115, v115, v14 dst_sel:DWORD dst_unused:UNUSED_PAD src0_sel:DWORD src1_sel:BYTE_3
	v_cndmask_b32_e32 v114, v116, v114, vcc_lo
	v_and_b32_e32 v14, 0x80000000, v14
	v_and_b32_e32 v115, 3, v115
	v_lshl_add_u32 v114, v114, 23, 0x37800000
	v_cndmask_b32_e32 v113, v113, v115, vcc_lo
	v_lshlrev_b32_e32 v113, 21, v113
	v_or3_b32 v113, v14, v114, v113
.LBB4_4708:                             ;   in Loop: Header=BB4_4579 Depth=2
	s_or_b32 exec_lo, exec_lo, s40
	v_cmp_gt_i16_sdwa s40, v10, v100 src0_sel:BYTE_3 src1_sel:DWORD
	s_mov_b32 s13, 0
	s_and_saveexec_b32 s41, s40
	s_xor_b32 s40, exec_lo, s41
	s_cbranch_execz .LBB4_5183
; %bb.4709:                             ;   in Loop: Header=BB4_4579 Depth=2
	v_cmp_eq_u16_sdwa s42, v10, v101 src0_sel:BYTE_3 src1_sel:DWORD
	s_mov_b32 s13, -1
	s_and_saveexec_b32 s41, s42
; %bb.4710:                             ;   in Loop: Header=BB4_4579 Depth=2
	s_xor_b32 s13, exec_lo, -1
; %bb.4711:                             ;   in Loop: Header=BB4_4579 Depth=2
	s_or_b32 exec_lo, exec_lo, s41
	s_and_b32 s13, s13, exec_lo
	s_or_saveexec_b32 s40, s40
	v_mov_b32_e32 v14, 0x7f800001
	s_xor_b32 exec_lo, exec_lo, s40
	s_cbranch_execnz .LBB4_5184
.LBB4_4712:                             ;   in Loop: Header=BB4_4579 Depth=2
	s_or_b32 exec_lo, exec_lo, s40
	s_and_saveexec_b32 s40, s13
.LBB4_4713:                             ;   in Loop: Header=BB4_4579 Depth=2
	v_mov_b32_e32 v14, v81
.LBB4_4714:                             ;   in Loop: Header=BB4_4579 Depth=2
	s_or_b32 exec_lo, exec_lo, s40
	v_max_f32_e32 v10, v14, v14
	v_max_f32_e32 v14, v113, v113
	v_min_f32_e32 v113, v14, v10
.LBB4_4715:                             ;   in Loop: Header=BB4_4579 Depth=2
	v_and_b32_e32 v10, 0x7f800000, v113
	v_mov_b32_e32 v14, 0x8000
	s_mov_b32 s40, exec_lo
	v_cmpx_ne_u32_e32 0x7f800000, v10
	s_cbranch_execz .LBB4_4723
; %bb.4716:                             ;   in Loop: Header=BB4_4579 Depth=2
	v_mov_b32_e32 v14, 0
	s_mov_b32 s41, exec_lo
	v_cmpx_ne_u32_e32 0, v113
	s_cbranch_execz .LBB4_4722
; %bb.4717:                             ;   in Loop: Header=BB4_4579 Depth=2
	v_bfe_u32 v10, v113, 23, 8
	v_and_b32_e32 v14, 0x7fffff, v113
	v_sub_nc_u32_e32 v81, 0x70, v10
	v_cmp_gt_u32_e32 vcc_lo, 0x71, v10
	v_or_b32_e32 v114, 0x800000, v14
	v_cndmask_b32_e32 v81, 0, v81, vcc_lo
	v_cmp_eq_u32_e32 vcc_lo, 0, v10
	v_add_nc_u32_e32 v10, 0xffffff91, v10
	v_cndmask_b32_e64 v81, v81, 0x6f, vcc_lo
	v_cndmask_b32_e32 v14, v114, v14, vcc_lo
	v_cndmask_b32_e64 v10, v10, 0xffffff92, vcc_lo
	v_lshl_add_u32 v114, 0x200000, v81, -1
	v_lshrrev_b32_e32 v115, v81, v14
	v_lshlrev_b32_e64 v117, v81, 0x100000
	v_add_nc_u32_e32 v81, v81, v10
	v_and_b32_e32 v14, v114, v14
	v_bfe_u32 v116, v115, 21, 1
	v_cmp_eq_u32_e64 s13, v14, v117
	v_add_nc_u32_e32 v114, -1, v116
	v_cndmask_b32_e64 v14, 0, v114, s13
	v_lshrrev_b32_e32 v114, 23, v115
	s_mov_b32 s13, exec_lo
	v_add_nc_u32_e32 v14, v14, v115
	v_xor_b32_e32 v114, 1, v114
	v_and_b32_e32 v10, 0x1fffff, v14
	v_add_nc_u32_e32 v14, v10, v115
                                        ; implicit-def: $vgpr10
	v_cmpx_ne_u32_e64 v81, v114
	s_xor_b32 s13, exec_lo, s13
; %bb.4718:                             ;   in Loop: Header=BB4_4579 Depth=2
	v_cmp_lt_u32_e32 vcc_lo, 0xffffff, v14
	v_sub_nc_u32_e32 v10, v81, v114
	v_cndmask_b32_e64 v81, 0, 1, vcc_lo
	v_add_co_ci_u32_e64 v10, null, 0, v10, vcc_lo
	v_lshrrev_b32_e32 v14, v81, v14
; %bb.4719:                             ;   in Loop: Header=BB4_4579 Depth=2
	s_andn2_saveexec_b32 s13, s13
; %bb.4720:                             ;   in Loop: Header=BB4_4579 Depth=2
	v_bfe_u32 v10, v14, 23, 1
; %bb.4721:                             ;   in Loop: Header=BB4_4579 Depth=2
	s_or_b32 exec_lo, exec_lo, s13
	v_lshrrev_b32_e32 v14, 21, v14
	v_min_i32_e32 v81, 31, v10
	v_cmp_gt_i32_e32 vcc_lo, 32, v10
	v_and_b32_sdwa v113, v113, v101 dst_sel:DWORD dst_unused:UNUSED_PAD src0_sel:BYTE_3 src1_sel:DWORD
	v_lshlrev_b32_e32 v81, 2, v81
	v_cndmask_b32_e32 v14, 3, v14, vcc_lo
	v_and_b32_e32 v81, 0xfc, v81
	v_and_b32_e32 v114, 3, v14
	v_or_b32_e32 v10, v10, v14
	v_or3_b32 v81, v113, v81, v114
	v_cmp_ne_u32_e32 vcc_lo, 0, v10
	v_lshlrev_b32_e32 v14, 8, v81
	v_cndmask_b32_e32 v14, 0, v14, vcc_lo
.LBB4_4722:                             ;   in Loop: Header=BB4_4579 Depth=2
	s_or_b32 exec_lo, exec_lo, s41
.LBB4_4723:                             ;   in Loop: Header=BB4_4579 Depth=2
	s_or_b32 exec_lo, exec_lo, s40
	v_and_b32_e32 v10, 3, v11
	v_bfe_u32 v114, v11, 2, 5
	v_lshlrev_b32_e32 v115, 24, v11
	v_cmp_gt_i16_sdwa s40, v15, v100 src0_sel:BYTE_0 src1_sel:DWORD
	s_mov_b32 s13, -1
	v_ffbh_u32_e32 v81, v10
	v_cmp_eq_u32_e32 vcc_lo, 0, v114
	v_min_u32_e32 v81, 32, v81
	v_subrev_nc_u32_e32 v113, 29, v81
	v_sub_nc_u32_e32 v81, 30, v81
	v_lshlrev_b32_e32 v113, v113, v11
	v_cndmask_b32_e32 v81, v114, v81, vcc_lo
	v_and_b32_e32 v113, 3, v113
	v_lshl_add_u32 v81, v81, 23, 0x37800000
	v_cndmask_b32_e32 v10, v10, v113, vcc_lo
	v_and_b32_e32 v113, 0x80000000, v115
	s_and_b32 vcc_lo, exec_lo, s29
	v_lshlrev_b32_e32 v10, 21, v10
	v_or3_b32 v10, v113, v81, v10
                                        ; implicit-def: $vgpr113
	s_cbranch_vccz .LBB4_4737
; %bb.4724:                             ;   in Loop: Header=BB4_4579 Depth=2
	s_mov_b32 s13, 0
	s_and_saveexec_b32 s41, s40
	s_xor_b32 s40, exec_lo, s41
	s_cbranch_execz .LBB4_5185
; %bb.4725:                             ;   in Loop: Header=BB4_4579 Depth=2
	v_cmp_eq_u16_sdwa s42, v15, v101 src0_sel:BYTE_0 src1_sel:DWORD
	s_mov_b32 s13, -1
	s_and_saveexec_b32 s41, s42
; %bb.4726:                             ;   in Loop: Header=BB4_4579 Depth=2
	s_xor_b32 s13, exec_lo, -1
; %bb.4727:                             ;   in Loop: Header=BB4_4579 Depth=2
	s_or_b32 exec_lo, exec_lo, s41
	s_and_b32 s13, s13, exec_lo
	s_or_saveexec_b32 s40, s40
	v_mov_b32_e32 v81, 0x7f800001
	s_xor_b32 exec_lo, exec_lo, s40
	s_cbranch_execnz .LBB4_5186
.LBB4_4728:                             ;   in Loop: Header=BB4_4579 Depth=2
	s_or_b32 exec_lo, exec_lo, s40
	s_and_saveexec_b32 s40, s13
	s_cbranch_execz .LBB4_4730
.LBB4_4729:                             ;   in Loop: Header=BB4_4579 Depth=2
	v_and_b32_e32 v81, 3, v15
	v_bfe_u32 v115, v15, 2, 5
	v_lshlrev_b32_e32 v116, 24, v15
	v_ffbh_u32_e32 v113, v81
	v_cmp_eq_u32_e32 vcc_lo, 0, v115
	v_min_u32_e32 v113, 32, v113
	v_subrev_nc_u32_e32 v114, 29, v113
	v_sub_nc_u32_e32 v113, 30, v113
	v_lshlrev_b32_e32 v114, v114, v15
	v_cndmask_b32_e32 v113, v115, v113, vcc_lo
	v_and_b32_e32 v114, 3, v114
	v_lshl_add_u32 v113, v113, 23, 0x37800000
	v_cndmask_b32_e32 v81, v81, v114, vcc_lo
	v_and_b32_e32 v114, 0x80000000, v116
	v_lshlrev_b32_e32 v81, 21, v81
	v_or3_b32 v81, v114, v113, v81
.LBB4_4730:                             ;   in Loop: Header=BB4_4579 Depth=2
	s_or_b32 exec_lo, exec_lo, s40
	v_cmp_gt_i16_sdwa s40, v11, v100 src0_sel:BYTE_0 src1_sel:DWORD
	s_mov_b32 s13, 0
	s_and_saveexec_b32 s41, s40
	s_xor_b32 s40, exec_lo, s41
	s_cbranch_execz .LBB4_5187
; %bb.4731:                             ;   in Loop: Header=BB4_4579 Depth=2
	v_cmp_eq_u16_sdwa s42, v11, v101 src0_sel:BYTE_0 src1_sel:DWORD
	s_mov_b32 s13, -1
	s_and_saveexec_b32 s41, s42
; %bb.4732:                             ;   in Loop: Header=BB4_4579 Depth=2
	s_xor_b32 s13, exec_lo, -1
; %bb.4733:                             ;   in Loop: Header=BB4_4579 Depth=2
	s_or_b32 exec_lo, exec_lo, s41
	s_and_b32 s13, s13, exec_lo
	s_or_saveexec_b32 s40, s40
	v_mov_b32_e32 v113, 0x7f800001
	s_xor_b32 exec_lo, exec_lo, s40
	s_cbranch_execnz .LBB4_5188
.LBB4_4734:                             ;   in Loop: Header=BB4_4579 Depth=2
	s_or_b32 exec_lo, exec_lo, s40
	s_and_saveexec_b32 s40, s13
.LBB4_4735:                             ;   in Loop: Header=BB4_4579 Depth=2
	v_mov_b32_e32 v113, v10
.LBB4_4736:                             ;   in Loop: Header=BB4_4579 Depth=2
	s_or_b32 exec_lo, exec_lo, s40
	v_max_f32_e32 v113, v113, v113
	v_max_f32_e32 v81, v81, v81
	s_mov_b32 s13, 0
	v_max_f32_e32 v113, v81, v113
.LBB4_4737:                             ;   in Loop: Header=BB4_4579 Depth=2
	s_and_b32 vcc_lo, exec_lo, s13
	s_cbranch_vccz .LBB4_4751
; %bb.4738:                             ;   in Loop: Header=BB4_4579 Depth=2
	v_cmp_gt_i16_sdwa s40, v15, v100 src0_sel:BYTE_0 src1_sel:DWORD
	s_mov_b32 s13, 0
	s_and_saveexec_b32 s41, s40
	s_xor_b32 s40, exec_lo, s41
	s_cbranch_execz .LBB4_5189
; %bb.4739:                             ;   in Loop: Header=BB4_4579 Depth=2
	v_cmp_eq_u16_sdwa s42, v15, v101 src0_sel:BYTE_0 src1_sel:DWORD
	s_mov_b32 s13, -1
	s_and_saveexec_b32 s41, s42
; %bb.4740:                             ;   in Loop: Header=BB4_4579 Depth=2
	s_xor_b32 s13, exec_lo, -1
; %bb.4741:                             ;   in Loop: Header=BB4_4579 Depth=2
	s_or_b32 exec_lo, exec_lo, s41
	s_and_b32 s13, s13, exec_lo
	s_or_saveexec_b32 s40, s40
	v_mov_b32_e32 v81, 0x7f800001
	s_xor_b32 exec_lo, exec_lo, s40
	s_cbranch_execnz .LBB4_5190
.LBB4_4742:                             ;   in Loop: Header=BB4_4579 Depth=2
	s_or_b32 exec_lo, exec_lo, s40
	s_and_saveexec_b32 s40, s13
	s_cbranch_execz .LBB4_4744
.LBB4_4743:                             ;   in Loop: Header=BB4_4579 Depth=2
	v_and_b32_e32 v81, 3, v15
	v_bfe_u32 v115, v15, 2, 5
	v_lshlrev_b32_e32 v116, 24, v15
	v_ffbh_u32_e32 v113, v81
	v_cmp_eq_u32_e32 vcc_lo, 0, v115
	v_min_u32_e32 v113, 32, v113
	v_subrev_nc_u32_e32 v114, 29, v113
	v_sub_nc_u32_e32 v113, 30, v113
	v_lshlrev_b32_e32 v114, v114, v15
	v_cndmask_b32_e32 v113, v115, v113, vcc_lo
	v_and_b32_e32 v114, 3, v114
	v_lshl_add_u32 v113, v113, 23, 0x37800000
	v_cndmask_b32_e32 v81, v81, v114, vcc_lo
	v_and_b32_e32 v114, 0x80000000, v116
	v_lshlrev_b32_e32 v81, 21, v81
	v_or3_b32 v81, v114, v113, v81
.LBB4_4744:                             ;   in Loop: Header=BB4_4579 Depth=2
	s_or_b32 exec_lo, exec_lo, s40
	v_cmp_gt_i16_sdwa s40, v11, v100 src0_sel:BYTE_0 src1_sel:DWORD
	s_mov_b32 s13, 0
	s_and_saveexec_b32 s41, s40
	s_xor_b32 s40, exec_lo, s41
	s_cbranch_execz .LBB4_5191
; %bb.4745:                             ;   in Loop: Header=BB4_4579 Depth=2
	v_cmp_eq_u16_sdwa s42, v11, v101 src0_sel:BYTE_0 src1_sel:DWORD
	s_mov_b32 s13, -1
	s_and_saveexec_b32 s41, s42
; %bb.4746:                             ;   in Loop: Header=BB4_4579 Depth=2
	s_xor_b32 s13, exec_lo, -1
; %bb.4747:                             ;   in Loop: Header=BB4_4579 Depth=2
	s_or_b32 exec_lo, exec_lo, s41
	s_and_b32 s13, s13, exec_lo
	s_or_saveexec_b32 s40, s40
	v_mov_b32_e32 v113, 0x7f800001
	s_xor_b32 exec_lo, exec_lo, s40
	s_cbranch_execnz .LBB4_5192
.LBB4_4748:                             ;   in Loop: Header=BB4_4579 Depth=2
	s_or_b32 exec_lo, exec_lo, s40
	s_and_saveexec_b32 s40, s13
.LBB4_4749:                             ;   in Loop: Header=BB4_4579 Depth=2
	v_mov_b32_e32 v113, v10
.LBB4_4750:                             ;   in Loop: Header=BB4_4579 Depth=2
	s_or_b32 exec_lo, exec_lo, s40
	v_max_f32_e32 v10, v113, v113
	v_max_f32_e32 v81, v81, v81
	v_min_f32_e32 v113, v81, v10
.LBB4_4751:                             ;   in Loop: Header=BB4_4579 Depth=2
	v_and_b32_e32 v10, 0x7f800000, v113
	v_mov_b32_e32 v81, 0x80
	s_mov_b32 s40, exec_lo
	v_cmpx_ne_u32_e32 0x7f800000, v10
	s_cbranch_execz .LBB4_4759
; %bb.4752:                             ;   in Loop: Header=BB4_4579 Depth=2
	v_mov_b32_e32 v81, 0
	s_mov_b32 s41, exec_lo
	v_cmpx_ne_u32_e32 0, v113
	s_cbranch_execz .LBB4_4758
; %bb.4753:                             ;   in Loop: Header=BB4_4579 Depth=2
	v_bfe_u32 v10, v113, 23, 8
	v_and_b32_e32 v81, 0x7fffff, v113
	v_sub_nc_u32_e32 v114, 0x70, v10
	v_cmp_gt_u32_e32 vcc_lo, 0x71, v10
	v_or_b32_e32 v115, 0x800000, v81
	v_cndmask_b32_e32 v114, 0, v114, vcc_lo
	v_cmp_eq_u32_e32 vcc_lo, 0, v10
	v_add_nc_u32_e32 v10, 0xffffff91, v10
	v_cndmask_b32_e64 v114, v114, 0x6f, vcc_lo
	v_cndmask_b32_e32 v81, v115, v81, vcc_lo
	v_cndmask_b32_e64 v10, v10, 0xffffff92, vcc_lo
	v_lshl_add_u32 v115, 0x200000, v114, -1
	v_lshrrev_b32_e32 v116, v114, v81
	v_lshlrev_b32_e64 v118, v114, 0x100000
	v_add_nc_u32_e32 v114, v114, v10
	v_and_b32_e32 v81, v115, v81
	v_bfe_u32 v117, v116, 21, 1
	v_cmp_eq_u32_e64 s13, v81, v118
	v_add_nc_u32_e32 v115, -1, v117
	v_cndmask_b32_e64 v81, 0, v115, s13
	v_lshrrev_b32_e32 v115, 23, v116
	s_mov_b32 s13, exec_lo
	v_add_nc_u32_e32 v81, v81, v116
	v_xor_b32_e32 v115, 1, v115
	v_and_b32_e32 v10, 0x1fffff, v81
	v_add_nc_u32_e32 v81, v10, v116
                                        ; implicit-def: $vgpr10
	v_cmpx_ne_u32_e64 v114, v115
	s_xor_b32 s13, exec_lo, s13
; %bb.4754:                             ;   in Loop: Header=BB4_4579 Depth=2
	v_cmp_lt_u32_e32 vcc_lo, 0xffffff, v81
	v_sub_nc_u32_e32 v10, v114, v115
	v_cndmask_b32_e64 v114, 0, 1, vcc_lo
	v_add_co_ci_u32_e64 v10, null, 0, v10, vcc_lo
	v_lshrrev_b32_e32 v81, v114, v81
; %bb.4755:                             ;   in Loop: Header=BB4_4579 Depth=2
	s_andn2_saveexec_b32 s13, s13
; %bb.4756:                             ;   in Loop: Header=BB4_4579 Depth=2
	v_bfe_u32 v10, v81, 23, 1
; %bb.4757:                             ;   in Loop: Header=BB4_4579 Depth=2
	s_or_b32 exec_lo, exec_lo, s13
	v_lshrrev_b32_e32 v81, 21, v81
	v_min_i32_e32 v114, 31, v10
	v_cmp_gt_i32_e32 vcc_lo, 32, v10
	v_and_b32_sdwa v113, v113, v101 dst_sel:DWORD dst_unused:UNUSED_PAD src0_sel:BYTE_3 src1_sel:DWORD
	v_lshlrev_b32_e32 v114, 2, v114
	v_cndmask_b32_e32 v81, 3, v81, vcc_lo
	v_and_b32_e32 v114, 0xfc, v114
	v_and_b32_e32 v115, 3, v81
	v_or_b32_e32 v10, v10, v81
	v_or3_b32 v81, v114, v113, v115
	v_cmp_ne_u32_e32 vcc_lo, 0, v10
	v_cndmask_b32_e32 v81, 0, v81, vcc_lo
.LBB4_4758:                             ;   in Loop: Header=BB4_4579 Depth=2
	s_or_b32 exec_lo, exec_lo, s41
.LBB4_4759:                             ;   in Loop: Header=BB4_4579 Depth=2
	s_or_b32 exec_lo, exec_lo, s40
	v_and_b32_sdwa v10, v102, v11 dst_sel:DWORD dst_unused:UNUSED_PAD src0_sel:DWORD src1_sel:BYTE_1
	v_cmp_gt_i16_sdwa s40, v15, v100 src0_sel:BYTE_1 src1_sel:DWORD
	s_mov_b32 s13, -1
	v_and_b32_e32 v113, 3, v10
	v_bfe_u32 v116, v10, 2, 5
	v_ffbh_u32_e32 v114, v113
	v_cmp_eq_u32_e32 vcc_lo, 0, v116
	v_min_u32_e32 v114, 32, v114
	v_subrev_nc_u32_e32 v115, 29, v114
	v_sub_nc_u32_e32 v114, 30, v114
	v_lshlrev_b32_e32 v10, v115, v10
	v_lshlrev_b32_sdwa v115, v112, v11 dst_sel:DWORD dst_unused:UNUSED_PAD src0_sel:DWORD src1_sel:BYTE_1
	v_cndmask_b32_e32 v114, v116, v114, vcc_lo
	v_and_b32_e32 v10, 3, v10
	v_lshl_add_u32 v114, v114, 23, 0x37800000
	v_cndmask_b32_e32 v10, v113, v10, vcc_lo
	v_and_b32_e32 v113, 0x80000000, v115
	s_and_b32 vcc_lo, exec_lo, s29
	v_lshlrev_b32_e32 v10, 21, v10
	v_or3_b32 v10, v113, v114, v10
                                        ; implicit-def: $vgpr114
	s_cbranch_vccz .LBB4_4773
; %bb.4760:                             ;   in Loop: Header=BB4_4579 Depth=2
	s_mov_b32 s13, 0
	s_and_saveexec_b32 s41, s40
	s_xor_b32 s40, exec_lo, s41
	s_cbranch_execz .LBB4_5193
; %bb.4761:                             ;   in Loop: Header=BB4_4579 Depth=2
	v_cmp_eq_u16_sdwa s42, v15, v101 src0_sel:BYTE_1 src1_sel:DWORD
	s_mov_b32 s13, -1
	s_and_saveexec_b32 s41, s42
; %bb.4762:                             ;   in Loop: Header=BB4_4579 Depth=2
	s_xor_b32 s13, exec_lo, -1
; %bb.4763:                             ;   in Loop: Header=BB4_4579 Depth=2
	s_or_b32 exec_lo, exec_lo, s41
	s_and_b32 s13, s13, exec_lo
	s_or_saveexec_b32 s40, s40
	v_mov_b32_e32 v113, 0x7f800001
	s_xor_b32 exec_lo, exec_lo, s40
	s_cbranch_execnz .LBB4_5194
.LBB4_4764:                             ;   in Loop: Header=BB4_4579 Depth=2
	s_or_b32 exec_lo, exec_lo, s40
	s_and_saveexec_b32 s40, s13
	s_cbranch_execz .LBB4_4766
.LBB4_4765:                             ;   in Loop: Header=BB4_4579 Depth=2
	v_and_b32_sdwa v113, v102, v15 dst_sel:DWORD dst_unused:UNUSED_PAD src0_sel:DWORD src1_sel:BYTE_1
	v_and_b32_e32 v114, 3, v113
	v_bfe_u32 v117, v113, 2, 5
	v_ffbh_u32_e32 v115, v114
	v_cmp_eq_u32_e32 vcc_lo, 0, v117
	v_min_u32_e32 v115, 32, v115
	v_subrev_nc_u32_e32 v116, 29, v115
	v_sub_nc_u32_e32 v115, 30, v115
	v_lshlrev_b32_e32 v113, v116, v113
	v_lshlrev_b32_e32 v116, 16, v15
	v_cndmask_b32_e32 v115, v117, v115, vcc_lo
	v_and_b32_e32 v113, 3, v113
	v_lshl_add_u32 v115, v115, 23, 0x37800000
	v_cndmask_b32_e32 v113, v114, v113, vcc_lo
	v_and_b32_e32 v114, 0x80000000, v116
	v_lshlrev_b32_e32 v113, 21, v113
	v_or3_b32 v113, v114, v115, v113
.LBB4_4766:                             ;   in Loop: Header=BB4_4579 Depth=2
	s_or_b32 exec_lo, exec_lo, s40
	v_cmp_gt_i16_sdwa s40, v11, v100 src0_sel:BYTE_1 src1_sel:DWORD
	s_mov_b32 s13, 0
	s_and_saveexec_b32 s41, s40
	s_xor_b32 s40, exec_lo, s41
	s_cbranch_execz .LBB4_5195
; %bb.4767:                             ;   in Loop: Header=BB4_4579 Depth=2
	v_cmp_eq_u16_sdwa s42, v11, v101 src0_sel:BYTE_1 src1_sel:DWORD
	s_mov_b32 s13, -1
	s_and_saveexec_b32 s41, s42
; %bb.4768:                             ;   in Loop: Header=BB4_4579 Depth=2
	s_xor_b32 s13, exec_lo, -1
; %bb.4769:                             ;   in Loop: Header=BB4_4579 Depth=2
	s_or_b32 exec_lo, exec_lo, s41
	s_and_b32 s13, s13, exec_lo
	s_or_saveexec_b32 s40, s40
	v_mov_b32_e32 v114, 0x7f800001
	s_xor_b32 exec_lo, exec_lo, s40
	s_cbranch_execnz .LBB4_5196
.LBB4_4770:                             ;   in Loop: Header=BB4_4579 Depth=2
	s_or_b32 exec_lo, exec_lo, s40
	s_and_saveexec_b32 s40, s13
.LBB4_4771:                             ;   in Loop: Header=BB4_4579 Depth=2
	v_mov_b32_e32 v114, v10
.LBB4_4772:                             ;   in Loop: Header=BB4_4579 Depth=2
	s_or_b32 exec_lo, exec_lo, s40
	v_max_f32_e32 v114, v114, v114
	v_max_f32_e32 v113, v113, v113
	s_mov_b32 s13, 0
	v_max_f32_e32 v114, v113, v114
.LBB4_4773:                             ;   in Loop: Header=BB4_4579 Depth=2
	s_and_b32 vcc_lo, exec_lo, s13
	s_cbranch_vccz .LBB4_4787
; %bb.4774:                             ;   in Loop: Header=BB4_4579 Depth=2
	v_cmp_gt_i16_sdwa s40, v15, v100 src0_sel:BYTE_1 src1_sel:DWORD
	s_mov_b32 s13, 0
	s_and_saveexec_b32 s41, s40
	s_xor_b32 s40, exec_lo, s41
	s_cbranch_execz .LBB4_5197
; %bb.4775:                             ;   in Loop: Header=BB4_4579 Depth=2
	v_cmp_eq_u16_sdwa s42, v15, v101 src0_sel:BYTE_1 src1_sel:DWORD
	s_mov_b32 s13, -1
	s_and_saveexec_b32 s41, s42
; %bb.4776:                             ;   in Loop: Header=BB4_4579 Depth=2
	s_xor_b32 s13, exec_lo, -1
; %bb.4777:                             ;   in Loop: Header=BB4_4579 Depth=2
	s_or_b32 exec_lo, exec_lo, s41
	s_and_b32 s13, s13, exec_lo
	s_or_saveexec_b32 s40, s40
	v_mov_b32_e32 v113, 0x7f800001
	s_xor_b32 exec_lo, exec_lo, s40
	s_cbranch_execnz .LBB4_5198
.LBB4_4778:                             ;   in Loop: Header=BB4_4579 Depth=2
	s_or_b32 exec_lo, exec_lo, s40
	s_and_saveexec_b32 s40, s13
	s_cbranch_execz .LBB4_4780
.LBB4_4779:                             ;   in Loop: Header=BB4_4579 Depth=2
	v_and_b32_sdwa v113, v102, v15 dst_sel:DWORD dst_unused:UNUSED_PAD src0_sel:DWORD src1_sel:BYTE_1
	v_and_b32_e32 v114, 3, v113
	v_bfe_u32 v117, v113, 2, 5
	v_ffbh_u32_e32 v115, v114
	v_cmp_eq_u32_e32 vcc_lo, 0, v117
	v_min_u32_e32 v115, 32, v115
	v_subrev_nc_u32_e32 v116, 29, v115
	v_sub_nc_u32_e32 v115, 30, v115
	v_lshlrev_b32_e32 v113, v116, v113
	v_lshlrev_b32_e32 v116, 16, v15
	v_cndmask_b32_e32 v115, v117, v115, vcc_lo
	v_and_b32_e32 v113, 3, v113
	v_lshl_add_u32 v115, v115, 23, 0x37800000
	v_cndmask_b32_e32 v113, v114, v113, vcc_lo
	v_and_b32_e32 v114, 0x80000000, v116
	v_lshlrev_b32_e32 v113, 21, v113
	v_or3_b32 v113, v114, v115, v113
.LBB4_4780:                             ;   in Loop: Header=BB4_4579 Depth=2
	s_or_b32 exec_lo, exec_lo, s40
	v_cmp_gt_i16_sdwa s40, v11, v100 src0_sel:BYTE_1 src1_sel:DWORD
	s_mov_b32 s13, 0
	s_and_saveexec_b32 s41, s40
	s_xor_b32 s40, exec_lo, s41
	s_cbranch_execz .LBB4_5199
; %bb.4781:                             ;   in Loop: Header=BB4_4579 Depth=2
	v_cmp_eq_u16_sdwa s42, v11, v101 src0_sel:BYTE_1 src1_sel:DWORD
	s_mov_b32 s13, -1
	s_and_saveexec_b32 s41, s42
; %bb.4782:                             ;   in Loop: Header=BB4_4579 Depth=2
	s_xor_b32 s13, exec_lo, -1
; %bb.4783:                             ;   in Loop: Header=BB4_4579 Depth=2
	s_or_b32 exec_lo, exec_lo, s41
	s_and_b32 s13, s13, exec_lo
	s_or_saveexec_b32 s40, s40
	v_mov_b32_e32 v114, 0x7f800001
	s_xor_b32 exec_lo, exec_lo, s40
	s_cbranch_execnz .LBB4_5200
.LBB4_4784:                             ;   in Loop: Header=BB4_4579 Depth=2
	s_or_b32 exec_lo, exec_lo, s40
	s_and_saveexec_b32 s40, s13
.LBB4_4785:                             ;   in Loop: Header=BB4_4579 Depth=2
	v_mov_b32_e32 v114, v10
.LBB4_4786:                             ;   in Loop: Header=BB4_4579 Depth=2
	s_or_b32 exec_lo, exec_lo, s40
	v_max_f32_e32 v10, v114, v114
	v_max_f32_e32 v113, v113, v113
	v_min_f32_e32 v114, v113, v10
.LBB4_4787:                             ;   in Loop: Header=BB4_4579 Depth=2
	v_and_b32_e32 v10, 0x7f800000, v114
	v_mov_b32_e32 v113, 0x8000
	s_mov_b32 s40, exec_lo
	v_cmpx_ne_u32_e32 0x7f800000, v10
	s_cbranch_execz .LBB4_4795
; %bb.4788:                             ;   in Loop: Header=BB4_4579 Depth=2
	v_mov_b32_e32 v113, 0
	s_mov_b32 s41, exec_lo
	v_cmpx_ne_u32_e32 0, v114
	s_cbranch_execz .LBB4_4794
; %bb.4789:                             ;   in Loop: Header=BB4_4579 Depth=2
	v_bfe_u32 v10, v114, 23, 8
	v_and_b32_e32 v113, 0x7fffff, v114
	v_sub_nc_u32_e32 v115, 0x70, v10
	v_cmp_gt_u32_e32 vcc_lo, 0x71, v10
	v_or_b32_e32 v116, 0x800000, v113
	v_cndmask_b32_e32 v115, 0, v115, vcc_lo
	v_cmp_eq_u32_e32 vcc_lo, 0, v10
	v_add_nc_u32_e32 v10, 0xffffff91, v10
	v_cndmask_b32_e64 v115, v115, 0x6f, vcc_lo
	v_cndmask_b32_e32 v113, v116, v113, vcc_lo
	v_cndmask_b32_e64 v10, v10, 0xffffff92, vcc_lo
	v_lshl_add_u32 v116, 0x200000, v115, -1
	v_lshrrev_b32_e32 v117, v115, v113
	v_lshlrev_b32_e64 v119, v115, 0x100000
	v_add_nc_u32_e32 v115, v115, v10
	v_and_b32_e32 v113, v116, v113
	v_bfe_u32 v118, v117, 21, 1
	v_cmp_eq_u32_e64 s13, v113, v119
	v_add_nc_u32_e32 v116, -1, v118
	v_cndmask_b32_e64 v113, 0, v116, s13
	v_lshrrev_b32_e32 v116, 23, v117
	s_mov_b32 s13, exec_lo
	v_add_nc_u32_e32 v113, v113, v117
	v_xor_b32_e32 v116, 1, v116
	v_and_b32_e32 v10, 0x1fffff, v113
	v_add_nc_u32_e32 v113, v10, v117
                                        ; implicit-def: $vgpr10
	v_cmpx_ne_u32_e64 v115, v116
	s_xor_b32 s13, exec_lo, s13
; %bb.4790:                             ;   in Loop: Header=BB4_4579 Depth=2
	v_cmp_lt_u32_e32 vcc_lo, 0xffffff, v113
	v_sub_nc_u32_e32 v10, v115, v116
	v_cndmask_b32_e64 v115, 0, 1, vcc_lo
	v_add_co_ci_u32_e64 v10, null, 0, v10, vcc_lo
	v_lshrrev_b32_e32 v113, v115, v113
; %bb.4791:                             ;   in Loop: Header=BB4_4579 Depth=2
	s_andn2_saveexec_b32 s13, s13
; %bb.4792:                             ;   in Loop: Header=BB4_4579 Depth=2
	v_bfe_u32 v10, v113, 23, 1
; %bb.4793:                             ;   in Loop: Header=BB4_4579 Depth=2
	s_or_b32 exec_lo, exec_lo, s13
	v_lshrrev_b32_e32 v113, 21, v113
	v_min_i32_e32 v115, 31, v10
	v_cmp_gt_i32_e32 vcc_lo, 32, v10
	v_and_b32_sdwa v114, v114, v101 dst_sel:DWORD dst_unused:UNUSED_PAD src0_sel:BYTE_3 src1_sel:DWORD
	v_lshlrev_b32_e32 v115, 2, v115
	v_cndmask_b32_e32 v113, 3, v113, vcc_lo
	v_and_b32_e32 v115, 0xfc, v115
	v_and_b32_e32 v116, 3, v113
	v_or_b32_e32 v10, v10, v113
	v_or3_b32 v114, v114, v115, v116
	v_cmp_ne_u32_e32 vcc_lo, 0, v10
	v_lshlrev_b32_e32 v113, 8, v114
	v_cndmask_b32_e32 v113, 0, v113, vcc_lo
.LBB4_4794:                             ;   in Loop: Header=BB4_4579 Depth=2
	s_or_b32 exec_lo, exec_lo, s41
.LBB4_4795:                             ;   in Loop: Header=BB4_4579 Depth=2
	s_or_b32 exec_lo, exec_lo, s40
	v_bfe_u32 v10, v11, 16, 2
	v_bfe_u32 v116, v11, 18, 5
	v_lshlrev_b32_e32 v117, 8, v11
	s_mov_b32 s40, -1
	v_ffbh_u32_e32 v114, v10
	v_cmp_eq_u32_e32 vcc_lo, 0, v116
	v_min_u32_e32 v114, 32, v114
	v_subrev_nc_u32_e32 v115, 29, v114
	v_sub_nc_u32_e32 v114, 30, v114
	v_lshlrev_b32_sdwa v115, v115, v11 dst_sel:DWORD dst_unused:UNUSED_PAD src0_sel:DWORD src1_sel:WORD_1
	v_cndmask_b32_e32 v114, v116, v114, vcc_lo
	v_and_b32_e32 v115, 3, v115
	v_lshl_add_u32 v116, v114, 23, 0x37800000
	v_and_b32_sdwa v114, v15, v103 dst_sel:DWORD dst_unused:UNUSED_PAD src0_sel:WORD_1 src1_sel:DWORD
	v_cndmask_b32_e32 v10, v10, v115, vcc_lo
	v_and_b32_e32 v115, 0x80000000, v117
	v_cmp_lt_i16_e64 s13, 0x7f, v114
	s_and_b32 vcc_lo, exec_lo, s29
	v_lshlrev_b32_e32 v10, 21, v10
	v_or3_b32 v10, v115, v116, v10
                                        ; implicit-def: $vgpr115
	s_cbranch_vccz .LBB4_4809
; %bb.4796:                             ;   in Loop: Header=BB4_4579 Depth=2
	s_mov_b32 s40, 0
	s_and_saveexec_b32 s41, s13
	s_xor_b32 s13, exec_lo, s41
	s_cbranch_execz .LBB4_5201
; %bb.4797:                             ;   in Loop: Header=BB4_4579 Depth=2
	s_mov_b32 s40, -1
	s_mov_b32 s41, exec_lo
	v_cmpx_eq_u16_e32 0x80, v114
; %bb.4798:                             ;   in Loop: Header=BB4_4579 Depth=2
	s_xor_b32 s40, exec_lo, -1
; %bb.4799:                             ;   in Loop: Header=BB4_4579 Depth=2
	s_or_b32 exec_lo, exec_lo, s41
	s_and_b32 s40, s40, exec_lo
	s_or_saveexec_b32 s13, s13
	v_mov_b32_e32 v115, 0x7f800001
	s_xor_b32 exec_lo, exec_lo, s13
	s_cbranch_execnz .LBB4_5202
.LBB4_4800:                             ;   in Loop: Header=BB4_4579 Depth=2
	s_or_b32 exec_lo, exec_lo, s13
	s_and_saveexec_b32 s13, s40
	s_cbranch_execz .LBB4_4802
.LBB4_4801:                             ;   in Loop: Header=BB4_4579 Depth=2
	v_bfe_u32 v115, v15, 16, 2
	v_bfe_u32 v118, v15, 18, 5
	v_lshlrev_b32_sdwa v119, v112, v15 dst_sel:DWORD dst_unused:UNUSED_PAD src0_sel:DWORD src1_sel:WORD_1
	v_ffbh_u32_e32 v116, v115
	v_cmp_eq_u32_e32 vcc_lo, 0, v118
	v_min_u32_e32 v116, 32, v116
	v_subrev_nc_u32_e32 v117, 29, v116
	v_sub_nc_u32_e32 v116, 30, v116
	v_lshlrev_b32_sdwa v117, v117, v15 dst_sel:DWORD dst_unused:UNUSED_PAD src0_sel:DWORD src1_sel:WORD_1
	v_cndmask_b32_e32 v116, v118, v116, vcc_lo
	v_and_b32_e32 v117, 3, v117
	v_lshl_add_u32 v116, v116, 23, 0x37800000
	v_cndmask_b32_e32 v115, v115, v117, vcc_lo
	v_and_b32_e32 v117, 0x80000000, v119
	v_lshlrev_b32_e32 v115, 21, v115
	v_or3_b32 v115, v117, v116, v115
.LBB4_4802:                             ;   in Loop: Header=BB4_4579 Depth=2
	s_or_b32 exec_lo, exec_lo, s13
	v_and_b32_sdwa v117, v11, v103 dst_sel:DWORD dst_unused:UNUSED_PAD src0_sel:WORD_1 src1_sel:DWORD
	s_mov_b32 s13, 0
	s_mov_b32 s40, exec_lo
	v_cmpx_lt_i16_e32 0x7f, v117
	s_xor_b32 s40, exec_lo, s40
	s_cbranch_execz .LBB4_5203
; %bb.4803:                             ;   in Loop: Header=BB4_4579 Depth=2
	s_mov_b32 s13, -1
	s_mov_b32 s41, exec_lo
	v_cmpx_eq_u16_e32 0x80, v117
; %bb.4804:                             ;   in Loop: Header=BB4_4579 Depth=2
	s_xor_b32 s13, exec_lo, -1
; %bb.4805:                             ;   in Loop: Header=BB4_4579 Depth=2
	s_or_b32 exec_lo, exec_lo, s41
	s_and_b32 s13, s13, exec_lo
                                        ; implicit-def: $vgpr117
	s_or_saveexec_b32 s40, s40
	v_mov_b32_e32 v116, 0x7f800001
	s_xor_b32 exec_lo, exec_lo, s40
	s_cbranch_execnz .LBB4_5204
.LBB4_4806:                             ;   in Loop: Header=BB4_4579 Depth=2
	s_or_b32 exec_lo, exec_lo, s40
	s_and_saveexec_b32 s40, s13
.LBB4_4807:                             ;   in Loop: Header=BB4_4579 Depth=2
	v_mov_b32_e32 v116, v10
.LBB4_4808:                             ;   in Loop: Header=BB4_4579 Depth=2
	s_or_b32 exec_lo, exec_lo, s40
	v_max_f32_e32 v116, v116, v116
	v_max_f32_e32 v115, v115, v115
	s_mov_b32 s40, 0
	v_max_f32_e32 v115, v115, v116
.LBB4_4809:                             ;   in Loop: Header=BB4_4579 Depth=2
	s_and_b32 vcc_lo, exec_lo, s40
	s_cbranch_vccz .LBB4_4823
; %bb.4810:                             ;   in Loop: Header=BB4_4579 Depth=2
	s_mov_b32 s13, 0
	s_mov_b32 s40, exec_lo
	v_cmpx_lt_i16_e32 0x7f, v114
	s_xor_b32 s40, exec_lo, s40
	s_cbranch_execz .LBB4_5205
; %bb.4811:                             ;   in Loop: Header=BB4_4579 Depth=2
	s_mov_b32 s13, -1
	s_mov_b32 s41, exec_lo
	v_cmpx_eq_u16_e32 0x80, v114
; %bb.4812:                             ;   in Loop: Header=BB4_4579 Depth=2
	s_xor_b32 s13, exec_lo, -1
; %bb.4813:                             ;   in Loop: Header=BB4_4579 Depth=2
	s_or_b32 exec_lo, exec_lo, s41
	s_and_b32 s13, s13, exec_lo
                                        ; implicit-def: $vgpr114
	s_or_saveexec_b32 s40, s40
	v_mov_b32_e32 v115, 0x7f800001
	s_xor_b32 exec_lo, exec_lo, s40
	s_cbranch_execnz .LBB4_5206
.LBB4_4814:                             ;   in Loop: Header=BB4_4579 Depth=2
	s_or_b32 exec_lo, exec_lo, s40
	s_and_saveexec_b32 s40, s13
	s_cbranch_execz .LBB4_4816
.LBB4_4815:                             ;   in Loop: Header=BB4_4579 Depth=2
	v_bfe_u32 v114, v15, 16, 2
	v_bfe_u32 v117, v15, 18, 5
	v_lshlrev_b32_sdwa v118, v112, v15 dst_sel:DWORD dst_unused:UNUSED_PAD src0_sel:DWORD src1_sel:WORD_1
	v_ffbh_u32_e32 v115, v114
	v_cmp_eq_u32_e32 vcc_lo, 0, v117
	v_min_u32_e32 v115, 32, v115
	v_subrev_nc_u32_e32 v116, 29, v115
	v_sub_nc_u32_e32 v115, 30, v115
	v_lshlrev_b32_sdwa v116, v116, v15 dst_sel:DWORD dst_unused:UNUSED_PAD src0_sel:DWORD src1_sel:WORD_1
	v_cndmask_b32_e32 v115, v117, v115, vcc_lo
	v_and_b32_e32 v116, 3, v116
	v_lshl_add_u32 v115, v115, 23, 0x37800000
	v_cndmask_b32_e32 v114, v114, v116, vcc_lo
	v_and_b32_e32 v116, 0x80000000, v118
	v_lshlrev_b32_e32 v114, 21, v114
	v_or3_b32 v115, v116, v115, v114
.LBB4_4816:                             ;   in Loop: Header=BB4_4579 Depth=2
	s_or_b32 exec_lo, exec_lo, s40
	v_and_b32_sdwa v116, v11, v103 dst_sel:DWORD dst_unused:UNUSED_PAD src0_sel:WORD_1 src1_sel:DWORD
	s_mov_b32 s13, 0
	s_mov_b32 s40, exec_lo
	v_cmpx_lt_i16_e32 0x7f, v116
	s_xor_b32 s40, exec_lo, s40
	s_cbranch_execz .LBB4_5207
; %bb.4817:                             ;   in Loop: Header=BB4_4579 Depth=2
	s_mov_b32 s13, -1
	s_mov_b32 s41, exec_lo
	v_cmpx_eq_u16_e32 0x80, v116
; %bb.4818:                             ;   in Loop: Header=BB4_4579 Depth=2
	s_xor_b32 s13, exec_lo, -1
; %bb.4819:                             ;   in Loop: Header=BB4_4579 Depth=2
	s_or_b32 exec_lo, exec_lo, s41
	s_and_b32 s13, s13, exec_lo
                                        ; implicit-def: $vgpr116
	s_or_saveexec_b32 s40, s40
	v_mov_b32_e32 v114, 0x7f800001
	s_xor_b32 exec_lo, exec_lo, s40
	s_cbranch_execnz .LBB4_5208
.LBB4_4820:                             ;   in Loop: Header=BB4_4579 Depth=2
	s_or_b32 exec_lo, exec_lo, s40
	s_and_saveexec_b32 s40, s13
.LBB4_4821:                             ;   in Loop: Header=BB4_4579 Depth=2
	v_mov_b32_e32 v114, v10
.LBB4_4822:                             ;   in Loop: Header=BB4_4579 Depth=2
	s_or_b32 exec_lo, exec_lo, s40
	v_max_f32_e32 v10, v114, v114
	v_max_f32_e32 v114, v115, v115
	v_min_f32_e32 v115, v114, v10
.LBB4_4823:                             ;   in Loop: Header=BB4_4579 Depth=2
	v_and_b32_e32 v10, 0x7f800000, v115
	v_mov_b32_e32 v114, 0x80
	s_mov_b32 s40, exec_lo
	v_cmpx_ne_u32_e32 0x7f800000, v10
	s_cbranch_execz .LBB4_4831
; %bb.4824:                             ;   in Loop: Header=BB4_4579 Depth=2
	v_mov_b32_e32 v114, 0
	s_mov_b32 s41, exec_lo
	v_cmpx_ne_u32_e32 0, v115
	s_cbranch_execz .LBB4_4830
; %bb.4825:                             ;   in Loop: Header=BB4_4579 Depth=2
	v_bfe_u32 v10, v115, 23, 8
	v_and_b32_e32 v114, 0x7fffff, v115
	v_sub_nc_u32_e32 v116, 0x70, v10
	v_cmp_gt_u32_e32 vcc_lo, 0x71, v10
	v_or_b32_e32 v117, 0x800000, v114
	v_cndmask_b32_e32 v116, 0, v116, vcc_lo
	v_cmp_eq_u32_e32 vcc_lo, 0, v10
	v_add_nc_u32_e32 v10, 0xffffff91, v10
	v_cndmask_b32_e64 v116, v116, 0x6f, vcc_lo
	v_cndmask_b32_e32 v114, v117, v114, vcc_lo
	v_cndmask_b32_e64 v10, v10, 0xffffff92, vcc_lo
	v_lshl_add_u32 v117, 0x200000, v116, -1
	v_lshrrev_b32_e32 v118, v116, v114
	v_lshlrev_b32_e64 v40, v116, 0x100000
	v_add_nc_u32_e32 v116, v116, v10
	v_and_b32_e32 v114, v117, v114
	v_bfe_u32 v119, v118, 21, 1
	v_cmp_eq_u32_e64 s13, v114, v40
	v_add_nc_u32_e32 v117, -1, v119
	v_cndmask_b32_e64 v114, 0, v117, s13
	v_lshrrev_b32_e32 v117, 23, v118
	s_mov_b32 s13, exec_lo
	v_add_nc_u32_e32 v114, v114, v118
	v_xor_b32_e32 v117, 1, v117
	v_and_b32_e32 v10, 0x1fffff, v114
	v_add_nc_u32_e32 v114, v10, v118
                                        ; implicit-def: $vgpr10
	v_cmpx_ne_u32_e64 v116, v117
	s_xor_b32 s13, exec_lo, s13
; %bb.4826:                             ;   in Loop: Header=BB4_4579 Depth=2
	v_cmp_lt_u32_e32 vcc_lo, 0xffffff, v114
	v_sub_nc_u32_e32 v10, v116, v117
	v_cndmask_b32_e64 v116, 0, 1, vcc_lo
	v_add_co_ci_u32_e64 v10, null, 0, v10, vcc_lo
	v_lshrrev_b32_e32 v114, v116, v114
; %bb.4827:                             ;   in Loop: Header=BB4_4579 Depth=2
	s_andn2_saveexec_b32 s13, s13
; %bb.4828:                             ;   in Loop: Header=BB4_4579 Depth=2
	v_bfe_u32 v10, v114, 23, 1
; %bb.4829:                             ;   in Loop: Header=BB4_4579 Depth=2
	s_or_b32 exec_lo, exec_lo, s13
	v_lshrrev_b32_e32 v114, 21, v114
	v_min_i32_e32 v116, 31, v10
	v_cmp_gt_i32_e32 vcc_lo, 32, v10
	v_and_b32_sdwa v115, v115, v101 dst_sel:DWORD dst_unused:UNUSED_PAD src0_sel:BYTE_3 src1_sel:DWORD
	v_lshlrev_b32_e32 v116, 2, v116
	v_cndmask_b32_e32 v114, 3, v114, vcc_lo
	v_and_b32_e32 v116, 0xfc, v116
	v_and_b32_e32 v117, 3, v114
	v_or_b32_e32 v10, v10, v114
	v_or3_b32 v114, v116, v115, v117
	v_cmp_ne_u32_e32 vcc_lo, 0, v10
	v_cndmask_b32_e32 v114, 0, v114, vcc_lo
.LBB4_4830:                             ;   in Loop: Header=BB4_4579 Depth=2
	s_or_b32 exec_lo, exec_lo, s41
.LBB4_4831:                             ;   in Loop: Header=BB4_4579 Depth=2
	s_or_b32 exec_lo, exec_lo, s40
	v_bfe_u32 v10, v11, 24, 2
	v_bfe_u32 v117, v11, 26, 5
	v_cmp_gt_i16_sdwa s40, v15, v100 src0_sel:BYTE_3 src1_sel:DWORD
	s_mov_b32 s13, -1
	v_ffbh_u32_e32 v115, v10
	v_cmp_eq_u32_e32 vcc_lo, 0, v117
	v_min_u32_e32 v115, 32, v115
	v_subrev_nc_u32_e32 v116, 29, v115
	v_sub_nc_u32_e32 v115, 30, v115
	v_lshlrev_b32_sdwa v116, v116, v11 dst_sel:DWORD dst_unused:UNUSED_PAD src0_sel:DWORD src1_sel:BYTE_3
	v_cndmask_b32_e32 v115, v117, v115, vcc_lo
	v_and_b32_e32 v116, 3, v116
	v_lshl_add_u32 v115, v115, 23, 0x37800000
	v_cndmask_b32_e32 v10, v10, v116, vcc_lo
	v_and_b32_e32 v116, 0x80000000, v11
	s_and_b32 vcc_lo, exec_lo, s29
	v_lshlrev_b32_e32 v10, 21, v10
	v_or3_b32 v10, v116, v115, v10
                                        ; implicit-def: $vgpr115
	s_cbranch_vccz .LBB4_4845
; %bb.4832:                             ;   in Loop: Header=BB4_4579 Depth=2
	s_mov_b32 s13, 0
	s_and_saveexec_b32 s41, s40
	s_xor_b32 s40, exec_lo, s41
	s_cbranch_execz .LBB4_5209
; %bb.4833:                             ;   in Loop: Header=BB4_4579 Depth=2
	v_cmp_eq_u16_sdwa s42, v15, v101 src0_sel:BYTE_3 src1_sel:DWORD
	s_mov_b32 s13, -1
	s_and_saveexec_b32 s41, s42
; %bb.4834:                             ;   in Loop: Header=BB4_4579 Depth=2
	s_xor_b32 s13, exec_lo, -1
; %bb.4835:                             ;   in Loop: Header=BB4_4579 Depth=2
	s_or_b32 exec_lo, exec_lo, s41
	s_and_b32 s13, s13, exec_lo
	s_or_saveexec_b32 s40, s40
	v_mov_b32_e32 v115, 0x7f800001
	s_xor_b32 exec_lo, exec_lo, s40
	s_cbranch_execnz .LBB4_5210
.LBB4_4836:                             ;   in Loop: Header=BB4_4579 Depth=2
	s_or_b32 exec_lo, exec_lo, s40
	s_and_saveexec_b32 s40, s13
	s_cbranch_execz .LBB4_4838
.LBB4_4837:                             ;   in Loop: Header=BB4_4579 Depth=2
	v_bfe_u32 v115, v15, 24, 2
	v_bfe_u32 v118, v15, 26, 5
	v_ffbh_u32_e32 v116, v115
	v_cmp_eq_u32_e32 vcc_lo, 0, v118
	v_min_u32_e32 v116, 32, v116
	v_subrev_nc_u32_e32 v117, 29, v116
	v_sub_nc_u32_e32 v116, 30, v116
	v_lshlrev_b32_sdwa v117, v117, v15 dst_sel:DWORD dst_unused:UNUSED_PAD src0_sel:DWORD src1_sel:BYTE_3
	v_cndmask_b32_e32 v116, v118, v116, vcc_lo
	v_and_b32_e32 v117, 3, v117
	v_lshl_add_u32 v116, v116, 23, 0x37800000
	v_cndmask_b32_e32 v115, v115, v117, vcc_lo
	v_and_b32_e32 v117, 0x80000000, v15
	v_lshlrev_b32_e32 v115, 21, v115
	v_or3_b32 v115, v117, v116, v115
.LBB4_4838:                             ;   in Loop: Header=BB4_4579 Depth=2
	s_or_b32 exec_lo, exec_lo, s40
	v_cmp_gt_i16_sdwa s40, v11, v100 src0_sel:BYTE_3 src1_sel:DWORD
	s_mov_b32 s13, 0
	s_and_saveexec_b32 s41, s40
	s_xor_b32 s40, exec_lo, s41
	s_cbranch_execz .LBB4_5211
; %bb.4839:                             ;   in Loop: Header=BB4_4579 Depth=2
	v_cmp_eq_u16_sdwa s42, v11, v101 src0_sel:BYTE_3 src1_sel:DWORD
	s_mov_b32 s13, -1
	s_and_saveexec_b32 s41, s42
; %bb.4840:                             ;   in Loop: Header=BB4_4579 Depth=2
	s_xor_b32 s13, exec_lo, -1
; %bb.4841:                             ;   in Loop: Header=BB4_4579 Depth=2
	s_or_b32 exec_lo, exec_lo, s41
	s_and_b32 s13, s13, exec_lo
	s_or_saveexec_b32 s40, s40
	v_mov_b32_e32 v116, 0x7f800001
	s_xor_b32 exec_lo, exec_lo, s40
	s_cbranch_execnz .LBB4_5212
.LBB4_4842:                             ;   in Loop: Header=BB4_4579 Depth=2
	s_or_b32 exec_lo, exec_lo, s40
	s_and_saveexec_b32 s40, s13
.LBB4_4843:                             ;   in Loop: Header=BB4_4579 Depth=2
	v_mov_b32_e32 v116, v10
.LBB4_4844:                             ;   in Loop: Header=BB4_4579 Depth=2
	s_or_b32 exec_lo, exec_lo, s40
	v_max_f32_e32 v116, v116, v116
	v_max_f32_e32 v115, v115, v115
	s_mov_b32 s13, 0
	v_max_f32_e32 v115, v115, v116
.LBB4_4845:                             ;   in Loop: Header=BB4_4579 Depth=2
	s_and_b32 vcc_lo, exec_lo, s13
	s_cbranch_vccz .LBB4_4859
; %bb.4846:                             ;   in Loop: Header=BB4_4579 Depth=2
	v_cmp_gt_i16_sdwa s40, v15, v100 src0_sel:BYTE_3 src1_sel:DWORD
	s_mov_b32 s13, 0
	s_and_saveexec_b32 s41, s40
	s_xor_b32 s40, exec_lo, s41
	s_cbranch_execz .LBB4_5213
; %bb.4847:                             ;   in Loop: Header=BB4_4579 Depth=2
	v_cmp_eq_u16_sdwa s42, v15, v101 src0_sel:BYTE_3 src1_sel:DWORD
	s_mov_b32 s13, -1
	s_and_saveexec_b32 s41, s42
; %bb.4848:                             ;   in Loop: Header=BB4_4579 Depth=2
	s_xor_b32 s13, exec_lo, -1
; %bb.4849:                             ;   in Loop: Header=BB4_4579 Depth=2
	s_or_b32 exec_lo, exec_lo, s41
	s_and_b32 s13, s13, exec_lo
	s_or_saveexec_b32 s40, s40
	v_mov_b32_e32 v115, 0x7f800001
	s_xor_b32 exec_lo, exec_lo, s40
	s_cbranch_execnz .LBB4_5214
.LBB4_4850:                             ;   in Loop: Header=BB4_4579 Depth=2
	s_or_b32 exec_lo, exec_lo, s40
	s_and_saveexec_b32 s40, s13
	s_cbranch_execz .LBB4_4852
.LBB4_4851:                             ;   in Loop: Header=BB4_4579 Depth=2
	v_bfe_u32 v115, v15, 24, 2
	v_bfe_u32 v118, v15, 26, 5
	v_ffbh_u32_e32 v116, v115
	v_cmp_eq_u32_e32 vcc_lo, 0, v118
	v_min_u32_e32 v116, 32, v116
	v_subrev_nc_u32_e32 v117, 29, v116
	v_sub_nc_u32_e32 v116, 30, v116
	v_lshlrev_b32_sdwa v117, v117, v15 dst_sel:DWORD dst_unused:UNUSED_PAD src0_sel:DWORD src1_sel:BYTE_3
	v_cndmask_b32_e32 v116, v118, v116, vcc_lo
	v_and_b32_e32 v15, 0x80000000, v15
	v_and_b32_e32 v117, 3, v117
	v_lshl_add_u32 v116, v116, 23, 0x37800000
	v_cndmask_b32_e32 v115, v115, v117, vcc_lo
	v_lshlrev_b32_e32 v115, 21, v115
	v_or3_b32 v115, v15, v116, v115
.LBB4_4852:                             ;   in Loop: Header=BB4_4579 Depth=2
	s_or_b32 exec_lo, exec_lo, s40
	v_cmp_gt_i16_sdwa s40, v11, v100 src0_sel:BYTE_3 src1_sel:DWORD
	s_mov_b32 s13, 0
	s_and_saveexec_b32 s41, s40
	s_xor_b32 s40, exec_lo, s41
	s_cbranch_execz .LBB4_5215
; %bb.4853:                             ;   in Loop: Header=BB4_4579 Depth=2
	v_cmp_eq_u16_sdwa s42, v11, v101 src0_sel:BYTE_3 src1_sel:DWORD
	s_mov_b32 s13, -1
	s_and_saveexec_b32 s41, s42
; %bb.4854:                             ;   in Loop: Header=BB4_4579 Depth=2
	s_xor_b32 s13, exec_lo, -1
; %bb.4855:                             ;   in Loop: Header=BB4_4579 Depth=2
	s_or_b32 exec_lo, exec_lo, s41
	s_and_b32 s13, s13, exec_lo
	s_or_saveexec_b32 s40, s40
	v_mov_b32_e32 v15, 0x7f800001
	s_xor_b32 exec_lo, exec_lo, s40
	s_cbranch_execnz .LBB4_5216
.LBB4_4856:                             ;   in Loop: Header=BB4_4579 Depth=2
	s_or_b32 exec_lo, exec_lo, s40
	s_and_saveexec_b32 s40, s13
.LBB4_4857:                             ;   in Loop: Header=BB4_4579 Depth=2
	v_mov_b32_e32 v15, v10
.LBB4_4858:                             ;   in Loop: Header=BB4_4579 Depth=2
	s_or_b32 exec_lo, exec_lo, s40
	v_max_f32_e32 v10, v15, v15
	v_max_f32_e32 v11, v115, v115
	v_min_f32_e32 v115, v11, v10
.LBB4_4859:                             ;   in Loop: Header=BB4_4579 Depth=2
	v_and_b32_e32 v10, 0x7f800000, v115
	v_mov_b32_e32 v15, 0x8000
	s_mov_b32 s40, exec_lo
	v_cmpx_ne_u32_e32 0x7f800000, v10
	s_cbranch_execz .LBB4_4867
; %bb.4860:                             ;   in Loop: Header=BB4_4579 Depth=2
	v_mov_b32_e32 v15, 0
	s_mov_b32 s41, exec_lo
	v_cmpx_ne_u32_e32 0, v115
	s_cbranch_execz .LBB4_4866
; %bb.4861:                             ;   in Loop: Header=BB4_4579 Depth=2
	v_bfe_u32 v10, v115, 23, 8
	v_and_b32_e32 v11, 0x7fffff, v115
	v_sub_nc_u32_e32 v15, 0x70, v10
	v_cmp_gt_u32_e32 vcc_lo, 0x71, v10
	v_or_b32_e32 v116, 0x800000, v11
	v_cndmask_b32_e32 v15, 0, v15, vcc_lo
	v_cmp_eq_u32_e32 vcc_lo, 0, v10
	v_add_nc_u32_e32 v10, 0xffffff91, v10
	v_cndmask_b32_e64 v15, v15, 0x6f, vcc_lo
	v_cndmask_b32_e32 v11, v116, v11, vcc_lo
	v_cndmask_b32_e64 v10, v10, 0xffffff92, vcc_lo
	v_lshl_add_u32 v116, 0x200000, v15, -1
	v_lshrrev_b32_e32 v117, v15, v11
	v_lshlrev_b32_e64 v119, v15, 0x100000
	v_add_nc_u32_e32 v15, v15, v10
	v_and_b32_e32 v11, v116, v11
	v_bfe_u32 v118, v117, 21, 1
	v_cmp_eq_u32_e64 s13, v11, v119
	v_add_nc_u32_e32 v116, -1, v118
	v_cndmask_b32_e64 v11, 0, v116, s13
	v_lshrrev_b32_e32 v116, 23, v117
	s_mov_b32 s13, exec_lo
	v_add_nc_u32_e32 v11, v11, v117
	v_xor_b32_e32 v116, 1, v116
	v_and_b32_e32 v10, 0x1fffff, v11
	v_add_nc_u32_e32 v11, v10, v117
                                        ; implicit-def: $vgpr10
	v_cmpx_ne_u32_e64 v15, v116
	s_xor_b32 s13, exec_lo, s13
; %bb.4862:                             ;   in Loop: Header=BB4_4579 Depth=2
	v_cmp_lt_u32_e32 vcc_lo, 0xffffff, v11
	v_sub_nc_u32_e32 v10, v15, v116
	v_cndmask_b32_e64 v15, 0, 1, vcc_lo
	v_add_co_ci_u32_e64 v10, null, 0, v10, vcc_lo
	v_lshrrev_b32_e32 v11, v15, v11
; %bb.4863:                             ;   in Loop: Header=BB4_4579 Depth=2
	s_andn2_saveexec_b32 s13, s13
; %bb.4864:                             ;   in Loop: Header=BB4_4579 Depth=2
	v_bfe_u32 v10, v11, 23, 1
; %bb.4865:                             ;   in Loop: Header=BB4_4579 Depth=2
	s_or_b32 exec_lo, exec_lo, s13
	v_lshrrev_b32_e32 v11, 21, v11
	v_min_i32_e32 v15, 31, v10
	v_cmp_gt_i32_e32 vcc_lo, 32, v10
	v_and_b32_sdwa v115, v115, v101 dst_sel:DWORD dst_unused:UNUSED_PAD src0_sel:BYTE_3 src1_sel:DWORD
	v_lshlrev_b32_e32 v15, 2, v15
	v_cndmask_b32_e32 v11, 3, v11, vcc_lo
	v_and_b32_e32 v15, 0xfc, v15
	v_and_b32_e32 v116, 3, v11
	v_or_b32_e32 v10, v10, v11
	v_or3_b32 v15, v115, v15, v116
	v_cmp_ne_u32_e32 vcc_lo, 0, v10
	v_lshlrev_b32_e32 v11, 8, v15
	v_cndmask_b32_e32 v15, 0, v11, vcc_lo
.LBB4_4866:                             ;   in Loop: Header=BB4_4579 Depth=2
	s_or_b32 exec_lo, exec_lo, s41
.LBB4_4867:                             ;   in Loop: Header=BB4_4579 Depth=2
	s_or_b32 exec_lo, exec_lo, s40
	v_and_b32_e32 v10, 3, v12
	v_bfe_u32 v116, v12, 2, 5
	v_lshlrev_b32_e32 v117, 24, v12
	v_cmp_gt_i16_sdwa s40, v16, v100 src0_sel:BYTE_0 src1_sel:DWORD
	s_mov_b32 s13, -1
	v_ffbh_u32_e32 v11, v10
	v_cmp_eq_u32_e32 vcc_lo, 0, v116
	v_min_u32_e32 v11, 32, v11
	v_subrev_nc_u32_e32 v115, 29, v11
	v_sub_nc_u32_e32 v11, 30, v11
	v_lshlrev_b32_e32 v115, v115, v12
	v_cndmask_b32_e32 v11, v116, v11, vcc_lo
	v_and_b32_e32 v115, 3, v115
	v_lshl_add_u32 v11, v11, 23, 0x37800000
	v_cndmask_b32_e32 v10, v10, v115, vcc_lo
	v_and_b32_e32 v115, 0x80000000, v117
	s_and_b32 vcc_lo, exec_lo, s29
	v_lshlrev_b32_e32 v10, 21, v10
	v_or3_b32 v10, v115, v11, v10
                                        ; implicit-def: $vgpr11
	s_cbranch_vccz .LBB4_4881
; %bb.4868:                             ;   in Loop: Header=BB4_4579 Depth=2
	s_mov_b32 s13, 0
	s_and_saveexec_b32 s41, s40
	s_xor_b32 s40, exec_lo, s41
	s_cbranch_execz .LBB4_5217
; %bb.4869:                             ;   in Loop: Header=BB4_4579 Depth=2
	v_cmp_eq_u16_sdwa s42, v16, v101 src0_sel:BYTE_0 src1_sel:DWORD
	s_mov_b32 s13, -1
	s_and_saveexec_b32 s41, s42
; %bb.4870:                             ;   in Loop: Header=BB4_4579 Depth=2
	s_xor_b32 s13, exec_lo, -1
; %bb.4871:                             ;   in Loop: Header=BB4_4579 Depth=2
	s_or_b32 exec_lo, exec_lo, s41
	s_and_b32 s13, s13, exec_lo
	s_or_saveexec_b32 s40, s40
	v_mov_b32_e32 v11, 0x7f800001
	s_xor_b32 exec_lo, exec_lo, s40
	s_cbranch_execnz .LBB4_5218
.LBB4_4872:                             ;   in Loop: Header=BB4_4579 Depth=2
	s_or_b32 exec_lo, exec_lo, s40
	s_and_saveexec_b32 s40, s13
	s_cbranch_execz .LBB4_4874
.LBB4_4873:                             ;   in Loop: Header=BB4_4579 Depth=2
	v_and_b32_e32 v11, 3, v16
	v_bfe_u32 v117, v16, 2, 5
	v_lshlrev_b32_e32 v118, 24, v16
	v_ffbh_u32_e32 v115, v11
	v_cmp_eq_u32_e32 vcc_lo, 0, v117
	v_min_u32_e32 v115, 32, v115
	v_subrev_nc_u32_e32 v116, 29, v115
	v_sub_nc_u32_e32 v115, 30, v115
	v_lshlrev_b32_e32 v116, v116, v16
	v_cndmask_b32_e32 v115, v117, v115, vcc_lo
	v_and_b32_e32 v116, 3, v116
	v_lshl_add_u32 v115, v115, 23, 0x37800000
	v_cndmask_b32_e32 v11, v11, v116, vcc_lo
	v_and_b32_e32 v116, 0x80000000, v118
	v_lshlrev_b32_e32 v11, 21, v11
	v_or3_b32 v11, v116, v115, v11
.LBB4_4874:                             ;   in Loop: Header=BB4_4579 Depth=2
	s_or_b32 exec_lo, exec_lo, s40
	v_cmp_gt_i16_sdwa s40, v12, v100 src0_sel:BYTE_0 src1_sel:DWORD
	s_mov_b32 s13, 0
	s_and_saveexec_b32 s41, s40
	s_xor_b32 s40, exec_lo, s41
	s_cbranch_execz .LBB4_5219
; %bb.4875:                             ;   in Loop: Header=BB4_4579 Depth=2
	v_cmp_eq_u16_sdwa s42, v12, v101 src0_sel:BYTE_0 src1_sel:DWORD
	s_mov_b32 s13, -1
	s_and_saveexec_b32 s41, s42
; %bb.4876:                             ;   in Loop: Header=BB4_4579 Depth=2
	s_xor_b32 s13, exec_lo, -1
; %bb.4877:                             ;   in Loop: Header=BB4_4579 Depth=2
	s_or_b32 exec_lo, exec_lo, s41
	s_and_b32 s13, s13, exec_lo
	s_or_saveexec_b32 s40, s40
	v_mov_b32_e32 v115, 0x7f800001
	s_xor_b32 exec_lo, exec_lo, s40
	s_cbranch_execnz .LBB4_5220
.LBB4_4878:                             ;   in Loop: Header=BB4_4579 Depth=2
	s_or_b32 exec_lo, exec_lo, s40
	s_and_saveexec_b32 s40, s13
.LBB4_4879:                             ;   in Loop: Header=BB4_4579 Depth=2
	v_mov_b32_e32 v115, v10
.LBB4_4880:                             ;   in Loop: Header=BB4_4579 Depth=2
	s_or_b32 exec_lo, exec_lo, s40
	v_max_f32_e32 v115, v115, v115
	v_max_f32_e32 v11, v11, v11
	s_mov_b32 s13, 0
	v_max_f32_e32 v11, v11, v115
.LBB4_4881:                             ;   in Loop: Header=BB4_4579 Depth=2
	s_and_b32 vcc_lo, exec_lo, s13
	s_cbranch_vccz .LBB4_4895
; %bb.4882:                             ;   in Loop: Header=BB4_4579 Depth=2
	v_cmp_gt_i16_sdwa s40, v16, v100 src0_sel:BYTE_0 src1_sel:DWORD
	s_mov_b32 s13, 0
	s_and_saveexec_b32 s41, s40
	s_xor_b32 s40, exec_lo, s41
	s_cbranch_execz .LBB4_5221
; %bb.4883:                             ;   in Loop: Header=BB4_4579 Depth=2
	v_cmp_eq_u16_sdwa s42, v16, v101 src0_sel:BYTE_0 src1_sel:DWORD
	s_mov_b32 s13, -1
	s_and_saveexec_b32 s41, s42
; %bb.4884:                             ;   in Loop: Header=BB4_4579 Depth=2
	s_xor_b32 s13, exec_lo, -1
; %bb.4885:                             ;   in Loop: Header=BB4_4579 Depth=2
	s_or_b32 exec_lo, exec_lo, s41
	s_and_b32 s13, s13, exec_lo
	s_or_saveexec_b32 s40, s40
	v_mov_b32_e32 v11, 0x7f800001
	s_xor_b32 exec_lo, exec_lo, s40
	s_cbranch_execnz .LBB4_5222
.LBB4_4886:                             ;   in Loop: Header=BB4_4579 Depth=2
	s_or_b32 exec_lo, exec_lo, s40
	s_and_saveexec_b32 s40, s13
	s_cbranch_execz .LBB4_4888
.LBB4_4887:                             ;   in Loop: Header=BB4_4579 Depth=2
	v_and_b32_e32 v11, 3, v16
	v_bfe_u32 v117, v16, 2, 5
	v_lshlrev_b32_e32 v118, 24, v16
	v_ffbh_u32_e32 v115, v11
	v_cmp_eq_u32_e32 vcc_lo, 0, v117
	v_min_u32_e32 v115, 32, v115
	v_subrev_nc_u32_e32 v116, 29, v115
	v_sub_nc_u32_e32 v115, 30, v115
	v_lshlrev_b32_e32 v116, v116, v16
	v_cndmask_b32_e32 v115, v117, v115, vcc_lo
	v_and_b32_e32 v116, 3, v116
	v_lshl_add_u32 v115, v115, 23, 0x37800000
	v_cndmask_b32_e32 v11, v11, v116, vcc_lo
	v_and_b32_e32 v116, 0x80000000, v118
	v_lshlrev_b32_e32 v11, 21, v11
	v_or3_b32 v11, v116, v115, v11
.LBB4_4888:                             ;   in Loop: Header=BB4_4579 Depth=2
	s_or_b32 exec_lo, exec_lo, s40
	v_cmp_gt_i16_sdwa s40, v12, v100 src0_sel:BYTE_0 src1_sel:DWORD
	s_mov_b32 s13, 0
	s_and_saveexec_b32 s41, s40
	s_xor_b32 s40, exec_lo, s41
	s_cbranch_execz .LBB4_5223
; %bb.4889:                             ;   in Loop: Header=BB4_4579 Depth=2
	v_cmp_eq_u16_sdwa s42, v12, v101 src0_sel:BYTE_0 src1_sel:DWORD
	s_mov_b32 s13, -1
	s_and_saveexec_b32 s41, s42
; %bb.4890:                             ;   in Loop: Header=BB4_4579 Depth=2
	s_xor_b32 s13, exec_lo, -1
; %bb.4891:                             ;   in Loop: Header=BB4_4579 Depth=2
	s_or_b32 exec_lo, exec_lo, s41
	s_and_b32 s13, s13, exec_lo
	s_or_saveexec_b32 s40, s40
	v_mov_b32_e32 v115, 0x7f800001
	s_xor_b32 exec_lo, exec_lo, s40
	s_cbranch_execnz .LBB4_5224
.LBB4_4892:                             ;   in Loop: Header=BB4_4579 Depth=2
	s_or_b32 exec_lo, exec_lo, s40
	s_and_saveexec_b32 s40, s13
.LBB4_4893:                             ;   in Loop: Header=BB4_4579 Depth=2
	v_mov_b32_e32 v115, v10
.LBB4_4894:                             ;   in Loop: Header=BB4_4579 Depth=2
	s_or_b32 exec_lo, exec_lo, s40
	v_max_f32_e32 v10, v115, v115
	v_max_f32_e32 v11, v11, v11
	v_min_f32_e32 v11, v11, v10
.LBB4_4895:                             ;   in Loop: Header=BB4_4579 Depth=2
	v_and_b32_e32 v10, 0x7f800000, v11
	v_mov_b32_e32 v115, 0x80
	s_mov_b32 s40, exec_lo
	v_cmpx_ne_u32_e32 0x7f800000, v10
	s_cbranch_execz .LBB4_4903
; %bb.4896:                             ;   in Loop: Header=BB4_4579 Depth=2
	v_mov_b32_e32 v115, 0
	s_mov_b32 s41, exec_lo
	v_cmpx_ne_u32_e32 0, v11
	s_cbranch_execz .LBB4_4902
; %bb.4897:                             ;   in Loop: Header=BB4_4579 Depth=2
	v_bfe_u32 v10, v11, 23, 8
	v_and_b32_e32 v115, 0x7fffff, v11
	v_sub_nc_u32_e32 v116, 0x70, v10
	v_cmp_gt_u32_e32 vcc_lo, 0x71, v10
	v_or_b32_e32 v117, 0x800000, v115
	v_cndmask_b32_e32 v116, 0, v116, vcc_lo
	v_cmp_eq_u32_e32 vcc_lo, 0, v10
	v_add_nc_u32_e32 v10, 0xffffff91, v10
	v_cndmask_b32_e64 v116, v116, 0x6f, vcc_lo
	v_cndmask_b32_e32 v115, v117, v115, vcc_lo
	v_cndmask_b32_e64 v10, v10, 0xffffff92, vcc_lo
	v_lshl_add_u32 v117, 0x200000, v116, -1
	v_lshrrev_b32_e32 v118, v116, v115
	v_lshlrev_b32_e64 v40, v116, 0x100000
	v_add_nc_u32_e32 v116, v116, v10
	v_and_b32_e32 v115, v117, v115
	v_bfe_u32 v119, v118, 21, 1
	v_cmp_eq_u32_e64 s13, v115, v40
	v_add_nc_u32_e32 v117, -1, v119
	v_cndmask_b32_e64 v115, 0, v117, s13
	v_lshrrev_b32_e32 v117, 23, v118
	s_mov_b32 s13, exec_lo
	v_add_nc_u32_e32 v115, v115, v118
	v_xor_b32_e32 v117, 1, v117
	v_and_b32_e32 v10, 0x1fffff, v115
	v_add_nc_u32_e32 v115, v10, v118
                                        ; implicit-def: $vgpr10
	v_cmpx_ne_u32_e64 v116, v117
	s_xor_b32 s13, exec_lo, s13
; %bb.4898:                             ;   in Loop: Header=BB4_4579 Depth=2
	v_cmp_lt_u32_e32 vcc_lo, 0xffffff, v115
	v_sub_nc_u32_e32 v10, v116, v117
	v_cndmask_b32_e64 v116, 0, 1, vcc_lo
	v_add_co_ci_u32_e64 v10, null, 0, v10, vcc_lo
	v_lshrrev_b32_e32 v115, v116, v115
; %bb.4899:                             ;   in Loop: Header=BB4_4579 Depth=2
	s_andn2_saveexec_b32 s13, s13
; %bb.4900:                             ;   in Loop: Header=BB4_4579 Depth=2
	v_bfe_u32 v10, v115, 23, 1
; %bb.4901:                             ;   in Loop: Header=BB4_4579 Depth=2
	s_or_b32 exec_lo, exec_lo, s13
	v_lshrrev_b32_e32 v115, 21, v115
	v_min_i32_e32 v116, 31, v10
	v_cmp_gt_i32_e32 vcc_lo, 32, v10
	v_and_b32_sdwa v11, v11, v101 dst_sel:DWORD dst_unused:UNUSED_PAD src0_sel:BYTE_3 src1_sel:DWORD
	v_lshlrev_b32_e32 v116, 2, v116
	v_cndmask_b32_e32 v115, 3, v115, vcc_lo
	v_and_b32_e32 v116, 0xfc, v116
	v_and_b32_e32 v117, 3, v115
	v_or_b32_e32 v10, v10, v115
	v_or3_b32 v11, v116, v11, v117
	v_cmp_ne_u32_e32 vcc_lo, 0, v10
	v_cndmask_b32_e32 v115, 0, v11, vcc_lo
.LBB4_4902:                             ;   in Loop: Header=BB4_4579 Depth=2
	s_or_b32 exec_lo, exec_lo, s41
.LBB4_4903:                             ;   in Loop: Header=BB4_4579 Depth=2
	s_or_b32 exec_lo, exec_lo, s40
	v_and_b32_sdwa v10, v102, v12 dst_sel:DWORD dst_unused:UNUSED_PAD src0_sel:DWORD src1_sel:BYTE_1
	v_cmp_gt_i16_sdwa s40, v16, v100 src0_sel:BYTE_1 src1_sel:DWORD
	s_mov_b32 s13, -1
	v_and_b32_e32 v11, 3, v10
	v_bfe_u32 v118, v10, 2, 5
	v_ffbh_u32_e32 v116, v11
	v_cmp_eq_u32_e32 vcc_lo, 0, v118
	v_min_u32_e32 v116, 32, v116
	v_subrev_nc_u32_e32 v117, 29, v116
	v_sub_nc_u32_e32 v116, 30, v116
	v_lshlrev_b32_e32 v10, v117, v10
	v_lshlrev_b32_sdwa v117, v112, v12 dst_sel:DWORD dst_unused:UNUSED_PAD src0_sel:DWORD src1_sel:BYTE_1
	v_cndmask_b32_e32 v116, v118, v116, vcc_lo
	v_and_b32_e32 v10, 3, v10
	v_lshl_add_u32 v116, v116, 23, 0x37800000
	v_cndmask_b32_e32 v10, v11, v10, vcc_lo
	v_and_b32_e32 v11, 0x80000000, v117
	s_and_b32 vcc_lo, exec_lo, s29
	v_lshlrev_b32_e32 v10, 21, v10
	v_or3_b32 v10, v11, v116, v10
                                        ; implicit-def: $vgpr11
	s_cbranch_vccz .LBB4_4917
; %bb.4904:                             ;   in Loop: Header=BB4_4579 Depth=2
	s_mov_b32 s13, 0
	s_and_saveexec_b32 s41, s40
	s_xor_b32 s40, exec_lo, s41
	s_cbranch_execz .LBB4_5225
; %bb.4905:                             ;   in Loop: Header=BB4_4579 Depth=2
	v_cmp_eq_u16_sdwa s42, v16, v101 src0_sel:BYTE_1 src1_sel:DWORD
	s_mov_b32 s13, -1
	s_and_saveexec_b32 s41, s42
; %bb.4906:                             ;   in Loop: Header=BB4_4579 Depth=2
	s_xor_b32 s13, exec_lo, -1
; %bb.4907:                             ;   in Loop: Header=BB4_4579 Depth=2
	s_or_b32 exec_lo, exec_lo, s41
	s_and_b32 s13, s13, exec_lo
	s_or_saveexec_b32 s40, s40
	v_mov_b32_e32 v11, 0x7f800001
	s_xor_b32 exec_lo, exec_lo, s40
	s_cbranch_execnz .LBB4_5226
.LBB4_4908:                             ;   in Loop: Header=BB4_4579 Depth=2
	s_or_b32 exec_lo, exec_lo, s40
	s_and_saveexec_b32 s40, s13
	s_cbranch_execz .LBB4_4910
.LBB4_4909:                             ;   in Loop: Header=BB4_4579 Depth=2
	v_and_b32_sdwa v11, v102, v16 dst_sel:DWORD dst_unused:UNUSED_PAD src0_sel:DWORD src1_sel:BYTE_1
	v_and_b32_e32 v116, 3, v11
	v_bfe_u32 v119, v11, 2, 5
	v_ffbh_u32_e32 v117, v116
	v_cmp_eq_u32_e32 vcc_lo, 0, v119
	v_min_u32_e32 v117, 32, v117
	v_subrev_nc_u32_e32 v118, 29, v117
	v_sub_nc_u32_e32 v117, 30, v117
	v_lshlrev_b32_e32 v11, v118, v11
	v_lshlrev_b32_e32 v118, 16, v16
	v_cndmask_b32_e32 v117, v119, v117, vcc_lo
	v_and_b32_e32 v11, 3, v11
	v_lshl_add_u32 v117, v117, 23, 0x37800000
	v_cndmask_b32_e32 v11, v116, v11, vcc_lo
	v_and_b32_e32 v116, 0x80000000, v118
	v_lshlrev_b32_e32 v11, 21, v11
	v_or3_b32 v11, v116, v117, v11
.LBB4_4910:                             ;   in Loop: Header=BB4_4579 Depth=2
	s_or_b32 exec_lo, exec_lo, s40
	v_cmp_gt_i16_sdwa s40, v12, v100 src0_sel:BYTE_1 src1_sel:DWORD
	s_mov_b32 s13, 0
	s_and_saveexec_b32 s41, s40
	s_xor_b32 s40, exec_lo, s41
	s_cbranch_execz .LBB4_5227
; %bb.4911:                             ;   in Loop: Header=BB4_4579 Depth=2
	v_cmp_eq_u16_sdwa s42, v12, v101 src0_sel:BYTE_1 src1_sel:DWORD
	s_mov_b32 s13, -1
	s_and_saveexec_b32 s41, s42
; %bb.4912:                             ;   in Loop: Header=BB4_4579 Depth=2
	s_xor_b32 s13, exec_lo, -1
; %bb.4913:                             ;   in Loop: Header=BB4_4579 Depth=2
	s_or_b32 exec_lo, exec_lo, s41
	s_and_b32 s13, s13, exec_lo
	s_or_saveexec_b32 s40, s40
	v_mov_b32_e32 v116, 0x7f800001
	s_xor_b32 exec_lo, exec_lo, s40
	s_cbranch_execnz .LBB4_5228
.LBB4_4914:                             ;   in Loop: Header=BB4_4579 Depth=2
	s_or_b32 exec_lo, exec_lo, s40
	s_and_saveexec_b32 s40, s13
.LBB4_4915:                             ;   in Loop: Header=BB4_4579 Depth=2
	v_mov_b32_e32 v116, v10
.LBB4_4916:                             ;   in Loop: Header=BB4_4579 Depth=2
	s_or_b32 exec_lo, exec_lo, s40
	v_max_f32_e32 v116, v116, v116
	v_max_f32_e32 v11, v11, v11
	s_mov_b32 s13, 0
	v_max_f32_e32 v11, v11, v116
.LBB4_4917:                             ;   in Loop: Header=BB4_4579 Depth=2
	s_and_b32 vcc_lo, exec_lo, s13
	s_cbranch_vccz .LBB4_4931
; %bb.4918:                             ;   in Loop: Header=BB4_4579 Depth=2
	v_cmp_gt_i16_sdwa s40, v16, v100 src0_sel:BYTE_1 src1_sel:DWORD
	s_mov_b32 s13, 0
	s_and_saveexec_b32 s41, s40
	s_xor_b32 s40, exec_lo, s41
	s_cbranch_execz .LBB4_5229
; %bb.4919:                             ;   in Loop: Header=BB4_4579 Depth=2
	v_cmp_eq_u16_sdwa s42, v16, v101 src0_sel:BYTE_1 src1_sel:DWORD
	s_mov_b32 s13, -1
	s_and_saveexec_b32 s41, s42
; %bb.4920:                             ;   in Loop: Header=BB4_4579 Depth=2
	s_xor_b32 s13, exec_lo, -1
; %bb.4921:                             ;   in Loop: Header=BB4_4579 Depth=2
	s_or_b32 exec_lo, exec_lo, s41
	s_and_b32 s13, s13, exec_lo
	s_or_saveexec_b32 s40, s40
	v_mov_b32_e32 v11, 0x7f800001
	s_xor_b32 exec_lo, exec_lo, s40
	s_cbranch_execnz .LBB4_5230
.LBB4_4922:                             ;   in Loop: Header=BB4_4579 Depth=2
	s_or_b32 exec_lo, exec_lo, s40
	s_and_saveexec_b32 s40, s13
	s_cbranch_execz .LBB4_4924
.LBB4_4923:                             ;   in Loop: Header=BB4_4579 Depth=2
	v_and_b32_sdwa v11, v102, v16 dst_sel:DWORD dst_unused:UNUSED_PAD src0_sel:DWORD src1_sel:BYTE_1
	v_and_b32_e32 v116, 3, v11
	v_bfe_u32 v119, v11, 2, 5
	v_ffbh_u32_e32 v117, v116
	v_cmp_eq_u32_e32 vcc_lo, 0, v119
	v_min_u32_e32 v117, 32, v117
	v_subrev_nc_u32_e32 v118, 29, v117
	v_sub_nc_u32_e32 v117, 30, v117
	v_lshlrev_b32_e32 v11, v118, v11
	v_lshlrev_b32_e32 v118, 16, v16
	v_cndmask_b32_e32 v117, v119, v117, vcc_lo
	v_and_b32_e32 v11, 3, v11
	v_lshl_add_u32 v117, v117, 23, 0x37800000
	v_cndmask_b32_e32 v11, v116, v11, vcc_lo
	v_and_b32_e32 v116, 0x80000000, v118
	v_lshlrev_b32_e32 v11, 21, v11
	v_or3_b32 v11, v116, v117, v11
.LBB4_4924:                             ;   in Loop: Header=BB4_4579 Depth=2
	s_or_b32 exec_lo, exec_lo, s40
	v_cmp_gt_i16_sdwa s40, v12, v100 src0_sel:BYTE_1 src1_sel:DWORD
	s_mov_b32 s13, 0
	s_and_saveexec_b32 s41, s40
	s_xor_b32 s40, exec_lo, s41
	s_cbranch_execz .LBB4_5231
; %bb.4925:                             ;   in Loop: Header=BB4_4579 Depth=2
	v_cmp_eq_u16_sdwa s42, v12, v101 src0_sel:BYTE_1 src1_sel:DWORD
	s_mov_b32 s13, -1
	s_and_saveexec_b32 s41, s42
; %bb.4926:                             ;   in Loop: Header=BB4_4579 Depth=2
	s_xor_b32 s13, exec_lo, -1
; %bb.4927:                             ;   in Loop: Header=BB4_4579 Depth=2
	s_or_b32 exec_lo, exec_lo, s41
	s_and_b32 s13, s13, exec_lo
	s_or_saveexec_b32 s40, s40
	v_mov_b32_e32 v116, 0x7f800001
	s_xor_b32 exec_lo, exec_lo, s40
	s_cbranch_execnz .LBB4_5232
.LBB4_4928:                             ;   in Loop: Header=BB4_4579 Depth=2
	s_or_b32 exec_lo, exec_lo, s40
	s_and_saveexec_b32 s40, s13
.LBB4_4929:                             ;   in Loop: Header=BB4_4579 Depth=2
	v_mov_b32_e32 v116, v10
.LBB4_4930:                             ;   in Loop: Header=BB4_4579 Depth=2
	s_or_b32 exec_lo, exec_lo, s40
	v_max_f32_e32 v10, v116, v116
	v_max_f32_e32 v11, v11, v11
	v_min_f32_e32 v11, v11, v10
.LBB4_4931:                             ;   in Loop: Header=BB4_4579 Depth=2
	v_and_b32_e32 v10, 0x7f800000, v11
	v_mov_b32_e32 v116, 0x8000
	s_mov_b32 s40, exec_lo
	v_cmpx_ne_u32_e32 0x7f800000, v10
	s_cbranch_execz .LBB4_4939
; %bb.4932:                             ;   in Loop: Header=BB4_4579 Depth=2
	v_mov_b32_e32 v116, 0
	s_mov_b32 s41, exec_lo
	v_cmpx_ne_u32_e32 0, v11
	s_cbranch_execz .LBB4_4938
; %bb.4933:                             ;   in Loop: Header=BB4_4579 Depth=2
	v_bfe_u32 v10, v11, 23, 8
	v_and_b32_e32 v116, 0x7fffff, v11
	v_sub_nc_u32_e32 v117, 0x70, v10
	v_cmp_gt_u32_e32 vcc_lo, 0x71, v10
	v_or_b32_e32 v118, 0x800000, v116
	v_cndmask_b32_e32 v117, 0, v117, vcc_lo
	v_cmp_eq_u32_e32 vcc_lo, 0, v10
	v_add_nc_u32_e32 v10, 0xffffff91, v10
	v_cndmask_b32_e64 v117, v117, 0x6f, vcc_lo
	v_cndmask_b32_e32 v116, v118, v116, vcc_lo
	v_cndmask_b32_e64 v10, v10, 0xffffff92, vcc_lo
	v_lshl_add_u32 v118, 0x200000, v117, -1
	v_lshrrev_b32_e32 v119, v117, v116
	v_lshlrev_b32_e64 v41, v117, 0x100000
	v_add_nc_u32_e32 v117, v117, v10
	v_and_b32_e32 v116, v118, v116
	v_bfe_u32 v40, v119, 21, 1
	v_cmp_eq_u32_e64 s13, v116, v41
	v_add_nc_u32_e32 v118, -1, v40
	v_cndmask_b32_e64 v116, 0, v118, s13
	v_lshrrev_b32_e32 v118, 23, v119
	s_mov_b32 s13, exec_lo
	v_add_nc_u32_e32 v116, v116, v119
	v_xor_b32_e32 v118, 1, v118
	v_and_b32_e32 v10, 0x1fffff, v116
	v_add_nc_u32_e32 v116, v10, v119
                                        ; implicit-def: $vgpr10
	v_cmpx_ne_u32_e64 v117, v118
	s_xor_b32 s13, exec_lo, s13
; %bb.4934:                             ;   in Loop: Header=BB4_4579 Depth=2
	v_cmp_lt_u32_e32 vcc_lo, 0xffffff, v116
	v_sub_nc_u32_e32 v10, v117, v118
	v_cndmask_b32_e64 v117, 0, 1, vcc_lo
	v_add_co_ci_u32_e64 v10, null, 0, v10, vcc_lo
	v_lshrrev_b32_e32 v116, v117, v116
; %bb.4935:                             ;   in Loop: Header=BB4_4579 Depth=2
	s_andn2_saveexec_b32 s13, s13
; %bb.4936:                             ;   in Loop: Header=BB4_4579 Depth=2
	v_bfe_u32 v10, v116, 23, 1
; %bb.4937:                             ;   in Loop: Header=BB4_4579 Depth=2
	s_or_b32 exec_lo, exec_lo, s13
	v_lshrrev_b32_e32 v116, 21, v116
	v_min_i32_e32 v117, 31, v10
	v_cmp_gt_i32_e32 vcc_lo, 32, v10
	v_and_b32_sdwa v11, v11, v101 dst_sel:DWORD dst_unused:UNUSED_PAD src0_sel:BYTE_3 src1_sel:DWORD
	v_lshlrev_b32_e32 v117, 2, v117
	v_cndmask_b32_e32 v116, 3, v116, vcc_lo
	v_and_b32_e32 v117, 0xfc, v117
	v_and_b32_e32 v118, 3, v116
	v_or_b32_e32 v10, v10, v116
	v_or3_b32 v11, v11, v117, v118
	v_cmp_ne_u32_e32 vcc_lo, 0, v10
	v_lshlrev_b32_e32 v11, 8, v11
	v_cndmask_b32_e32 v116, 0, v11, vcc_lo
.LBB4_4938:                             ;   in Loop: Header=BB4_4579 Depth=2
	s_or_b32 exec_lo, exec_lo, s41
.LBB4_4939:                             ;   in Loop: Header=BB4_4579 Depth=2
	s_or_b32 exec_lo, exec_lo, s40
	v_bfe_u32 v10, v12, 16, 2
	v_bfe_u32 v118, v12, 18, 5
	v_lshlrev_b32_e32 v119, 8, v12
	s_mov_b32 s40, -1
	v_ffbh_u32_e32 v11, v10
	v_cmp_eq_u32_e32 vcc_lo, 0, v118
	v_min_u32_e32 v11, 32, v11
	v_subrev_nc_u32_e32 v117, 29, v11
	v_sub_nc_u32_e32 v11, 30, v11
	v_lshlrev_b32_sdwa v117, v117, v12 dst_sel:DWORD dst_unused:UNUSED_PAD src0_sel:DWORD src1_sel:WORD_1
	v_cndmask_b32_e32 v11, v118, v11, vcc_lo
	v_and_b32_e32 v117, 3, v117
	v_lshl_add_u32 v118, v11, 23, 0x37800000
	v_and_b32_sdwa v11, v16, v103 dst_sel:DWORD dst_unused:UNUSED_PAD src0_sel:WORD_1 src1_sel:DWORD
	v_cndmask_b32_e32 v10, v10, v117, vcc_lo
	v_and_b32_e32 v117, 0x80000000, v119
	v_cmp_lt_i16_e64 s13, 0x7f, v11
	s_and_b32 vcc_lo, exec_lo, s29
	v_lshlrev_b32_e32 v10, 21, v10
	v_or3_b32 v10, v117, v118, v10
                                        ; implicit-def: $vgpr118
	s_cbranch_vccz .LBB4_4953
; %bb.4940:                             ;   in Loop: Header=BB4_4579 Depth=2
	s_mov_b32 s40, 0
	s_and_saveexec_b32 s41, s13
	s_xor_b32 s13, exec_lo, s41
	s_cbranch_execz .LBB4_5233
; %bb.4941:                             ;   in Loop: Header=BB4_4579 Depth=2
	s_mov_b32 s40, -1
	s_mov_b32 s41, exec_lo
	v_cmpx_eq_u16_e32 0x80, v11
; %bb.4942:                             ;   in Loop: Header=BB4_4579 Depth=2
	s_xor_b32 s40, exec_lo, -1
; %bb.4943:                             ;   in Loop: Header=BB4_4579 Depth=2
	s_or_b32 exec_lo, exec_lo, s41
	s_and_b32 s40, s40, exec_lo
	s_or_saveexec_b32 s13, s13
	v_mov_b32_e32 v117, 0x7f800001
	s_xor_b32 exec_lo, exec_lo, s13
	s_cbranch_execnz .LBB4_5234
.LBB4_4944:                             ;   in Loop: Header=BB4_4579 Depth=2
	s_or_b32 exec_lo, exec_lo, s13
	s_and_saveexec_b32 s13, s40
	s_cbranch_execz .LBB4_4946
.LBB4_4945:                             ;   in Loop: Header=BB4_4579 Depth=2
	v_bfe_u32 v117, v16, 16, 2
	v_bfe_u32 v40, v16, 18, 5
	v_lshlrev_b32_sdwa v41, v112, v16 dst_sel:DWORD dst_unused:UNUSED_PAD src0_sel:DWORD src1_sel:WORD_1
	v_ffbh_u32_e32 v118, v117
	v_cmp_eq_u32_e32 vcc_lo, 0, v40
	v_min_u32_e32 v118, 32, v118
	v_subrev_nc_u32_e32 v119, 29, v118
	v_sub_nc_u32_e32 v118, 30, v118
	v_lshlrev_b32_sdwa v119, v119, v16 dst_sel:DWORD dst_unused:UNUSED_PAD src0_sel:DWORD src1_sel:WORD_1
	v_cndmask_b32_e32 v118, v40, v118, vcc_lo
	v_and_b32_e32 v119, 3, v119
	v_lshl_add_u32 v118, v118, 23, 0x37800000
	v_cndmask_b32_e32 v117, v117, v119, vcc_lo
	v_and_b32_e32 v119, 0x80000000, v41
	v_lshlrev_b32_e32 v117, 21, v117
	v_or3_b32 v117, v119, v118, v117
.LBB4_4946:                             ;   in Loop: Header=BB4_4579 Depth=2
	s_or_b32 exec_lo, exec_lo, s13
	v_and_b32_sdwa v119, v12, v103 dst_sel:DWORD dst_unused:UNUSED_PAD src0_sel:WORD_1 src1_sel:DWORD
	s_mov_b32 s13, 0
	s_mov_b32 s40, exec_lo
	v_cmpx_lt_i16_e32 0x7f, v119
	s_xor_b32 s40, exec_lo, s40
	s_cbranch_execz .LBB4_5235
; %bb.4947:                             ;   in Loop: Header=BB4_4579 Depth=2
	s_mov_b32 s13, -1
	s_mov_b32 s41, exec_lo
	v_cmpx_eq_u16_e32 0x80, v119
; %bb.4948:                             ;   in Loop: Header=BB4_4579 Depth=2
	s_xor_b32 s13, exec_lo, -1
; %bb.4949:                             ;   in Loop: Header=BB4_4579 Depth=2
	s_or_b32 exec_lo, exec_lo, s41
	s_and_b32 s13, s13, exec_lo
                                        ; implicit-def: $vgpr119
	s_or_saveexec_b32 s40, s40
	v_mov_b32_e32 v118, 0x7f800001
	s_xor_b32 exec_lo, exec_lo, s40
	s_cbranch_execnz .LBB4_5236
.LBB4_4950:                             ;   in Loop: Header=BB4_4579 Depth=2
	s_or_b32 exec_lo, exec_lo, s40
	s_and_saveexec_b32 s40, s13
.LBB4_4951:                             ;   in Loop: Header=BB4_4579 Depth=2
	v_mov_b32_e32 v118, v10
.LBB4_4952:                             ;   in Loop: Header=BB4_4579 Depth=2
	s_or_b32 exec_lo, exec_lo, s40
	v_max_f32_e32 v118, v118, v118
	v_max_f32_e32 v117, v117, v117
	s_mov_b32 s40, 0
	v_max_f32_e32 v118, v117, v118
.LBB4_4953:                             ;   in Loop: Header=BB4_4579 Depth=2
	s_and_b32 vcc_lo, exec_lo, s40
	s_cbranch_vccz .LBB4_4967
; %bb.4954:                             ;   in Loop: Header=BB4_4579 Depth=2
	s_mov_b32 s13, 0
	s_mov_b32 s40, exec_lo
	v_cmpx_lt_i16_e32 0x7f, v11
	s_xor_b32 s40, exec_lo, s40
	s_cbranch_execz .LBB4_5237
; %bb.4955:                             ;   in Loop: Header=BB4_4579 Depth=2
	s_mov_b32 s13, -1
	s_mov_b32 s41, exec_lo
	v_cmpx_eq_u16_e32 0x80, v11
; %bb.4956:                             ;   in Loop: Header=BB4_4579 Depth=2
	s_xor_b32 s13, exec_lo, -1
; %bb.4957:                             ;   in Loop: Header=BB4_4579 Depth=2
	s_or_b32 exec_lo, exec_lo, s41
	s_and_b32 s13, s13, exec_lo
                                        ; implicit-def: $vgpr11
	s_or_saveexec_b32 s40, s40
	v_mov_b32_e32 v117, 0x7f800001
	s_xor_b32 exec_lo, exec_lo, s40
	s_cbranch_execnz .LBB4_5238
.LBB4_4958:                             ;   in Loop: Header=BB4_4579 Depth=2
	s_or_b32 exec_lo, exec_lo, s40
	s_and_saveexec_b32 s40, s13
	s_cbranch_execz .LBB4_4960
.LBB4_4959:                             ;   in Loop: Header=BB4_4579 Depth=2
	v_bfe_u32 v11, v16, 16, 2
	v_bfe_u32 v119, v16, 18, 5
	v_lshlrev_b32_sdwa v40, v112, v16 dst_sel:DWORD dst_unused:UNUSED_PAD src0_sel:DWORD src1_sel:WORD_1
	v_ffbh_u32_e32 v117, v11
	v_cmp_eq_u32_e32 vcc_lo, 0, v119
	v_min_u32_e32 v117, 32, v117
	v_subrev_nc_u32_e32 v118, 29, v117
	v_sub_nc_u32_e32 v117, 30, v117
	v_lshlrev_b32_sdwa v118, v118, v16 dst_sel:DWORD dst_unused:UNUSED_PAD src0_sel:DWORD src1_sel:WORD_1
	v_cndmask_b32_e32 v117, v119, v117, vcc_lo
	v_and_b32_e32 v118, 3, v118
	v_lshl_add_u32 v117, v117, 23, 0x37800000
	v_cndmask_b32_e32 v11, v11, v118, vcc_lo
	v_and_b32_e32 v118, 0x80000000, v40
	v_lshlrev_b32_e32 v11, 21, v11
	v_or3_b32 v117, v118, v117, v11
.LBB4_4960:                             ;   in Loop: Header=BB4_4579 Depth=2
	s_or_b32 exec_lo, exec_lo, s40
	v_and_b32_sdwa v118, v12, v103 dst_sel:DWORD dst_unused:UNUSED_PAD src0_sel:WORD_1 src1_sel:DWORD
	s_mov_b32 s13, 0
	s_mov_b32 s40, exec_lo
	v_cmpx_lt_i16_e32 0x7f, v118
	s_xor_b32 s40, exec_lo, s40
	s_cbranch_execz .LBB4_5239
; %bb.4961:                             ;   in Loop: Header=BB4_4579 Depth=2
	s_mov_b32 s13, -1
	s_mov_b32 s41, exec_lo
	v_cmpx_eq_u16_e32 0x80, v118
; %bb.4962:                             ;   in Loop: Header=BB4_4579 Depth=2
	s_xor_b32 s13, exec_lo, -1
; %bb.4963:                             ;   in Loop: Header=BB4_4579 Depth=2
	s_or_b32 exec_lo, exec_lo, s41
	s_and_b32 s13, s13, exec_lo
                                        ; implicit-def: $vgpr118
	s_or_saveexec_b32 s40, s40
	v_mov_b32_e32 v11, 0x7f800001
	s_xor_b32 exec_lo, exec_lo, s40
	s_cbranch_execnz .LBB4_5240
.LBB4_4964:                             ;   in Loop: Header=BB4_4579 Depth=2
	s_or_b32 exec_lo, exec_lo, s40
	s_and_saveexec_b32 s40, s13
.LBB4_4965:                             ;   in Loop: Header=BB4_4579 Depth=2
	v_mov_b32_e32 v11, v10
.LBB4_4966:                             ;   in Loop: Header=BB4_4579 Depth=2
	s_or_b32 exec_lo, exec_lo, s40
	v_max_f32_e32 v10, v11, v11
	v_max_f32_e32 v11, v117, v117
	v_min_f32_e32 v118, v11, v10
.LBB4_4967:                             ;   in Loop: Header=BB4_4579 Depth=2
	v_and_b32_e32 v10, 0x7f800000, v118
	v_mov_b32_e32 v117, 0x80
	s_mov_b32 s40, exec_lo
	v_cmpx_ne_u32_e32 0x7f800000, v10
	s_cbranch_execz .LBB4_4975
; %bb.4968:                             ;   in Loop: Header=BB4_4579 Depth=2
	v_mov_b32_e32 v117, 0
	s_mov_b32 s41, exec_lo
	v_cmpx_ne_u32_e32 0, v118
	s_cbranch_execz .LBB4_4974
; %bb.4969:                             ;   in Loop: Header=BB4_4579 Depth=2
	v_bfe_u32 v10, v118, 23, 8
	v_and_b32_e32 v11, 0x7fffff, v118
	v_sub_nc_u32_e32 v117, 0x70, v10
	v_cmp_gt_u32_e32 vcc_lo, 0x71, v10
	v_or_b32_e32 v119, 0x800000, v11
	v_cndmask_b32_e32 v117, 0, v117, vcc_lo
	v_cmp_eq_u32_e32 vcc_lo, 0, v10
	v_add_nc_u32_e32 v10, 0xffffff91, v10
	v_cndmask_b32_e64 v117, v117, 0x6f, vcc_lo
	v_cndmask_b32_e32 v11, v119, v11, vcc_lo
	v_cndmask_b32_e64 v10, v10, 0xffffff92, vcc_lo
	v_lshl_add_u32 v119, 0x200000, v117, -1
	v_lshrrev_b32_e32 v40, v117, v11
	v_lshlrev_b32_e64 v42, v117, 0x100000
	v_add_nc_u32_e32 v117, v117, v10
	v_and_b32_e32 v11, v119, v11
	v_bfe_u32 v41, v40, 21, 1
	v_cmp_eq_u32_e64 s13, v11, v42
	v_add_nc_u32_e32 v119, -1, v41
	v_cndmask_b32_e64 v11, 0, v119, s13
	v_lshrrev_b32_e32 v119, 23, v40
	s_mov_b32 s13, exec_lo
	v_add_nc_u32_e32 v11, v11, v40
	v_xor_b32_e32 v119, 1, v119
	v_and_b32_e32 v10, 0x1fffff, v11
	v_add_nc_u32_e32 v11, v10, v40
                                        ; implicit-def: $vgpr10
	v_cmpx_ne_u32_e64 v117, v119
	s_xor_b32 s13, exec_lo, s13
; %bb.4970:                             ;   in Loop: Header=BB4_4579 Depth=2
	v_cmp_lt_u32_e32 vcc_lo, 0xffffff, v11
	v_sub_nc_u32_e32 v10, v117, v119
	v_cndmask_b32_e64 v117, 0, 1, vcc_lo
	v_add_co_ci_u32_e64 v10, null, 0, v10, vcc_lo
	v_lshrrev_b32_e32 v11, v117, v11
; %bb.4971:                             ;   in Loop: Header=BB4_4579 Depth=2
	s_andn2_saveexec_b32 s13, s13
; %bb.4972:                             ;   in Loop: Header=BB4_4579 Depth=2
	v_bfe_u32 v10, v11, 23, 1
; %bb.4973:                             ;   in Loop: Header=BB4_4579 Depth=2
	s_or_b32 exec_lo, exec_lo, s13
	v_lshrrev_b32_e32 v11, 21, v11
	v_min_i32_e32 v117, 31, v10
	v_cmp_gt_i32_e32 vcc_lo, 32, v10
	v_and_b32_sdwa v118, v118, v101 dst_sel:DWORD dst_unused:UNUSED_PAD src0_sel:BYTE_3 src1_sel:DWORD
	v_lshlrev_b32_e32 v117, 2, v117
	v_cndmask_b32_e32 v11, 3, v11, vcc_lo
	v_and_b32_e32 v117, 0xfc, v117
	v_and_b32_e32 v119, 3, v11
	v_or_b32_e32 v10, v10, v11
	v_or3_b32 v11, v117, v118, v119
	v_cmp_ne_u32_e32 vcc_lo, 0, v10
	v_cndmask_b32_e32 v117, 0, v11, vcc_lo
.LBB4_4974:                             ;   in Loop: Header=BB4_4579 Depth=2
	s_or_b32 exec_lo, exec_lo, s41
.LBB4_4975:                             ;   in Loop: Header=BB4_4579 Depth=2
	s_or_b32 exec_lo, exec_lo, s40
	v_bfe_u32 v10, v12, 24, 2
	v_bfe_u32 v119, v12, 26, 5
	v_cmp_gt_i16_sdwa s40, v16, v100 src0_sel:BYTE_3 src1_sel:DWORD
	s_mov_b32 s13, -1
	v_ffbh_u32_e32 v11, v10
	v_cmp_eq_u32_e32 vcc_lo, 0, v119
	v_min_u32_e32 v11, 32, v11
	v_subrev_nc_u32_e32 v118, 29, v11
	v_sub_nc_u32_e32 v11, 30, v11
	v_lshlrev_b32_sdwa v118, v118, v12 dst_sel:DWORD dst_unused:UNUSED_PAD src0_sel:DWORD src1_sel:BYTE_3
	v_cndmask_b32_e32 v11, v119, v11, vcc_lo
	v_and_b32_e32 v118, 3, v118
	v_lshl_add_u32 v11, v11, 23, 0x37800000
	v_cndmask_b32_e32 v10, v10, v118, vcc_lo
	v_and_b32_e32 v118, 0x80000000, v12
	s_and_b32 vcc_lo, exec_lo, s29
	v_lshlrev_b32_e32 v10, 21, v10
	v_or3_b32 v10, v118, v11, v10
                                        ; implicit-def: $vgpr11
	s_cbranch_vccz .LBB4_4989
; %bb.4976:                             ;   in Loop: Header=BB4_4579 Depth=2
	s_mov_b32 s13, 0
	s_and_saveexec_b32 s41, s40
	s_xor_b32 s40, exec_lo, s41
	s_cbranch_execz .LBB4_5241
; %bb.4977:                             ;   in Loop: Header=BB4_4579 Depth=2
	v_cmp_eq_u16_sdwa s42, v16, v101 src0_sel:BYTE_3 src1_sel:DWORD
	s_mov_b32 s13, -1
	s_and_saveexec_b32 s41, s42
; %bb.4978:                             ;   in Loop: Header=BB4_4579 Depth=2
	s_xor_b32 s13, exec_lo, -1
; %bb.4979:                             ;   in Loop: Header=BB4_4579 Depth=2
	s_or_b32 exec_lo, exec_lo, s41
	s_and_b32 s13, s13, exec_lo
	s_or_saveexec_b32 s40, s40
	v_mov_b32_e32 v11, 0x7f800001
	s_xor_b32 exec_lo, exec_lo, s40
	s_cbranch_execnz .LBB4_5242
.LBB4_4980:                             ;   in Loop: Header=BB4_4579 Depth=2
	s_or_b32 exec_lo, exec_lo, s40
	s_and_saveexec_b32 s40, s13
	s_cbranch_execz .LBB4_4982
.LBB4_4981:                             ;   in Loop: Header=BB4_4579 Depth=2
	v_bfe_u32 v11, v16, 24, 2
	v_bfe_u32 v40, v16, 26, 5
	v_ffbh_u32_e32 v118, v11
	v_cmp_eq_u32_e32 vcc_lo, 0, v40
	v_min_u32_e32 v118, 32, v118
	v_subrev_nc_u32_e32 v119, 29, v118
	v_sub_nc_u32_e32 v118, 30, v118
	v_lshlrev_b32_sdwa v119, v119, v16 dst_sel:DWORD dst_unused:UNUSED_PAD src0_sel:DWORD src1_sel:BYTE_3
	v_cndmask_b32_e32 v118, v40, v118, vcc_lo
	v_and_b32_e32 v119, 3, v119
	v_lshl_add_u32 v118, v118, 23, 0x37800000
	v_cndmask_b32_e32 v11, v11, v119, vcc_lo
	v_and_b32_e32 v119, 0x80000000, v16
	v_lshlrev_b32_e32 v11, 21, v11
	v_or3_b32 v11, v119, v118, v11
.LBB4_4982:                             ;   in Loop: Header=BB4_4579 Depth=2
	s_or_b32 exec_lo, exec_lo, s40
	v_cmp_gt_i16_sdwa s40, v12, v100 src0_sel:BYTE_3 src1_sel:DWORD
	s_mov_b32 s13, 0
	s_and_saveexec_b32 s41, s40
	s_xor_b32 s40, exec_lo, s41
	s_cbranch_execz .LBB4_5243
; %bb.4983:                             ;   in Loop: Header=BB4_4579 Depth=2
	v_cmp_eq_u16_sdwa s42, v12, v101 src0_sel:BYTE_3 src1_sel:DWORD
	s_mov_b32 s13, -1
	s_and_saveexec_b32 s41, s42
; %bb.4984:                             ;   in Loop: Header=BB4_4579 Depth=2
	s_xor_b32 s13, exec_lo, -1
; %bb.4985:                             ;   in Loop: Header=BB4_4579 Depth=2
	s_or_b32 exec_lo, exec_lo, s41
	s_and_b32 s13, s13, exec_lo
	s_or_saveexec_b32 s40, s40
	v_mov_b32_e32 v118, 0x7f800001
	s_xor_b32 exec_lo, exec_lo, s40
	s_cbranch_execnz .LBB4_5244
.LBB4_4986:                             ;   in Loop: Header=BB4_4579 Depth=2
	s_or_b32 exec_lo, exec_lo, s40
	s_and_saveexec_b32 s40, s13
.LBB4_4987:                             ;   in Loop: Header=BB4_4579 Depth=2
	v_mov_b32_e32 v118, v10
.LBB4_4988:                             ;   in Loop: Header=BB4_4579 Depth=2
	s_or_b32 exec_lo, exec_lo, s40
	v_max_f32_e32 v118, v118, v118
	v_max_f32_e32 v11, v11, v11
	s_mov_b32 s13, 0
	v_max_f32_e32 v11, v11, v118
.LBB4_4989:                             ;   in Loop: Header=BB4_4579 Depth=2
	s_and_b32 vcc_lo, exec_lo, s13
	s_cbranch_vccz .LBB4_5003
; %bb.4990:                             ;   in Loop: Header=BB4_4579 Depth=2
	v_cmp_gt_i16_sdwa s40, v16, v100 src0_sel:BYTE_3 src1_sel:DWORD
	s_mov_b32 s13, 0
	s_and_saveexec_b32 s41, s40
	s_xor_b32 s40, exec_lo, s41
	s_cbranch_execz .LBB4_5245
; %bb.4991:                             ;   in Loop: Header=BB4_4579 Depth=2
	v_cmp_eq_u16_sdwa s42, v16, v101 src0_sel:BYTE_3 src1_sel:DWORD
	s_mov_b32 s13, -1
	s_and_saveexec_b32 s41, s42
; %bb.4992:                             ;   in Loop: Header=BB4_4579 Depth=2
	s_xor_b32 s13, exec_lo, -1
; %bb.4993:                             ;   in Loop: Header=BB4_4579 Depth=2
	s_or_b32 exec_lo, exec_lo, s41
	s_and_b32 s13, s13, exec_lo
	s_or_saveexec_b32 s40, s40
	v_mov_b32_e32 v11, 0x7f800001
	s_xor_b32 exec_lo, exec_lo, s40
	s_cbranch_execnz .LBB4_5246
.LBB4_4994:                             ;   in Loop: Header=BB4_4579 Depth=2
	s_or_b32 exec_lo, exec_lo, s40
	s_and_saveexec_b32 s40, s13
	s_cbranch_execz .LBB4_4996
.LBB4_4995:                             ;   in Loop: Header=BB4_4579 Depth=2
	v_bfe_u32 v11, v16, 24, 2
	v_bfe_u32 v40, v16, 26, 5
	v_ffbh_u32_e32 v118, v11
	v_cmp_eq_u32_e32 vcc_lo, 0, v40
	v_min_u32_e32 v118, 32, v118
	v_subrev_nc_u32_e32 v119, 29, v118
	v_sub_nc_u32_e32 v118, 30, v118
	v_lshlrev_b32_sdwa v119, v119, v16 dst_sel:DWORD dst_unused:UNUSED_PAD src0_sel:DWORD src1_sel:BYTE_3
	v_cndmask_b32_e32 v118, v40, v118, vcc_lo
	v_and_b32_e32 v16, 0x80000000, v16
	v_and_b32_e32 v119, 3, v119
	v_lshl_add_u32 v118, v118, 23, 0x37800000
	v_cndmask_b32_e32 v11, v11, v119, vcc_lo
	v_lshlrev_b32_e32 v11, 21, v11
	v_or3_b32 v11, v16, v118, v11
.LBB4_4996:                             ;   in Loop: Header=BB4_4579 Depth=2
	s_or_b32 exec_lo, exec_lo, s40
	v_cmp_gt_i16_sdwa s40, v12, v100 src0_sel:BYTE_3 src1_sel:DWORD
	s_mov_b32 s13, 0
	s_and_saveexec_b32 s41, s40
	s_xor_b32 s40, exec_lo, s41
	s_cbranch_execz .LBB4_5247
; %bb.4997:                             ;   in Loop: Header=BB4_4579 Depth=2
	v_cmp_eq_u16_sdwa s42, v12, v101 src0_sel:BYTE_3 src1_sel:DWORD
	s_mov_b32 s13, -1
	s_and_saveexec_b32 s41, s42
; %bb.4998:                             ;   in Loop: Header=BB4_4579 Depth=2
	s_xor_b32 s13, exec_lo, -1
; %bb.4999:                             ;   in Loop: Header=BB4_4579 Depth=2
	s_or_b32 exec_lo, exec_lo, s41
	s_and_b32 s13, s13, exec_lo
	s_or_saveexec_b32 s40, s40
	v_mov_b32_e32 v16, 0x7f800001
	s_xor_b32 exec_lo, exec_lo, s40
	s_cbranch_execnz .LBB4_5248
.LBB4_5000:                             ;   in Loop: Header=BB4_4579 Depth=2
	s_or_b32 exec_lo, exec_lo, s40
	s_and_saveexec_b32 s40, s13
.LBB4_5001:                             ;   in Loop: Header=BB4_4579 Depth=2
	v_mov_b32_e32 v16, v10
.LBB4_5002:                             ;   in Loop: Header=BB4_4579 Depth=2
	s_or_b32 exec_lo, exec_lo, s40
	v_max_f32_e32 v10, v16, v16
	v_max_f32_e32 v11, v11, v11
	v_min_f32_e32 v11, v11, v10
.LBB4_5003:                             ;   in Loop: Header=BB4_4579 Depth=2
	v_and_b32_e32 v10, 0x7f800000, v11
	v_mov_b32_e32 v16, 0x8000
	s_mov_b32 s40, exec_lo
	v_cmpx_ne_u32_e32 0x7f800000, v10
	s_cbranch_execz .LBB4_5011
; %bb.5004:                             ;   in Loop: Header=BB4_4579 Depth=2
	v_mov_b32_e32 v16, 0
	s_mov_b32 s41, exec_lo
	v_cmpx_ne_u32_e32 0, v11
	s_cbranch_execz .LBB4_5010
; %bb.5005:                             ;   in Loop: Header=BB4_4579 Depth=2
	v_bfe_u32 v10, v11, 23, 8
	v_and_b32_e32 v12, 0x7fffff, v11
	v_sub_nc_u32_e32 v16, 0x70, v10
	v_cmp_gt_u32_e32 vcc_lo, 0x71, v10
	v_or_b32_e32 v118, 0x800000, v12
	v_cndmask_b32_e32 v16, 0, v16, vcc_lo
	v_cmp_eq_u32_e32 vcc_lo, 0, v10
	v_add_nc_u32_e32 v10, 0xffffff91, v10
	v_cndmask_b32_e64 v16, v16, 0x6f, vcc_lo
	v_cndmask_b32_e32 v12, v118, v12, vcc_lo
	v_cndmask_b32_e64 v10, v10, 0xffffff92, vcc_lo
	v_lshl_add_u32 v118, 0x200000, v16, -1
	v_lshrrev_b32_e32 v119, v16, v12
	v_lshlrev_b32_e64 v41, v16, 0x100000
	v_add_nc_u32_e32 v16, v16, v10
	v_and_b32_e32 v12, v118, v12
	v_bfe_u32 v40, v119, 21, 1
	v_cmp_eq_u32_e64 s13, v12, v41
	v_add_nc_u32_e32 v118, -1, v40
	v_cndmask_b32_e64 v12, 0, v118, s13
	v_lshrrev_b32_e32 v118, 23, v119
	s_mov_b32 s13, exec_lo
	v_add_nc_u32_e32 v12, v12, v119
	v_xor_b32_e32 v118, 1, v118
	v_and_b32_e32 v10, 0x1fffff, v12
	v_add_nc_u32_e32 v12, v10, v119
                                        ; implicit-def: $vgpr10
	v_cmpx_ne_u32_e64 v16, v118
	s_xor_b32 s13, exec_lo, s13
; %bb.5006:                             ;   in Loop: Header=BB4_4579 Depth=2
	v_cmp_lt_u32_e32 vcc_lo, 0xffffff, v12
	v_sub_nc_u32_e32 v10, v16, v118
	v_cndmask_b32_e64 v16, 0, 1, vcc_lo
	v_add_co_ci_u32_e64 v10, null, 0, v10, vcc_lo
	v_lshrrev_b32_e32 v12, v16, v12
; %bb.5007:                             ;   in Loop: Header=BB4_4579 Depth=2
	s_andn2_saveexec_b32 s13, s13
; %bb.5008:                             ;   in Loop: Header=BB4_4579 Depth=2
	v_bfe_u32 v10, v12, 23, 1
; %bb.5009:                             ;   in Loop: Header=BB4_4579 Depth=2
	s_or_b32 exec_lo, exec_lo, s13
	v_lshrrev_b32_e32 v12, 21, v12
	v_min_i32_e32 v16, 31, v10
	v_cmp_gt_i32_e32 vcc_lo, 32, v10
	v_and_b32_sdwa v11, v11, v101 dst_sel:DWORD dst_unused:UNUSED_PAD src0_sel:BYTE_3 src1_sel:DWORD
	v_lshlrev_b32_e32 v16, 2, v16
	v_cndmask_b32_e32 v12, 3, v12, vcc_lo
	v_and_b32_e32 v16, 0xfc, v16
	v_and_b32_e32 v118, 3, v12
	v_or_b32_e32 v10, v10, v12
	v_or3_b32 v11, v11, v16, v118
	v_cmp_ne_u32_e32 vcc_lo, 0, v10
	v_lshlrev_b32_e32 v11, 8, v11
	v_cndmask_b32_e32 v16, 0, v11, vcc_lo
.LBB4_5010:                             ;   in Loop: Header=BB4_4579 Depth=2
	s_or_b32 exec_lo, exec_lo, s41
.LBB4_5011:                             ;   in Loop: Header=BB4_4579 Depth=2
	s_or_b32 exec_lo, exec_lo, s40
	v_and_b32_e32 v10, 3, v13
	v_bfe_u32 v118, v13, 2, 5
	v_lshlrev_b32_e32 v119, 24, v13
	v_cmp_gt_i16_sdwa s40, v17, v100 src0_sel:BYTE_0 src1_sel:DWORD
	s_mov_b32 s13, -1
	v_ffbh_u32_e32 v11, v10
	v_cmp_eq_u32_e32 vcc_lo, 0, v118
	v_min_u32_e32 v11, 32, v11
	v_subrev_nc_u32_e32 v12, 29, v11
	v_sub_nc_u32_e32 v11, 30, v11
	v_lshlrev_b32_e32 v12, v12, v13
	v_cndmask_b32_e32 v11, v118, v11, vcc_lo
	v_and_b32_e32 v12, 3, v12
	v_lshl_add_u32 v11, v11, 23, 0x37800000
	v_cndmask_b32_e32 v10, v10, v12, vcc_lo
	v_and_b32_e32 v12, 0x80000000, v119
	s_and_b32 vcc_lo, exec_lo, s29
	v_lshlrev_b32_e32 v10, 21, v10
	v_or3_b32 v10, v12, v11, v10
                                        ; implicit-def: $vgpr11
	s_cbranch_vccz .LBB4_5025
; %bb.5012:                             ;   in Loop: Header=BB4_4579 Depth=2
	s_mov_b32 s13, 0
	s_and_saveexec_b32 s41, s40
	s_xor_b32 s40, exec_lo, s41
	s_cbranch_execz .LBB4_5249
; %bb.5013:                             ;   in Loop: Header=BB4_4579 Depth=2
	v_cmp_eq_u16_sdwa s42, v17, v101 src0_sel:BYTE_0 src1_sel:DWORD
	s_mov_b32 s13, -1
	s_and_saveexec_b32 s41, s42
; %bb.5014:                             ;   in Loop: Header=BB4_4579 Depth=2
	s_xor_b32 s13, exec_lo, -1
; %bb.5015:                             ;   in Loop: Header=BB4_4579 Depth=2
	s_or_b32 exec_lo, exec_lo, s41
	s_and_b32 s13, s13, exec_lo
	s_or_saveexec_b32 s40, s40
	v_mov_b32_e32 v11, 0x7f800001
	s_xor_b32 exec_lo, exec_lo, s40
	s_cbranch_execnz .LBB4_5250
.LBB4_5016:                             ;   in Loop: Header=BB4_4579 Depth=2
	s_or_b32 exec_lo, exec_lo, s40
	s_and_saveexec_b32 s40, s13
	s_cbranch_execz .LBB4_5018
.LBB4_5017:                             ;   in Loop: Header=BB4_4579 Depth=2
	v_and_b32_e32 v11, 3, v17
	v_bfe_u32 v119, v17, 2, 5
	v_lshlrev_b32_e32 v40, 24, v17
	v_ffbh_u32_e32 v12, v11
	v_cmp_eq_u32_e32 vcc_lo, 0, v119
	v_min_u32_e32 v12, 32, v12
	v_subrev_nc_u32_e32 v118, 29, v12
	v_sub_nc_u32_e32 v12, 30, v12
	v_lshlrev_b32_e32 v118, v118, v17
	v_cndmask_b32_e32 v12, v119, v12, vcc_lo
	v_and_b32_e32 v118, 3, v118
	v_lshl_add_u32 v12, v12, 23, 0x37800000
	v_cndmask_b32_e32 v11, v11, v118, vcc_lo
	v_and_b32_e32 v118, 0x80000000, v40
	v_lshlrev_b32_e32 v11, 21, v11
	v_or3_b32 v11, v118, v12, v11
.LBB4_5018:                             ;   in Loop: Header=BB4_4579 Depth=2
	s_or_b32 exec_lo, exec_lo, s40
	v_cmp_gt_i16_sdwa s40, v13, v100 src0_sel:BYTE_0 src1_sel:DWORD
	s_mov_b32 s13, 0
	s_and_saveexec_b32 s41, s40
	s_xor_b32 s40, exec_lo, s41
	s_cbranch_execz .LBB4_5251
; %bb.5019:                             ;   in Loop: Header=BB4_4579 Depth=2
	v_cmp_eq_u16_sdwa s42, v13, v101 src0_sel:BYTE_0 src1_sel:DWORD
	s_mov_b32 s13, -1
	s_and_saveexec_b32 s41, s42
; %bb.5020:                             ;   in Loop: Header=BB4_4579 Depth=2
	s_xor_b32 s13, exec_lo, -1
; %bb.5021:                             ;   in Loop: Header=BB4_4579 Depth=2
	s_or_b32 exec_lo, exec_lo, s41
	s_and_b32 s13, s13, exec_lo
	s_or_saveexec_b32 s40, s40
	v_mov_b32_e32 v12, 0x7f800001
	s_xor_b32 exec_lo, exec_lo, s40
	s_cbranch_execnz .LBB4_5252
.LBB4_5022:                             ;   in Loop: Header=BB4_4579 Depth=2
	s_or_b32 exec_lo, exec_lo, s40
	s_and_saveexec_b32 s40, s13
.LBB4_5023:                             ;   in Loop: Header=BB4_4579 Depth=2
	v_mov_b32_e32 v12, v10
.LBB4_5024:                             ;   in Loop: Header=BB4_4579 Depth=2
	s_or_b32 exec_lo, exec_lo, s40
	v_max_f32_e32 v12, v12, v12
	v_max_f32_e32 v11, v11, v11
	s_mov_b32 s13, 0
	v_max_f32_e32 v11, v11, v12
.LBB4_5025:                             ;   in Loop: Header=BB4_4579 Depth=2
	s_and_b32 vcc_lo, exec_lo, s13
	s_cbranch_vccz .LBB4_5039
; %bb.5026:                             ;   in Loop: Header=BB4_4579 Depth=2
	v_cmp_gt_i16_sdwa s40, v17, v100 src0_sel:BYTE_0 src1_sel:DWORD
	s_mov_b32 s13, 0
	s_and_saveexec_b32 s41, s40
	s_xor_b32 s40, exec_lo, s41
	s_cbranch_execz .LBB4_5253
; %bb.5027:                             ;   in Loop: Header=BB4_4579 Depth=2
	v_cmp_eq_u16_sdwa s42, v17, v101 src0_sel:BYTE_0 src1_sel:DWORD
	s_mov_b32 s13, -1
	s_and_saveexec_b32 s41, s42
; %bb.5028:                             ;   in Loop: Header=BB4_4579 Depth=2
	s_xor_b32 s13, exec_lo, -1
; %bb.5029:                             ;   in Loop: Header=BB4_4579 Depth=2
	s_or_b32 exec_lo, exec_lo, s41
	s_and_b32 s13, s13, exec_lo
	s_or_saveexec_b32 s40, s40
	v_mov_b32_e32 v11, 0x7f800001
	s_xor_b32 exec_lo, exec_lo, s40
	s_cbranch_execnz .LBB4_5254
.LBB4_5030:                             ;   in Loop: Header=BB4_4579 Depth=2
	s_or_b32 exec_lo, exec_lo, s40
	s_and_saveexec_b32 s40, s13
	s_cbranch_execz .LBB4_5032
.LBB4_5031:                             ;   in Loop: Header=BB4_4579 Depth=2
	v_and_b32_e32 v11, 3, v17
	v_bfe_u32 v119, v17, 2, 5
	v_lshlrev_b32_e32 v40, 24, v17
	v_ffbh_u32_e32 v12, v11
	v_cmp_eq_u32_e32 vcc_lo, 0, v119
	v_min_u32_e32 v12, 32, v12
	v_subrev_nc_u32_e32 v118, 29, v12
	v_sub_nc_u32_e32 v12, 30, v12
	v_lshlrev_b32_e32 v118, v118, v17
	v_cndmask_b32_e32 v12, v119, v12, vcc_lo
	v_and_b32_e32 v118, 3, v118
	v_lshl_add_u32 v12, v12, 23, 0x37800000
	v_cndmask_b32_e32 v11, v11, v118, vcc_lo
	v_and_b32_e32 v118, 0x80000000, v40
	v_lshlrev_b32_e32 v11, 21, v11
	v_or3_b32 v11, v118, v12, v11
.LBB4_5032:                             ;   in Loop: Header=BB4_4579 Depth=2
	s_or_b32 exec_lo, exec_lo, s40
	v_cmp_gt_i16_sdwa s40, v13, v100 src0_sel:BYTE_0 src1_sel:DWORD
	s_mov_b32 s13, 0
	s_and_saveexec_b32 s41, s40
	s_xor_b32 s40, exec_lo, s41
	s_cbranch_execz .LBB4_5255
; %bb.5033:                             ;   in Loop: Header=BB4_4579 Depth=2
	v_cmp_eq_u16_sdwa s42, v13, v101 src0_sel:BYTE_0 src1_sel:DWORD
	s_mov_b32 s13, -1
	s_and_saveexec_b32 s41, s42
; %bb.5034:                             ;   in Loop: Header=BB4_4579 Depth=2
	s_xor_b32 s13, exec_lo, -1
; %bb.5035:                             ;   in Loop: Header=BB4_4579 Depth=2
	s_or_b32 exec_lo, exec_lo, s41
	s_and_b32 s13, s13, exec_lo
	s_or_saveexec_b32 s40, s40
	v_mov_b32_e32 v12, 0x7f800001
	s_xor_b32 exec_lo, exec_lo, s40
	s_cbranch_execnz .LBB4_5256
.LBB4_5036:                             ;   in Loop: Header=BB4_4579 Depth=2
	s_or_b32 exec_lo, exec_lo, s40
	s_and_saveexec_b32 s40, s13
.LBB4_5037:                             ;   in Loop: Header=BB4_4579 Depth=2
	v_mov_b32_e32 v12, v10
.LBB4_5038:                             ;   in Loop: Header=BB4_4579 Depth=2
	s_or_b32 exec_lo, exec_lo, s40
	v_max_f32_e32 v10, v12, v12
	v_max_f32_e32 v11, v11, v11
	v_min_f32_e32 v11, v11, v10
.LBB4_5039:                             ;   in Loop: Header=BB4_4579 Depth=2
	v_and_b32_e32 v10, 0x7f800000, v11
	v_mov_b32_e32 v118, 0x80
	s_mov_b32 s40, exec_lo
	v_cmpx_ne_u32_e32 0x7f800000, v10
	s_cbranch_execz .LBB4_5047
; %bb.5040:                             ;   in Loop: Header=BB4_4579 Depth=2
	v_mov_b32_e32 v118, 0
	s_mov_b32 s41, exec_lo
	v_cmpx_ne_u32_e32 0, v11
	s_cbranch_execz .LBB4_5046
; %bb.5041:                             ;   in Loop: Header=BB4_4579 Depth=2
	v_bfe_u32 v10, v11, 23, 8
	v_and_b32_e32 v12, 0x7fffff, v11
	v_sub_nc_u32_e32 v118, 0x70, v10
	v_cmp_gt_u32_e32 vcc_lo, 0x71, v10
	v_or_b32_e32 v119, 0x800000, v12
	v_cndmask_b32_e32 v118, 0, v118, vcc_lo
	v_cmp_eq_u32_e32 vcc_lo, 0, v10
	v_add_nc_u32_e32 v10, 0xffffff91, v10
	v_cndmask_b32_e64 v118, v118, 0x6f, vcc_lo
	v_cndmask_b32_e32 v12, v119, v12, vcc_lo
	v_cndmask_b32_e64 v10, v10, 0xffffff92, vcc_lo
	v_lshl_add_u32 v119, 0x200000, v118, -1
	v_lshrrev_b32_e32 v40, v118, v12
	v_lshlrev_b32_e64 v42, v118, 0x100000
	v_add_nc_u32_e32 v118, v118, v10
	v_and_b32_e32 v12, v119, v12
	v_bfe_u32 v41, v40, 21, 1
	v_cmp_eq_u32_e64 s13, v12, v42
	v_add_nc_u32_e32 v119, -1, v41
	v_cndmask_b32_e64 v12, 0, v119, s13
	v_lshrrev_b32_e32 v119, 23, v40
	s_mov_b32 s13, exec_lo
	v_add_nc_u32_e32 v12, v12, v40
	v_xor_b32_e32 v119, 1, v119
	v_and_b32_e32 v10, 0x1fffff, v12
	v_add_nc_u32_e32 v12, v10, v40
                                        ; implicit-def: $vgpr10
	v_cmpx_ne_u32_e64 v118, v119
	s_xor_b32 s13, exec_lo, s13
; %bb.5042:                             ;   in Loop: Header=BB4_4579 Depth=2
	v_cmp_lt_u32_e32 vcc_lo, 0xffffff, v12
	v_sub_nc_u32_e32 v10, v118, v119
	v_cndmask_b32_e64 v118, 0, 1, vcc_lo
	v_add_co_ci_u32_e64 v10, null, 0, v10, vcc_lo
	v_lshrrev_b32_e32 v12, v118, v12
; %bb.5043:                             ;   in Loop: Header=BB4_4579 Depth=2
	s_andn2_saveexec_b32 s13, s13
; %bb.5044:                             ;   in Loop: Header=BB4_4579 Depth=2
	v_bfe_u32 v10, v12, 23, 1
; %bb.5045:                             ;   in Loop: Header=BB4_4579 Depth=2
	s_or_b32 exec_lo, exec_lo, s13
	v_lshrrev_b32_e32 v12, 21, v12
	v_min_i32_e32 v118, 31, v10
	v_cmp_gt_i32_e32 vcc_lo, 32, v10
	v_and_b32_sdwa v11, v11, v101 dst_sel:DWORD dst_unused:UNUSED_PAD src0_sel:BYTE_3 src1_sel:DWORD
	v_lshlrev_b32_e32 v118, 2, v118
	v_cndmask_b32_e32 v12, 3, v12, vcc_lo
	v_and_b32_e32 v118, 0xfc, v118
	v_and_b32_e32 v119, 3, v12
	v_or_b32_e32 v10, v10, v12
	v_or3_b32 v11, v118, v11, v119
	v_cmp_ne_u32_e32 vcc_lo, 0, v10
	v_cndmask_b32_e32 v118, 0, v11, vcc_lo
.LBB4_5046:                             ;   in Loop: Header=BB4_4579 Depth=2
	s_or_b32 exec_lo, exec_lo, s41
.LBB4_5047:                             ;   in Loop: Header=BB4_4579 Depth=2
	s_or_b32 exec_lo, exec_lo, s40
	v_and_b32_sdwa v10, v102, v13 dst_sel:DWORD dst_unused:UNUSED_PAD src0_sel:DWORD src1_sel:BYTE_1
	v_cmp_gt_i16_sdwa s40, v17, v100 src0_sel:BYTE_1 src1_sel:DWORD
	s_mov_b32 s13, -1
	v_and_b32_e32 v11, 3, v10
	v_bfe_u32 v40, v10, 2, 5
	v_ffbh_u32_e32 v12, v11
	v_cmp_eq_u32_e32 vcc_lo, 0, v40
	v_min_u32_e32 v12, 32, v12
	v_subrev_nc_u32_e32 v119, 29, v12
	v_sub_nc_u32_e32 v12, 30, v12
	v_lshlrev_b32_e32 v10, v119, v10
	v_lshlrev_b32_sdwa v119, v112, v13 dst_sel:DWORD dst_unused:UNUSED_PAD src0_sel:DWORD src1_sel:BYTE_1
	v_cndmask_b32_e32 v12, v40, v12, vcc_lo
	v_and_b32_e32 v10, 3, v10
	v_lshl_add_u32 v12, v12, 23, 0x37800000
	v_cndmask_b32_e32 v10, v11, v10, vcc_lo
	v_and_b32_e32 v11, 0x80000000, v119
	s_and_b32 vcc_lo, exec_lo, s29
	v_lshlrev_b32_e32 v10, 21, v10
	v_or3_b32 v10, v11, v12, v10
                                        ; implicit-def: $vgpr11
	s_cbranch_vccz .LBB4_5061
; %bb.5048:                             ;   in Loop: Header=BB4_4579 Depth=2
	s_mov_b32 s13, 0
	s_and_saveexec_b32 s41, s40
	s_xor_b32 s40, exec_lo, s41
	s_cbranch_execz .LBB4_5257
; %bb.5049:                             ;   in Loop: Header=BB4_4579 Depth=2
	v_cmp_eq_u16_sdwa s42, v17, v101 src0_sel:BYTE_1 src1_sel:DWORD
	s_mov_b32 s13, -1
	s_and_saveexec_b32 s41, s42
; %bb.5050:                             ;   in Loop: Header=BB4_4579 Depth=2
	s_xor_b32 s13, exec_lo, -1
; %bb.5051:                             ;   in Loop: Header=BB4_4579 Depth=2
	s_or_b32 exec_lo, exec_lo, s41
	s_and_b32 s13, s13, exec_lo
	s_or_saveexec_b32 s40, s40
	v_mov_b32_e32 v11, 0x7f800001
	s_xor_b32 exec_lo, exec_lo, s40
	s_cbranch_execnz .LBB4_5258
.LBB4_5052:                             ;   in Loop: Header=BB4_4579 Depth=2
	s_or_b32 exec_lo, exec_lo, s40
	s_and_saveexec_b32 s40, s13
	s_cbranch_execz .LBB4_5054
.LBB4_5053:                             ;   in Loop: Header=BB4_4579 Depth=2
	v_and_b32_sdwa v11, v102, v17 dst_sel:DWORD dst_unused:UNUSED_PAD src0_sel:DWORD src1_sel:BYTE_1
	v_and_b32_e32 v12, 3, v11
	v_bfe_u32 v41, v11, 2, 5
	v_ffbh_u32_e32 v119, v12
	v_cmp_eq_u32_e32 vcc_lo, 0, v41
	v_min_u32_e32 v119, 32, v119
	v_subrev_nc_u32_e32 v40, 29, v119
	v_sub_nc_u32_e32 v119, 30, v119
	v_lshlrev_b32_e32 v11, v40, v11
	v_lshlrev_b32_e32 v40, 16, v17
	v_cndmask_b32_e32 v119, v41, v119, vcc_lo
	v_and_b32_e32 v11, 3, v11
	v_lshl_add_u32 v119, v119, 23, 0x37800000
	v_cndmask_b32_e32 v11, v12, v11, vcc_lo
	v_and_b32_e32 v12, 0x80000000, v40
	v_lshlrev_b32_e32 v11, 21, v11
	v_or3_b32 v11, v12, v119, v11
.LBB4_5054:                             ;   in Loop: Header=BB4_4579 Depth=2
	s_or_b32 exec_lo, exec_lo, s40
	v_cmp_gt_i16_sdwa s40, v13, v100 src0_sel:BYTE_1 src1_sel:DWORD
	s_mov_b32 s13, 0
	s_and_saveexec_b32 s41, s40
	s_xor_b32 s40, exec_lo, s41
	s_cbranch_execz .LBB4_5259
; %bb.5055:                             ;   in Loop: Header=BB4_4579 Depth=2
	v_cmp_eq_u16_sdwa s42, v13, v101 src0_sel:BYTE_1 src1_sel:DWORD
	s_mov_b32 s13, -1
	s_and_saveexec_b32 s41, s42
; %bb.5056:                             ;   in Loop: Header=BB4_4579 Depth=2
	s_xor_b32 s13, exec_lo, -1
; %bb.5057:                             ;   in Loop: Header=BB4_4579 Depth=2
	s_or_b32 exec_lo, exec_lo, s41
	s_and_b32 s13, s13, exec_lo
	s_or_saveexec_b32 s40, s40
	v_mov_b32_e32 v12, 0x7f800001
	s_xor_b32 exec_lo, exec_lo, s40
	s_cbranch_execnz .LBB4_5260
.LBB4_5058:                             ;   in Loop: Header=BB4_4579 Depth=2
	s_or_b32 exec_lo, exec_lo, s40
	s_and_saveexec_b32 s40, s13
.LBB4_5059:                             ;   in Loop: Header=BB4_4579 Depth=2
	v_mov_b32_e32 v12, v10
.LBB4_5060:                             ;   in Loop: Header=BB4_4579 Depth=2
	s_or_b32 exec_lo, exec_lo, s40
	v_max_f32_e32 v12, v12, v12
	v_max_f32_e32 v11, v11, v11
	s_mov_b32 s13, 0
	v_max_f32_e32 v11, v11, v12
.LBB4_5061:                             ;   in Loop: Header=BB4_4579 Depth=2
	s_and_b32 vcc_lo, exec_lo, s13
	s_cbranch_vccz .LBB4_5075
; %bb.5062:                             ;   in Loop: Header=BB4_4579 Depth=2
	v_cmp_gt_i16_sdwa s40, v17, v100 src0_sel:BYTE_1 src1_sel:DWORD
	s_mov_b32 s13, 0
	s_and_saveexec_b32 s41, s40
	s_xor_b32 s40, exec_lo, s41
	s_cbranch_execz .LBB4_5261
; %bb.5063:                             ;   in Loop: Header=BB4_4579 Depth=2
	v_cmp_eq_u16_sdwa s42, v17, v101 src0_sel:BYTE_1 src1_sel:DWORD
	s_mov_b32 s13, -1
	s_and_saveexec_b32 s41, s42
; %bb.5064:                             ;   in Loop: Header=BB4_4579 Depth=2
	s_xor_b32 s13, exec_lo, -1
; %bb.5065:                             ;   in Loop: Header=BB4_4579 Depth=2
	s_or_b32 exec_lo, exec_lo, s41
	s_and_b32 s13, s13, exec_lo
	s_or_saveexec_b32 s40, s40
	v_mov_b32_e32 v11, 0x7f800001
	s_xor_b32 exec_lo, exec_lo, s40
	s_cbranch_execnz .LBB4_5262
.LBB4_5066:                             ;   in Loop: Header=BB4_4579 Depth=2
	s_or_b32 exec_lo, exec_lo, s40
	s_and_saveexec_b32 s40, s13
	s_cbranch_execz .LBB4_5068
.LBB4_5067:                             ;   in Loop: Header=BB4_4579 Depth=2
	v_and_b32_sdwa v11, v102, v17 dst_sel:DWORD dst_unused:UNUSED_PAD src0_sel:DWORD src1_sel:BYTE_1
	v_and_b32_e32 v12, 3, v11
	v_bfe_u32 v41, v11, 2, 5
	v_ffbh_u32_e32 v119, v12
	v_cmp_eq_u32_e32 vcc_lo, 0, v41
	v_min_u32_e32 v119, 32, v119
	v_subrev_nc_u32_e32 v40, 29, v119
	v_sub_nc_u32_e32 v119, 30, v119
	v_lshlrev_b32_e32 v11, v40, v11
	v_lshlrev_b32_e32 v40, 16, v17
	v_cndmask_b32_e32 v119, v41, v119, vcc_lo
	v_and_b32_e32 v11, 3, v11
	v_lshl_add_u32 v119, v119, 23, 0x37800000
	v_cndmask_b32_e32 v11, v12, v11, vcc_lo
	v_and_b32_e32 v12, 0x80000000, v40
	v_lshlrev_b32_e32 v11, 21, v11
	v_or3_b32 v11, v12, v119, v11
.LBB4_5068:                             ;   in Loop: Header=BB4_4579 Depth=2
	s_or_b32 exec_lo, exec_lo, s40
	v_cmp_gt_i16_sdwa s40, v13, v100 src0_sel:BYTE_1 src1_sel:DWORD
	s_mov_b32 s13, 0
	s_and_saveexec_b32 s41, s40
	s_xor_b32 s40, exec_lo, s41
	s_cbranch_execz .LBB4_5263
; %bb.5069:                             ;   in Loop: Header=BB4_4579 Depth=2
	v_cmp_eq_u16_sdwa s42, v13, v101 src0_sel:BYTE_1 src1_sel:DWORD
	s_mov_b32 s13, -1
	s_and_saveexec_b32 s41, s42
; %bb.5070:                             ;   in Loop: Header=BB4_4579 Depth=2
	s_xor_b32 s13, exec_lo, -1
; %bb.5071:                             ;   in Loop: Header=BB4_4579 Depth=2
	s_or_b32 exec_lo, exec_lo, s41
	s_and_b32 s13, s13, exec_lo
	s_or_saveexec_b32 s40, s40
	v_mov_b32_e32 v12, 0x7f800001
	s_xor_b32 exec_lo, exec_lo, s40
	s_cbranch_execnz .LBB4_5264
.LBB4_5072:                             ;   in Loop: Header=BB4_4579 Depth=2
	s_or_b32 exec_lo, exec_lo, s40
	s_and_saveexec_b32 s40, s13
.LBB4_5073:                             ;   in Loop: Header=BB4_4579 Depth=2
	v_mov_b32_e32 v12, v10
.LBB4_5074:                             ;   in Loop: Header=BB4_4579 Depth=2
	s_or_b32 exec_lo, exec_lo, s40
	v_max_f32_e32 v10, v12, v12
	v_max_f32_e32 v11, v11, v11
	v_min_f32_e32 v11, v11, v10
.LBB4_5075:                             ;   in Loop: Header=BB4_4579 Depth=2
	v_and_b32_e32 v10, 0x7f800000, v11
	v_mov_b32_e32 v119, 0x8000
	s_mov_b32 s40, exec_lo
	v_cmpx_ne_u32_e32 0x7f800000, v10
	s_cbranch_execz .LBB4_5083
; %bb.5076:                             ;   in Loop: Header=BB4_4579 Depth=2
	v_mov_b32_e32 v119, 0
	s_mov_b32 s41, exec_lo
	v_cmpx_ne_u32_e32 0, v11
	s_cbranch_execz .LBB4_5082
; %bb.5077:                             ;   in Loop: Header=BB4_4579 Depth=2
	v_bfe_u32 v10, v11, 23, 8
	v_and_b32_e32 v12, 0x7fffff, v11
	v_sub_nc_u32_e32 v119, 0x70, v10
	v_cmp_gt_u32_e32 vcc_lo, 0x71, v10
	v_or_b32_e32 v40, 0x800000, v12
	v_cndmask_b32_e32 v119, 0, v119, vcc_lo
	v_cmp_eq_u32_e32 vcc_lo, 0, v10
	v_add_nc_u32_e32 v10, 0xffffff91, v10
	v_cndmask_b32_e64 v119, v119, 0x6f, vcc_lo
	v_cndmask_b32_e32 v12, v40, v12, vcc_lo
	v_cndmask_b32_e64 v10, v10, 0xffffff92, vcc_lo
	v_lshl_add_u32 v40, 0x200000, v119, -1
	v_lshrrev_b32_e32 v41, v119, v12
	v_lshlrev_b32_e64 v43, v119, 0x100000
	v_add_nc_u32_e32 v119, v119, v10
	v_and_b32_e32 v12, v40, v12
	v_bfe_u32 v42, v41, 21, 1
	v_cmp_eq_u32_e64 s13, v12, v43
	v_add_nc_u32_e32 v40, -1, v42
	v_cndmask_b32_e64 v12, 0, v40, s13
	v_lshrrev_b32_e32 v40, 23, v41
	s_mov_b32 s13, exec_lo
	v_add_nc_u32_e32 v12, v12, v41
	v_xor_b32_e32 v40, 1, v40
	v_and_b32_e32 v10, 0x1fffff, v12
	v_add_nc_u32_e32 v12, v10, v41
                                        ; implicit-def: $vgpr10
	v_cmpx_ne_u32_e64 v119, v40
	s_xor_b32 s13, exec_lo, s13
; %bb.5078:                             ;   in Loop: Header=BB4_4579 Depth=2
	v_cmp_lt_u32_e32 vcc_lo, 0xffffff, v12
	v_sub_nc_u32_e32 v10, v119, v40
	v_cndmask_b32_e64 v119, 0, 1, vcc_lo
	v_add_co_ci_u32_e64 v10, null, 0, v10, vcc_lo
	v_lshrrev_b32_e32 v12, v119, v12
; %bb.5079:                             ;   in Loop: Header=BB4_4579 Depth=2
	s_andn2_saveexec_b32 s13, s13
; %bb.5080:                             ;   in Loop: Header=BB4_4579 Depth=2
	v_bfe_u32 v10, v12, 23, 1
; %bb.5081:                             ;   in Loop: Header=BB4_4579 Depth=2
	s_or_b32 exec_lo, exec_lo, s13
	v_lshrrev_b32_e32 v12, 21, v12
	v_min_i32_e32 v119, 31, v10
	v_cmp_gt_i32_e32 vcc_lo, 32, v10
	v_and_b32_sdwa v11, v11, v101 dst_sel:DWORD dst_unused:UNUSED_PAD src0_sel:BYTE_3 src1_sel:DWORD
	v_lshlrev_b32_e32 v119, 2, v119
	v_cndmask_b32_e32 v12, 3, v12, vcc_lo
	v_and_b32_e32 v119, 0xfc, v119
	v_and_b32_e32 v40, 3, v12
	v_or_b32_e32 v10, v10, v12
	v_or3_b32 v11, v11, v119, v40
	v_cmp_ne_u32_e32 vcc_lo, 0, v10
	v_lshlrev_b32_e32 v11, 8, v11
	v_cndmask_b32_e32 v119, 0, v11, vcc_lo
.LBB4_5082:                             ;   in Loop: Header=BB4_4579 Depth=2
	s_or_b32 exec_lo, exec_lo, s41
.LBB4_5083:                             ;   in Loop: Header=BB4_4579 Depth=2
	s_or_b32 exec_lo, exec_lo, s40
	v_bfe_u32 v10, v13, 16, 2
	v_bfe_u32 v40, v13, 18, 5
	v_lshlrev_b32_e32 v41, 8, v13
	s_mov_b32 s40, -1
	v_ffbh_u32_e32 v11, v10
	v_cmp_eq_u32_e32 vcc_lo, 0, v40
	v_min_u32_e32 v11, 32, v11
	v_subrev_nc_u32_e32 v12, 29, v11
	v_sub_nc_u32_e32 v11, 30, v11
	v_lshlrev_b32_sdwa v12, v12, v13 dst_sel:DWORD dst_unused:UNUSED_PAD src0_sel:DWORD src1_sel:WORD_1
	v_cndmask_b32_e32 v11, v40, v11, vcc_lo
	v_and_b32_e32 v12, 3, v12
	v_lshl_add_u32 v40, v11, 23, 0x37800000
	v_and_b32_sdwa v11, v17, v103 dst_sel:DWORD dst_unused:UNUSED_PAD src0_sel:WORD_1 src1_sel:DWORD
	v_cndmask_b32_e32 v10, v10, v12, vcc_lo
	v_and_b32_e32 v12, 0x80000000, v41
	v_cmp_lt_i16_e64 s13, 0x7f, v11
	s_and_b32 vcc_lo, exec_lo, s29
	v_lshlrev_b32_e32 v10, 21, v10
	v_or3_b32 v10, v12, v40, v10
                                        ; implicit-def: $vgpr12
	s_cbranch_vccz .LBB4_5097
; %bb.5084:                             ;   in Loop: Header=BB4_4579 Depth=2
	s_mov_b32 s40, 0
	s_and_saveexec_b32 s41, s13
	s_xor_b32 s13, exec_lo, s41
	s_cbranch_execz .LBB4_5265
; %bb.5085:                             ;   in Loop: Header=BB4_4579 Depth=2
	s_mov_b32 s40, -1
	s_mov_b32 s41, exec_lo
	v_cmpx_eq_u16_e32 0x80, v11
; %bb.5086:                             ;   in Loop: Header=BB4_4579 Depth=2
	s_xor_b32 s40, exec_lo, -1
; %bb.5087:                             ;   in Loop: Header=BB4_4579 Depth=2
	s_or_b32 exec_lo, exec_lo, s41
	s_and_b32 s40, s40, exec_lo
	s_or_saveexec_b32 s13, s13
	v_mov_b32_e32 v12, 0x7f800001
	s_xor_b32 exec_lo, exec_lo, s13
	s_cbranch_execnz .LBB4_5266
.LBB4_5088:                             ;   in Loop: Header=BB4_4579 Depth=2
	s_or_b32 exec_lo, exec_lo, s13
	s_and_saveexec_b32 s13, s40
	s_cbranch_execz .LBB4_5090
.LBB4_5089:                             ;   in Loop: Header=BB4_4579 Depth=2
	v_bfe_u32 v12, v17, 16, 2
	v_bfe_u32 v42, v17, 18, 5
	v_lshlrev_b32_sdwa v43, v112, v17 dst_sel:DWORD dst_unused:UNUSED_PAD src0_sel:DWORD src1_sel:WORD_1
	v_ffbh_u32_e32 v40, v12
	v_cmp_eq_u32_e32 vcc_lo, 0, v42
	v_min_u32_e32 v40, 32, v40
	v_subrev_nc_u32_e32 v41, 29, v40
	v_sub_nc_u32_e32 v40, 30, v40
	v_lshlrev_b32_sdwa v41, v41, v17 dst_sel:DWORD dst_unused:UNUSED_PAD src0_sel:DWORD src1_sel:WORD_1
	v_cndmask_b32_e32 v40, v42, v40, vcc_lo
	v_and_b32_e32 v41, 3, v41
	v_lshl_add_u32 v40, v40, 23, 0x37800000
	v_cndmask_b32_e32 v12, v12, v41, vcc_lo
	v_and_b32_e32 v41, 0x80000000, v43
	v_lshlrev_b32_e32 v12, 21, v12
	v_or3_b32 v12, v41, v40, v12
.LBB4_5090:                             ;   in Loop: Header=BB4_4579 Depth=2
	s_or_b32 exec_lo, exec_lo, s13
	v_and_b32_sdwa v41, v13, v103 dst_sel:DWORD dst_unused:UNUSED_PAD src0_sel:WORD_1 src1_sel:DWORD
	s_mov_b32 s13, 0
	s_mov_b32 s40, exec_lo
	v_cmpx_lt_i16_e32 0x7f, v41
	s_xor_b32 s40, exec_lo, s40
	s_cbranch_execz .LBB4_5267
; %bb.5091:                             ;   in Loop: Header=BB4_4579 Depth=2
	s_mov_b32 s13, -1
	s_mov_b32 s41, exec_lo
	v_cmpx_eq_u16_e32 0x80, v41
; %bb.5092:                             ;   in Loop: Header=BB4_4579 Depth=2
	s_xor_b32 s13, exec_lo, -1
; %bb.5093:                             ;   in Loop: Header=BB4_4579 Depth=2
	s_or_b32 exec_lo, exec_lo, s41
	s_and_b32 s13, s13, exec_lo
                                        ; implicit-def: $vgpr41
	s_or_saveexec_b32 s40, s40
	v_mov_b32_e32 v40, 0x7f800001
	s_xor_b32 exec_lo, exec_lo, s40
	s_cbranch_execnz .LBB4_5268
.LBB4_5094:                             ;   in Loop: Header=BB4_4579 Depth=2
	s_or_b32 exec_lo, exec_lo, s40
	s_and_saveexec_b32 s40, s13
.LBB4_5095:                             ;   in Loop: Header=BB4_4579 Depth=2
	v_mov_b32_e32 v40, v10
.LBB4_5096:                             ;   in Loop: Header=BB4_4579 Depth=2
	s_or_b32 exec_lo, exec_lo, s40
	v_max_f32_e32 v40, v40, v40
	v_max_f32_e32 v12, v12, v12
	s_mov_b32 s40, 0
	v_max_f32_e32 v12, v12, v40
.LBB4_5097:                             ;   in Loop: Header=BB4_4579 Depth=2
	s_and_b32 vcc_lo, exec_lo, s40
	s_cbranch_vccz .LBB4_5111
; %bb.5098:                             ;   in Loop: Header=BB4_4579 Depth=2
	s_mov_b32 s13, 0
	s_mov_b32 s40, exec_lo
	v_cmpx_lt_i16_e32 0x7f, v11
	s_xor_b32 s40, exec_lo, s40
	s_cbranch_execz .LBB4_5269
; %bb.5099:                             ;   in Loop: Header=BB4_4579 Depth=2
	s_mov_b32 s13, -1
	s_mov_b32 s41, exec_lo
	v_cmpx_eq_u16_e32 0x80, v11
; %bb.5100:                             ;   in Loop: Header=BB4_4579 Depth=2
	s_xor_b32 s13, exec_lo, -1
; %bb.5101:                             ;   in Loop: Header=BB4_4579 Depth=2
	s_or_b32 exec_lo, exec_lo, s41
	s_and_b32 s13, s13, exec_lo
                                        ; implicit-def: $vgpr11
	s_or_saveexec_b32 s40, s40
	v_mov_b32_e32 v12, 0x7f800001
	s_xor_b32 exec_lo, exec_lo, s40
	s_cbranch_execnz .LBB4_5270
.LBB4_5102:                             ;   in Loop: Header=BB4_4579 Depth=2
	s_or_b32 exec_lo, exec_lo, s40
	s_and_saveexec_b32 s40, s13
	s_cbranch_execz .LBB4_5104
.LBB4_5103:                             ;   in Loop: Header=BB4_4579 Depth=2
	v_bfe_u32 v11, v17, 16, 2
	v_bfe_u32 v41, v17, 18, 5
	v_lshlrev_b32_sdwa v42, v112, v17 dst_sel:DWORD dst_unused:UNUSED_PAD src0_sel:DWORD src1_sel:WORD_1
	v_ffbh_u32_e32 v12, v11
	v_cmp_eq_u32_e32 vcc_lo, 0, v41
	v_min_u32_e32 v12, 32, v12
	v_subrev_nc_u32_e32 v40, 29, v12
	v_sub_nc_u32_e32 v12, 30, v12
	v_lshlrev_b32_sdwa v40, v40, v17 dst_sel:DWORD dst_unused:UNUSED_PAD src0_sel:DWORD src1_sel:WORD_1
	v_cndmask_b32_e32 v12, v41, v12, vcc_lo
	v_and_b32_e32 v40, 3, v40
	v_lshl_add_u32 v12, v12, 23, 0x37800000
	v_cndmask_b32_e32 v11, v11, v40, vcc_lo
	v_and_b32_e32 v40, 0x80000000, v42
	v_lshlrev_b32_e32 v11, 21, v11
	v_or3_b32 v12, v40, v12, v11
.LBB4_5104:                             ;   in Loop: Header=BB4_4579 Depth=2
	s_or_b32 exec_lo, exec_lo, s40
	v_and_b32_sdwa v40, v13, v103 dst_sel:DWORD dst_unused:UNUSED_PAD src0_sel:WORD_1 src1_sel:DWORD
	s_mov_b32 s13, 0
	s_mov_b32 s40, exec_lo
	v_cmpx_lt_i16_e32 0x7f, v40
	s_xor_b32 s40, exec_lo, s40
	s_cbranch_execz .LBB4_5271
; %bb.5105:                             ;   in Loop: Header=BB4_4579 Depth=2
	s_mov_b32 s13, -1
	s_mov_b32 s41, exec_lo
	v_cmpx_eq_u16_e32 0x80, v40
; %bb.5106:                             ;   in Loop: Header=BB4_4579 Depth=2
	s_xor_b32 s13, exec_lo, -1
; %bb.5107:                             ;   in Loop: Header=BB4_4579 Depth=2
	s_or_b32 exec_lo, exec_lo, s41
	s_and_b32 s13, s13, exec_lo
                                        ; implicit-def: $vgpr40
	s_or_saveexec_b32 s40, s40
	v_mov_b32_e32 v11, 0x7f800001
	s_xor_b32 exec_lo, exec_lo, s40
	s_cbranch_execnz .LBB4_5272
.LBB4_5108:                             ;   in Loop: Header=BB4_4579 Depth=2
	s_or_b32 exec_lo, exec_lo, s40
	s_and_saveexec_b32 s40, s13
.LBB4_5109:                             ;   in Loop: Header=BB4_4579 Depth=2
	v_mov_b32_e32 v11, v10
.LBB4_5110:                             ;   in Loop: Header=BB4_4579 Depth=2
	s_or_b32 exec_lo, exec_lo, s40
	v_max_f32_e32 v10, v11, v11
	v_max_f32_e32 v11, v12, v12
	v_min_f32_e32 v12, v11, v10
.LBB4_5111:                             ;   in Loop: Header=BB4_4579 Depth=2
	v_and_b32_e32 v10, 0x7f800000, v12
	v_mov_b32_e32 v40, 0x80
	s_mov_b32 s40, exec_lo
	v_cmpx_ne_u32_e32 0x7f800000, v10
	s_cbranch_execz .LBB4_5119
; %bb.5112:                             ;   in Loop: Header=BB4_4579 Depth=2
	v_mov_b32_e32 v40, 0
	s_mov_b32 s41, exec_lo
	v_cmpx_ne_u32_e32 0, v12
	s_cbranch_execz .LBB4_5118
; %bb.5113:                             ;   in Loop: Header=BB4_4579 Depth=2
	v_bfe_u32 v10, v12, 23, 8
	v_and_b32_e32 v11, 0x7fffff, v12
	v_sub_nc_u32_e32 v40, 0x70, v10
	v_cmp_gt_u32_e32 vcc_lo, 0x71, v10
	v_or_b32_e32 v41, 0x800000, v11
	v_cndmask_b32_e32 v40, 0, v40, vcc_lo
	v_cmp_eq_u32_e32 vcc_lo, 0, v10
	v_add_nc_u32_e32 v10, 0xffffff91, v10
	v_cndmask_b32_e64 v40, v40, 0x6f, vcc_lo
	v_cndmask_b32_e32 v11, v41, v11, vcc_lo
	v_cndmask_b32_e64 v10, v10, 0xffffff92, vcc_lo
	v_lshl_add_u32 v41, 0x200000, v40, -1
	v_lshrrev_b32_e32 v42, v40, v11
	v_lshlrev_b32_e64 v44, v40, 0x100000
	v_add_nc_u32_e32 v40, v40, v10
	v_and_b32_e32 v11, v41, v11
	v_bfe_u32 v43, v42, 21, 1
	v_cmp_eq_u32_e64 s13, v11, v44
	v_add_nc_u32_e32 v41, -1, v43
	v_cndmask_b32_e64 v11, 0, v41, s13
	v_lshrrev_b32_e32 v41, 23, v42
	s_mov_b32 s13, exec_lo
	v_add_nc_u32_e32 v11, v11, v42
	v_xor_b32_e32 v41, 1, v41
	v_and_b32_e32 v10, 0x1fffff, v11
	v_add_nc_u32_e32 v11, v10, v42
                                        ; implicit-def: $vgpr10
	v_cmpx_ne_u32_e64 v40, v41
	s_xor_b32 s13, exec_lo, s13
; %bb.5114:                             ;   in Loop: Header=BB4_4579 Depth=2
	v_cmp_lt_u32_e32 vcc_lo, 0xffffff, v11
	v_sub_nc_u32_e32 v10, v40, v41
	v_cndmask_b32_e64 v40, 0, 1, vcc_lo
	v_add_co_ci_u32_e64 v10, null, 0, v10, vcc_lo
	v_lshrrev_b32_e32 v11, v40, v11
; %bb.5115:                             ;   in Loop: Header=BB4_4579 Depth=2
	s_andn2_saveexec_b32 s13, s13
; %bb.5116:                             ;   in Loop: Header=BB4_4579 Depth=2
	v_bfe_u32 v10, v11, 23, 1
; %bb.5117:                             ;   in Loop: Header=BB4_4579 Depth=2
	s_or_b32 exec_lo, exec_lo, s13
	v_lshrrev_b32_e32 v11, 21, v11
	v_min_i32_e32 v40, 31, v10
	v_cmp_gt_i32_e32 vcc_lo, 32, v10
	v_and_b32_sdwa v12, v12, v101 dst_sel:DWORD dst_unused:UNUSED_PAD src0_sel:BYTE_3 src1_sel:DWORD
	v_lshlrev_b32_e32 v40, 2, v40
	v_cndmask_b32_e32 v11, 3, v11, vcc_lo
	v_and_b32_e32 v40, 0xfc, v40
	v_and_b32_e32 v41, 3, v11
	v_or_b32_e32 v10, v10, v11
	v_or3_b32 v11, v40, v12, v41
	v_cmp_ne_u32_e32 vcc_lo, 0, v10
	v_cndmask_b32_e32 v40, 0, v11, vcc_lo
.LBB4_5118:                             ;   in Loop: Header=BB4_4579 Depth=2
	s_or_b32 exec_lo, exec_lo, s41
.LBB4_5119:                             ;   in Loop: Header=BB4_4579 Depth=2
	s_or_b32 exec_lo, exec_lo, s40
	v_bfe_u32 v10, v13, 24, 2
	v_bfe_u32 v41, v13, 26, 5
	v_cmp_gt_i16_sdwa s40, v17, v100 src0_sel:BYTE_3 src1_sel:DWORD
	s_mov_b32 s13, -1
	v_ffbh_u32_e32 v11, v10
	v_cmp_eq_u32_e32 vcc_lo, 0, v41
	v_min_u32_e32 v11, 32, v11
	v_subrev_nc_u32_e32 v12, 29, v11
	v_sub_nc_u32_e32 v11, 30, v11
	v_lshlrev_b32_sdwa v12, v12, v13 dst_sel:DWORD dst_unused:UNUSED_PAD src0_sel:DWORD src1_sel:BYTE_3
	v_cndmask_b32_e32 v11, v41, v11, vcc_lo
	v_and_b32_e32 v12, 3, v12
	v_lshl_add_u32 v11, v11, 23, 0x37800000
	v_cndmask_b32_e32 v10, v10, v12, vcc_lo
	v_and_b32_e32 v12, 0x80000000, v13
	s_and_b32 vcc_lo, exec_lo, s29
	v_lshlrev_b32_e32 v10, 21, v10
	v_or3_b32 v41, v12, v11, v10
                                        ; implicit-def: $vgpr10
	s_cbranch_vccz .LBB4_5133
; %bb.5120:                             ;   in Loop: Header=BB4_4579 Depth=2
	s_mov_b32 s13, 0
	s_and_saveexec_b32 s41, s40
	s_xor_b32 s40, exec_lo, s41
	s_cbranch_execz .LBB4_5273
; %bb.5121:                             ;   in Loop: Header=BB4_4579 Depth=2
	v_cmp_eq_u16_sdwa s42, v17, v101 src0_sel:BYTE_3 src1_sel:DWORD
	s_mov_b32 s13, -1
	s_and_saveexec_b32 s41, s42
; %bb.5122:                             ;   in Loop: Header=BB4_4579 Depth=2
	s_xor_b32 s13, exec_lo, -1
; %bb.5123:                             ;   in Loop: Header=BB4_4579 Depth=2
	s_or_b32 exec_lo, exec_lo, s41
	s_and_b32 s13, s13, exec_lo
	s_or_saveexec_b32 s40, s40
	v_mov_b32_e32 v10, 0x7f800001
	s_xor_b32 exec_lo, exec_lo, s40
	s_cbranch_execnz .LBB4_5274
.LBB4_5124:                             ;   in Loop: Header=BB4_4579 Depth=2
	s_or_b32 exec_lo, exec_lo, s40
	s_and_saveexec_b32 s40, s13
	s_cbranch_execz .LBB4_5126
.LBB4_5125:                             ;   in Loop: Header=BB4_4579 Depth=2
	v_bfe_u32 v10, v17, 24, 2
	v_bfe_u32 v42, v17, 26, 5
	v_ffbh_u32_e32 v11, v10
	v_cmp_eq_u32_e32 vcc_lo, 0, v42
	v_min_u32_e32 v11, 32, v11
	v_subrev_nc_u32_e32 v12, 29, v11
	v_sub_nc_u32_e32 v11, 30, v11
	v_lshlrev_b32_sdwa v12, v12, v17 dst_sel:DWORD dst_unused:UNUSED_PAD src0_sel:DWORD src1_sel:BYTE_3
	v_cndmask_b32_e32 v11, v42, v11, vcc_lo
	v_and_b32_e32 v12, 3, v12
	v_lshl_add_u32 v11, v11, 23, 0x37800000
	v_cndmask_b32_e32 v10, v10, v12, vcc_lo
	v_and_b32_e32 v12, 0x80000000, v17
	v_lshlrev_b32_e32 v10, 21, v10
	v_or3_b32 v10, v12, v11, v10
.LBB4_5126:                             ;   in Loop: Header=BB4_4579 Depth=2
	s_or_b32 exec_lo, exec_lo, s40
	v_cmp_gt_i16_sdwa s40, v13, v100 src0_sel:BYTE_3 src1_sel:DWORD
	s_mov_b32 s13, 0
	s_and_saveexec_b32 s41, s40
	s_xor_b32 s40, exec_lo, s41
	s_cbranch_execz .LBB4_5275
; %bb.5127:                             ;   in Loop: Header=BB4_4579 Depth=2
	v_cmp_eq_u16_sdwa s42, v13, v101 src0_sel:BYTE_3 src1_sel:DWORD
	s_mov_b32 s13, -1
	s_and_saveexec_b32 s41, s42
; %bb.5128:                             ;   in Loop: Header=BB4_4579 Depth=2
	s_xor_b32 s13, exec_lo, -1
; %bb.5129:                             ;   in Loop: Header=BB4_4579 Depth=2
	s_or_b32 exec_lo, exec_lo, s41
	s_and_b32 s13, s13, exec_lo
	s_or_saveexec_b32 s40, s40
	v_mov_b32_e32 v11, 0x7f800001
	s_xor_b32 exec_lo, exec_lo, s40
	s_cbranch_execnz .LBB4_5276
.LBB4_5130:                             ;   in Loop: Header=BB4_4579 Depth=2
	s_or_b32 exec_lo, exec_lo, s40
	s_and_saveexec_b32 s40, s13
.LBB4_5131:                             ;   in Loop: Header=BB4_4579 Depth=2
	v_mov_b32_e32 v11, v41
.LBB4_5132:                             ;   in Loop: Header=BB4_4579 Depth=2
	s_or_b32 exec_lo, exec_lo, s40
	v_max_f32_e32 v11, v11, v11
	v_max_f32_e32 v10, v10, v10
	s_mov_b32 s13, 0
	v_max_f32_e32 v10, v10, v11
.LBB4_5133:                             ;   in Loop: Header=BB4_4579 Depth=2
	s_and_b32 vcc_lo, exec_lo, s13
	s_cbranch_vccz .LBB4_5147
; %bb.5134:                             ;   in Loop: Header=BB4_4579 Depth=2
	v_cmp_gt_i16_sdwa s40, v17, v100 src0_sel:BYTE_3 src1_sel:DWORD
	s_mov_b32 s13, 0
	s_and_saveexec_b32 s41, s40
	s_xor_b32 s40, exec_lo, s41
	s_cbranch_execz .LBB4_5277
; %bb.5135:                             ;   in Loop: Header=BB4_4579 Depth=2
	v_cmp_eq_u16_sdwa s42, v17, v101 src0_sel:BYTE_3 src1_sel:DWORD
	s_mov_b32 s13, -1
	s_and_saveexec_b32 s41, s42
; %bb.5136:                             ;   in Loop: Header=BB4_4579 Depth=2
	s_xor_b32 s13, exec_lo, -1
; %bb.5137:                             ;   in Loop: Header=BB4_4579 Depth=2
	s_or_b32 exec_lo, exec_lo, s41
	s_and_b32 s13, s13, exec_lo
	s_or_saveexec_b32 s40, s40
	v_mov_b32_e32 v42, 0x7f800001
	s_xor_b32 exec_lo, exec_lo, s40
	s_cbranch_execnz .LBB4_5278
.LBB4_5138:                             ;   in Loop: Header=BB4_4579 Depth=2
	s_or_b32 exec_lo, exec_lo, s40
	s_and_saveexec_b32 s40, s13
	s_cbranch_execz .LBB4_5140
.LBB4_5139:                             ;   in Loop: Header=BB4_4579 Depth=2
	v_bfe_u32 v10, v17, 24, 2
	v_bfe_u32 v42, v17, 26, 5
	v_ffbh_u32_e32 v11, v10
	v_cmp_eq_u32_e32 vcc_lo, 0, v42
	v_min_u32_e32 v11, 32, v11
	v_subrev_nc_u32_e32 v12, 29, v11
	v_sub_nc_u32_e32 v11, 30, v11
	v_lshlrev_b32_sdwa v12, v12, v17 dst_sel:DWORD dst_unused:UNUSED_PAD src0_sel:DWORD src1_sel:BYTE_3
	v_cndmask_b32_e32 v11, v42, v11, vcc_lo
	v_and_b32_e32 v12, 3, v12
	v_lshl_add_u32 v11, v11, 23, 0x37800000
	v_cndmask_b32_e32 v10, v10, v12, vcc_lo
	v_and_b32_e32 v12, 0x80000000, v17
	v_lshlrev_b32_e32 v10, 21, v10
	v_or3_b32 v42, v12, v11, v10
.LBB4_5140:                             ;   in Loop: Header=BB4_4579 Depth=2
	s_or_b32 exec_lo, exec_lo, s40
	v_cmp_gt_i16_sdwa s40, v13, v100 src0_sel:BYTE_3 src1_sel:DWORD
	s_mov_b32 s13, 0
	s_and_saveexec_b32 s41, s40
	s_xor_b32 s40, exec_lo, s41
	s_cbranch_execz .LBB4_5279
; %bb.5141:                             ;   in Loop: Header=BB4_4579 Depth=2
	v_cmp_eq_u16_sdwa s42, v13, v101 src0_sel:BYTE_3 src1_sel:DWORD
	s_mov_b32 s13, -1
	s_and_saveexec_b32 s41, s42
; %bb.5142:                             ;   in Loop: Header=BB4_4579 Depth=2
	s_xor_b32 s13, exec_lo, -1
; %bb.5143:                             ;   in Loop: Header=BB4_4579 Depth=2
	s_or_b32 exec_lo, exec_lo, s41
	s_and_b32 s13, s13, exec_lo
                                        ; implicit-def: $vgpr10_vgpr11_vgpr12_vgpr13
	s_or_saveexec_b32 s40, s40
	v_mov_b32_e32 v10, 0x7f800001
	s_xor_b32 exec_lo, exec_lo, s40
	s_cbranch_execnz .LBB4_5280
.LBB4_5144:                             ;   in Loop: Header=BB4_4579 Depth=2
	s_or_b32 exec_lo, exec_lo, s40
	s_and_saveexec_b32 s40, s13
.LBB4_5145:                             ;   in Loop: Header=BB4_4579 Depth=2
	v_mov_b32_e32 v10, v41
.LBB4_5146:                             ;   in Loop: Header=BB4_4579 Depth=2
	s_or_b32 exec_lo, exec_lo, s40
	v_max_f32_e32 v10, v10, v10
	v_max_f32_e32 v11, v42, v42
	v_min_f32_e32 v10, v11, v10
.LBB4_5147:                             ;   in Loop: Header=BB4_4579 Depth=2
	v_and_b32_e32 v11, 0x7f800000, v10
	v_cmp_ne_u32_e32 vcc_lo, 0x7f800000, v11
	v_mov_b32_e32 v11, 0x8000
	s_and_saveexec_b32 s40, vcc_lo
	s_cbranch_execz .LBB4_4578
; %bb.5148:                             ;   in Loop: Header=BB4_4579 Depth=2
	v_mov_b32_e32 v11, 0
	s_mov_b32 s41, exec_lo
	v_cmpx_ne_u32_e32 0, v10
	s_cbranch_execz .LBB4_4577
; %bb.5149:                             ;   in Loop: Header=BB4_4579 Depth=2
	v_bfe_u32 v11, v10, 23, 8
	v_and_b32_e32 v12, 0x7fffff, v10
	v_sub_nc_u32_e32 v13, 0x70, v11
	v_cmp_gt_u32_e32 vcc_lo, 0x71, v11
	v_or_b32_e32 v17, 0x800000, v12
	v_cndmask_b32_e32 v13, 0, v13, vcc_lo
	v_cmp_eq_u32_e32 vcc_lo, 0, v11
	v_add_nc_u32_e32 v11, 0xffffff91, v11
	v_cndmask_b32_e64 v13, v13, 0x6f, vcc_lo
	v_cndmask_b32_e32 v12, v17, v12, vcc_lo
	v_cndmask_b32_e64 v11, v11, 0xffffff92, vcc_lo
	v_lshl_add_u32 v17, 0x200000, v13, -1
	v_lshrrev_b32_e32 v41, v13, v12
	v_lshlrev_b32_e64 v43, v13, 0x100000
	v_add_nc_u32_e32 v13, v13, v11
	v_and_b32_e32 v12, v17, v12
	v_bfe_u32 v42, v41, 21, 1
	v_cmp_eq_u32_e64 s13, v12, v43
	v_add_nc_u32_e32 v17, -1, v42
	v_cndmask_b32_e64 v12, 0, v17, s13
	v_lshrrev_b32_e32 v17, 23, v41
	s_mov_b32 s13, exec_lo
	v_add_nc_u32_e32 v12, v12, v41
	v_xor_b32_e32 v17, 1, v17
	v_and_b32_e32 v11, 0x1fffff, v12
	v_add_nc_u32_e32 v12, v11, v41
                                        ; implicit-def: $vgpr11
	v_cmpx_ne_u32_e64 v13, v17
	s_xor_b32 s13, exec_lo, s13
; %bb.5150:                             ;   in Loop: Header=BB4_4579 Depth=2
	v_cmp_lt_u32_e32 vcc_lo, 0xffffff, v12
	v_sub_nc_u32_e32 v11, v13, v17
	v_cndmask_b32_e64 v13, 0, 1, vcc_lo
	v_add_co_ci_u32_e64 v11, null, 0, v11, vcc_lo
	v_lshrrev_b32_e32 v12, v13, v12
; %bb.5151:                             ;   in Loop: Header=BB4_4579 Depth=2
	s_andn2_saveexec_b32 s13, s13
	s_cbranch_execz .LBB4_4576
; %bb.5152:                             ;   in Loop: Header=BB4_4579 Depth=2
	v_bfe_u32 v11, v12, 23, 1
	s_branch .LBB4_4576
.LBB4_5153:                             ;   in Loop: Header=BB4_4579 Depth=2
	s_or_saveexec_b32 s40, s40
	v_mov_b32_e32 v71, 0x7f800001
	s_xor_b32 exec_lo, exec_lo, s40
	s_cbranch_execz .LBB4_4584
.LBB4_5154:                             ;   in Loop: Header=BB4_4579 Depth=2
	v_cmp_ne_u16_sdwa s41, v14, v51 src0_sel:BYTE_0 src1_sel:DWORD
	v_mov_b32_e32 v71, 0
	s_andn2_b32 s13, s13, exec_lo
	s_and_b32 s41, s41, exec_lo
	s_or_b32 s13, s13, s41
	s_or_b32 exec_lo, exec_lo, s40
	s_and_saveexec_b32 s40, s13
	s_cbranch_execnz .LBB4_4585
	s_branch .LBB4_4586
.LBB4_5155:                             ;   in Loop: Header=BB4_4579 Depth=2
	s_or_saveexec_b32 s40, s40
	v_mov_b32_e32 v80, 0x7f800001
	s_xor_b32 exec_lo, exec_lo, s40
	s_cbranch_execz .LBB4_4590
.LBB4_5156:                             ;   in Loop: Header=BB4_4579 Depth=2
	v_cmp_ne_u16_sdwa s41, v10, v51 src0_sel:BYTE_0 src1_sel:DWORD
	v_mov_b32_e32 v80, 0
	s_andn2_b32 s13, s13, exec_lo
	s_and_b32 s41, s41, exec_lo
	s_or_b32 s13, s13, s41
	s_or_b32 exec_lo, exec_lo, s40
	s_and_saveexec_b32 s40, s13
	s_cbranch_execnz .LBB4_4591
	s_branch .LBB4_4592
.LBB4_5157:                             ;   in Loop: Header=BB4_4579 Depth=2
	s_or_saveexec_b32 s40, s40
	v_mov_b32_e32 v71, 0x7f800001
	s_xor_b32 exec_lo, exec_lo, s40
	s_cbranch_execz .LBB4_4598
.LBB4_5158:                             ;   in Loop: Header=BB4_4579 Depth=2
	v_cmp_ne_u16_sdwa s41, v14, v51 src0_sel:BYTE_0 src1_sel:DWORD
	v_mov_b32_e32 v71, 0
	s_andn2_b32 s13, s13, exec_lo
	s_and_b32 s41, s41, exec_lo
	s_or_b32 s13, s13, s41
	s_or_b32 exec_lo, exec_lo, s40
	s_and_saveexec_b32 s40, s13
	s_cbranch_execnz .LBB4_4599
	s_branch .LBB4_4600
.LBB4_5159:                             ;   in Loop: Header=BB4_4579 Depth=2
	s_or_saveexec_b32 s40, s40
	v_mov_b32_e32 v80, 0x7f800001
	s_xor_b32 exec_lo, exec_lo, s40
	s_cbranch_execz .LBB4_4604
.LBB4_5160:                             ;   in Loop: Header=BB4_4579 Depth=2
	v_cmp_ne_u16_sdwa s41, v10, v51 src0_sel:BYTE_0 src1_sel:DWORD
	v_mov_b32_e32 v80, 0
	s_andn2_b32 s13, s13, exec_lo
	s_and_b32 s41, s41, exec_lo
	s_or_b32 s13, s13, s41
	s_or_b32 exec_lo, exec_lo, s40
	s_and_saveexec_b32 s40, s13
	s_cbranch_execnz .LBB4_4605
	s_branch .LBB4_4606
.LBB4_5161:                             ;   in Loop: Header=BB4_4579 Depth=2
	s_or_saveexec_b32 s40, s40
	v_mov_b32_e32 v80, 0x7f800001
	s_xor_b32 exec_lo, exec_lo, s40
	s_cbranch_execz .LBB4_4620
.LBB4_5162:                             ;   in Loop: Header=BB4_4579 Depth=2
	v_cmp_ne_u16_sdwa s41, v14, v51 src0_sel:BYTE_1 src1_sel:DWORD
	v_mov_b32_e32 v80, 0
	s_andn2_b32 s13, s13, exec_lo
	s_and_b32 s41, s41, exec_lo
	s_or_b32 s13, s13, s41
	s_or_b32 exec_lo, exec_lo, s40
	s_and_saveexec_b32 s40, s13
	s_cbranch_execnz .LBB4_4621
	s_branch .LBB4_4622
.LBB4_5163:                             ;   in Loop: Header=BB4_4579 Depth=2
	s_or_saveexec_b32 s40, s40
	v_mov_b32_e32 v81, 0x7f800001
	s_xor_b32 exec_lo, exec_lo, s40
	s_cbranch_execz .LBB4_4626
.LBB4_5164:                             ;   in Loop: Header=BB4_4579 Depth=2
	v_cmp_ne_u16_sdwa s41, v10, v51 src0_sel:BYTE_1 src1_sel:DWORD
	v_mov_b32_e32 v81, 0
	s_andn2_b32 s13, s13, exec_lo
	s_and_b32 s41, s41, exec_lo
	s_or_b32 s13, s13, s41
	s_or_b32 exec_lo, exec_lo, s40
	s_and_saveexec_b32 s40, s13
	s_cbranch_execnz .LBB4_4627
	s_branch .LBB4_4628
.LBB4_5165:                             ;   in Loop: Header=BB4_4579 Depth=2
	s_or_saveexec_b32 s40, s40
	v_mov_b32_e32 v80, 0x7f800001
	s_xor_b32 exec_lo, exec_lo, s40
	s_cbranch_execz .LBB4_4634
.LBB4_5166:                             ;   in Loop: Header=BB4_4579 Depth=2
	v_cmp_ne_u16_sdwa s41, v14, v51 src0_sel:BYTE_1 src1_sel:DWORD
	v_mov_b32_e32 v80, 0
	s_andn2_b32 s13, s13, exec_lo
	s_and_b32 s41, s41, exec_lo
	s_or_b32 s13, s13, s41
	s_or_b32 exec_lo, exec_lo, s40
	s_and_saveexec_b32 s40, s13
	s_cbranch_execnz .LBB4_4635
	s_branch .LBB4_4636
.LBB4_5167:                             ;   in Loop: Header=BB4_4579 Depth=2
	s_or_saveexec_b32 s40, s40
	v_mov_b32_e32 v81, 0x7f800001
	s_xor_b32 exec_lo, exec_lo, s40
	s_cbranch_execz .LBB4_4640
.LBB4_5168:                             ;   in Loop: Header=BB4_4579 Depth=2
	v_cmp_ne_u16_sdwa s41, v10, v51 src0_sel:BYTE_1 src1_sel:DWORD
	v_mov_b32_e32 v81, 0
	s_andn2_b32 s13, s13, exec_lo
	s_and_b32 s41, s41, exec_lo
	s_or_b32 s13, s13, s41
	s_or_b32 exec_lo, exec_lo, s40
	s_and_saveexec_b32 s40, s13
	s_cbranch_execnz .LBB4_4641
	s_branch .LBB4_4642
.LBB4_5169:                             ;   in Loop: Header=BB4_4579 Depth=2
	s_or_saveexec_b32 s13, s13
	v_mov_b32_e32 v113, 0x7f800001
	s_xor_b32 exec_lo, exec_lo, s13
	s_cbranch_execz .LBB4_4656
.LBB4_5170:                             ;   in Loop: Header=BB4_4579 Depth=2
	v_cmp_ne_u16_e32 vcc_lo, 0, v81
	v_mov_b32_e32 v113, 0
	s_andn2_b32 s40, s40, exec_lo
	s_and_b32 s41, vcc_lo, exec_lo
	s_or_b32 s40, s40, s41
	s_or_b32 exec_lo, exec_lo, s13
	s_and_saveexec_b32 s13, s40
	s_cbranch_execnz .LBB4_4657
	s_branch .LBB4_4658
.LBB4_5171:                             ;   in Loop: Header=BB4_4579 Depth=2
	s_or_saveexec_b32 s40, s40
	v_mov_b32_e32 v114, 0x7f800001
	s_xor_b32 exec_lo, exec_lo, s40
	s_cbranch_execz .LBB4_4662
.LBB4_5172:                             ;   in Loop: Header=BB4_4579 Depth=2
	v_cmp_ne_u16_e32 vcc_lo, 0, v115
	v_mov_b32_e32 v114, 0
	s_andn2_b32 s13, s13, exec_lo
	s_and_b32 s41, vcc_lo, exec_lo
	s_or_b32 s13, s13, s41
	s_or_b32 exec_lo, exec_lo, s40
	s_and_saveexec_b32 s40, s13
	s_cbranch_execnz .LBB4_4663
	s_branch .LBB4_4664
.LBB4_5173:                             ;   in Loop: Header=BB4_4579 Depth=2
	s_or_saveexec_b32 s40, s40
	v_mov_b32_e32 v113, 0x7f800001
	s_xor_b32 exec_lo, exec_lo, s40
	s_cbranch_execz .LBB4_4670
.LBB4_5174:                             ;   in Loop: Header=BB4_4579 Depth=2
	v_cmp_ne_u16_e32 vcc_lo, 0, v81
	v_mov_b32_e32 v113, 0
	s_andn2_b32 s13, s13, exec_lo
	s_and_b32 s41, vcc_lo, exec_lo
	s_or_b32 s13, s13, s41
	s_or_b32 exec_lo, exec_lo, s40
	s_and_saveexec_b32 s40, s13
	s_cbranch_execnz .LBB4_4671
	s_branch .LBB4_4672
.LBB4_5175:                             ;   in Loop: Header=BB4_4579 Depth=2
	s_or_saveexec_b32 s40, s40
	v_mov_b32_e32 v81, 0x7f800001
	s_xor_b32 exec_lo, exec_lo, s40
	s_cbranch_execz .LBB4_4676
.LBB4_5176:                             ;   in Loop: Header=BB4_4579 Depth=2
	v_cmp_ne_u16_e32 vcc_lo, 0, v114
	v_mov_b32_e32 v81, 0
	s_andn2_b32 s13, s13, exec_lo
	s_and_b32 s41, vcc_lo, exec_lo
	s_or_b32 s13, s13, s41
	s_or_b32 exec_lo, exec_lo, s40
	s_and_saveexec_b32 s40, s13
	s_cbranch_execnz .LBB4_4677
	s_branch .LBB4_4678
.LBB4_5177:                             ;   in Loop: Header=BB4_4579 Depth=2
	s_or_saveexec_b32 s40, s40
	v_mov_b32_e32 v113, 0x7f800001
	s_xor_b32 exec_lo, exec_lo, s40
	s_cbranch_execz .LBB4_4692
.LBB4_5178:                             ;   in Loop: Header=BB4_4579 Depth=2
	v_cmp_ne_u16_sdwa s41, v14, v51 src0_sel:BYTE_3 src1_sel:DWORD
	v_mov_b32_e32 v113, 0
	s_andn2_b32 s13, s13, exec_lo
	s_and_b32 s41, s41, exec_lo
	s_or_b32 s13, s13, s41
	s_or_b32 exec_lo, exec_lo, s40
	s_and_saveexec_b32 s40, s13
	s_cbranch_execnz .LBB4_4693
	s_branch .LBB4_4694
.LBB4_5179:                             ;   in Loop: Header=BB4_4579 Depth=2
	s_or_saveexec_b32 s40, s40
	v_mov_b32_e32 v114, 0x7f800001
	s_xor_b32 exec_lo, exec_lo, s40
	s_cbranch_execz .LBB4_4698
.LBB4_5180:                             ;   in Loop: Header=BB4_4579 Depth=2
	v_cmp_ne_u16_sdwa s41, v10, v51 src0_sel:BYTE_3 src1_sel:DWORD
	v_mov_b32_e32 v114, 0
	s_andn2_b32 s13, s13, exec_lo
	s_and_b32 s41, s41, exec_lo
	s_or_b32 s13, s13, s41
	s_or_b32 exec_lo, exec_lo, s40
	s_and_saveexec_b32 s40, s13
	s_cbranch_execnz .LBB4_4699
	s_branch .LBB4_4700
.LBB4_5181:                             ;   in Loop: Header=BB4_4579 Depth=2
	s_or_saveexec_b32 s40, s40
	v_mov_b32_e32 v113, 0x7f800001
	s_xor_b32 exec_lo, exec_lo, s40
	s_cbranch_execz .LBB4_4706
.LBB4_5182:                             ;   in Loop: Header=BB4_4579 Depth=2
	v_cmp_ne_u16_sdwa s41, v14, v51 src0_sel:BYTE_3 src1_sel:DWORD
	v_mov_b32_e32 v113, 0
	s_andn2_b32 s13, s13, exec_lo
	s_and_b32 s41, s41, exec_lo
	s_or_b32 s13, s13, s41
	s_or_b32 exec_lo, exec_lo, s40
	s_and_saveexec_b32 s40, s13
	s_cbranch_execnz .LBB4_4707
	s_branch .LBB4_4708
.LBB4_5183:                             ;   in Loop: Header=BB4_4579 Depth=2
	s_or_saveexec_b32 s40, s40
	v_mov_b32_e32 v14, 0x7f800001
	s_xor_b32 exec_lo, exec_lo, s40
	s_cbranch_execz .LBB4_4712
.LBB4_5184:                             ;   in Loop: Header=BB4_4579 Depth=2
	v_cmp_ne_u16_sdwa s41, v10, v51 src0_sel:BYTE_3 src1_sel:DWORD
	v_mov_b32_e32 v14, 0
	s_andn2_b32 s13, s13, exec_lo
	s_and_b32 s41, s41, exec_lo
	s_or_b32 s13, s13, s41
	s_or_b32 exec_lo, exec_lo, s40
	s_and_saveexec_b32 s40, s13
	s_cbranch_execnz .LBB4_4713
	s_branch .LBB4_4714
.LBB4_5185:                             ;   in Loop: Header=BB4_4579 Depth=2
	s_or_saveexec_b32 s40, s40
	v_mov_b32_e32 v81, 0x7f800001
	s_xor_b32 exec_lo, exec_lo, s40
	s_cbranch_execz .LBB4_4728
.LBB4_5186:                             ;   in Loop: Header=BB4_4579 Depth=2
	v_cmp_ne_u16_sdwa s41, v15, v51 src0_sel:BYTE_0 src1_sel:DWORD
	v_mov_b32_e32 v81, 0
	s_andn2_b32 s13, s13, exec_lo
	s_and_b32 s41, s41, exec_lo
	s_or_b32 s13, s13, s41
	s_or_b32 exec_lo, exec_lo, s40
	s_and_saveexec_b32 s40, s13
	s_cbranch_execnz .LBB4_4729
	s_branch .LBB4_4730
.LBB4_5187:                             ;   in Loop: Header=BB4_4579 Depth=2
	s_or_saveexec_b32 s40, s40
	v_mov_b32_e32 v113, 0x7f800001
	s_xor_b32 exec_lo, exec_lo, s40
	s_cbranch_execz .LBB4_4734
.LBB4_5188:                             ;   in Loop: Header=BB4_4579 Depth=2
	v_cmp_ne_u16_sdwa s41, v11, v51 src0_sel:BYTE_0 src1_sel:DWORD
	v_mov_b32_e32 v113, 0
	s_andn2_b32 s13, s13, exec_lo
	s_and_b32 s41, s41, exec_lo
	s_or_b32 s13, s13, s41
	s_or_b32 exec_lo, exec_lo, s40
	s_and_saveexec_b32 s40, s13
	s_cbranch_execnz .LBB4_4735
	s_branch .LBB4_4736
.LBB4_5189:                             ;   in Loop: Header=BB4_4579 Depth=2
	s_or_saveexec_b32 s40, s40
	v_mov_b32_e32 v81, 0x7f800001
	s_xor_b32 exec_lo, exec_lo, s40
	s_cbranch_execz .LBB4_4742
.LBB4_5190:                             ;   in Loop: Header=BB4_4579 Depth=2
	v_cmp_ne_u16_sdwa s41, v15, v51 src0_sel:BYTE_0 src1_sel:DWORD
	v_mov_b32_e32 v81, 0
	s_andn2_b32 s13, s13, exec_lo
	s_and_b32 s41, s41, exec_lo
	s_or_b32 s13, s13, s41
	s_or_b32 exec_lo, exec_lo, s40
	s_and_saveexec_b32 s40, s13
	s_cbranch_execnz .LBB4_4743
	s_branch .LBB4_4744
.LBB4_5191:                             ;   in Loop: Header=BB4_4579 Depth=2
	s_or_saveexec_b32 s40, s40
	v_mov_b32_e32 v113, 0x7f800001
	s_xor_b32 exec_lo, exec_lo, s40
	s_cbranch_execz .LBB4_4748
.LBB4_5192:                             ;   in Loop: Header=BB4_4579 Depth=2
	v_cmp_ne_u16_sdwa s41, v11, v51 src0_sel:BYTE_0 src1_sel:DWORD
	v_mov_b32_e32 v113, 0
	s_andn2_b32 s13, s13, exec_lo
	s_and_b32 s41, s41, exec_lo
	s_or_b32 s13, s13, s41
	s_or_b32 exec_lo, exec_lo, s40
	s_and_saveexec_b32 s40, s13
	s_cbranch_execnz .LBB4_4749
	s_branch .LBB4_4750
.LBB4_5193:                             ;   in Loop: Header=BB4_4579 Depth=2
	s_or_saveexec_b32 s40, s40
	v_mov_b32_e32 v113, 0x7f800001
	s_xor_b32 exec_lo, exec_lo, s40
	s_cbranch_execz .LBB4_4764
.LBB4_5194:                             ;   in Loop: Header=BB4_4579 Depth=2
	v_cmp_ne_u16_sdwa s41, v15, v51 src0_sel:BYTE_1 src1_sel:DWORD
	v_mov_b32_e32 v113, 0
	s_andn2_b32 s13, s13, exec_lo
	s_and_b32 s41, s41, exec_lo
	s_or_b32 s13, s13, s41
	s_or_b32 exec_lo, exec_lo, s40
	s_and_saveexec_b32 s40, s13
	s_cbranch_execnz .LBB4_4765
	s_branch .LBB4_4766
.LBB4_5195:                             ;   in Loop: Header=BB4_4579 Depth=2
	s_or_saveexec_b32 s40, s40
	v_mov_b32_e32 v114, 0x7f800001
	s_xor_b32 exec_lo, exec_lo, s40
	s_cbranch_execz .LBB4_4770
.LBB4_5196:                             ;   in Loop: Header=BB4_4579 Depth=2
	v_cmp_ne_u16_sdwa s41, v11, v51 src0_sel:BYTE_1 src1_sel:DWORD
	v_mov_b32_e32 v114, 0
	s_andn2_b32 s13, s13, exec_lo
	s_and_b32 s41, s41, exec_lo
	s_or_b32 s13, s13, s41
	s_or_b32 exec_lo, exec_lo, s40
	s_and_saveexec_b32 s40, s13
	s_cbranch_execnz .LBB4_4771
	s_branch .LBB4_4772
.LBB4_5197:                             ;   in Loop: Header=BB4_4579 Depth=2
	s_or_saveexec_b32 s40, s40
	v_mov_b32_e32 v113, 0x7f800001
	s_xor_b32 exec_lo, exec_lo, s40
	s_cbranch_execz .LBB4_4778
.LBB4_5198:                             ;   in Loop: Header=BB4_4579 Depth=2
	v_cmp_ne_u16_sdwa s41, v15, v51 src0_sel:BYTE_1 src1_sel:DWORD
	v_mov_b32_e32 v113, 0
	s_andn2_b32 s13, s13, exec_lo
	s_and_b32 s41, s41, exec_lo
	s_or_b32 s13, s13, s41
	s_or_b32 exec_lo, exec_lo, s40
	s_and_saveexec_b32 s40, s13
	s_cbranch_execnz .LBB4_4779
	s_branch .LBB4_4780
.LBB4_5199:                             ;   in Loop: Header=BB4_4579 Depth=2
	s_or_saveexec_b32 s40, s40
	v_mov_b32_e32 v114, 0x7f800001
	s_xor_b32 exec_lo, exec_lo, s40
	s_cbranch_execz .LBB4_4784
.LBB4_5200:                             ;   in Loop: Header=BB4_4579 Depth=2
	v_cmp_ne_u16_sdwa s41, v11, v51 src0_sel:BYTE_1 src1_sel:DWORD
	v_mov_b32_e32 v114, 0
	s_andn2_b32 s13, s13, exec_lo
	s_and_b32 s41, s41, exec_lo
	s_or_b32 s13, s13, s41
	s_or_b32 exec_lo, exec_lo, s40
	s_and_saveexec_b32 s40, s13
	s_cbranch_execnz .LBB4_4785
	s_branch .LBB4_4786
.LBB4_5201:                             ;   in Loop: Header=BB4_4579 Depth=2
	s_or_saveexec_b32 s13, s13
	v_mov_b32_e32 v115, 0x7f800001
	s_xor_b32 exec_lo, exec_lo, s13
	s_cbranch_execz .LBB4_4800
.LBB4_5202:                             ;   in Loop: Header=BB4_4579 Depth=2
	v_cmp_ne_u16_e32 vcc_lo, 0, v114
	v_mov_b32_e32 v115, 0
	s_andn2_b32 s40, s40, exec_lo
	s_and_b32 s41, vcc_lo, exec_lo
	s_or_b32 s40, s40, s41
	s_or_b32 exec_lo, exec_lo, s13
	s_and_saveexec_b32 s13, s40
	s_cbranch_execnz .LBB4_4801
	s_branch .LBB4_4802
.LBB4_5203:                             ;   in Loop: Header=BB4_4579 Depth=2
	s_or_saveexec_b32 s40, s40
	v_mov_b32_e32 v116, 0x7f800001
	s_xor_b32 exec_lo, exec_lo, s40
	s_cbranch_execz .LBB4_4806
.LBB4_5204:                             ;   in Loop: Header=BB4_4579 Depth=2
	v_cmp_ne_u16_e32 vcc_lo, 0, v117
	v_mov_b32_e32 v116, 0
	s_andn2_b32 s13, s13, exec_lo
	s_and_b32 s41, vcc_lo, exec_lo
	s_or_b32 s13, s13, s41
	s_or_b32 exec_lo, exec_lo, s40
	s_and_saveexec_b32 s40, s13
	s_cbranch_execnz .LBB4_4807
	s_branch .LBB4_4808
.LBB4_5205:                             ;   in Loop: Header=BB4_4579 Depth=2
	s_or_saveexec_b32 s40, s40
	v_mov_b32_e32 v115, 0x7f800001
	s_xor_b32 exec_lo, exec_lo, s40
	s_cbranch_execz .LBB4_4814
.LBB4_5206:                             ;   in Loop: Header=BB4_4579 Depth=2
	v_cmp_ne_u16_e32 vcc_lo, 0, v114
	v_mov_b32_e32 v115, 0
	s_andn2_b32 s13, s13, exec_lo
	s_and_b32 s41, vcc_lo, exec_lo
	s_or_b32 s13, s13, s41
	s_or_b32 exec_lo, exec_lo, s40
	s_and_saveexec_b32 s40, s13
	s_cbranch_execnz .LBB4_4815
	s_branch .LBB4_4816
.LBB4_5207:                             ;   in Loop: Header=BB4_4579 Depth=2
	s_or_saveexec_b32 s40, s40
	v_mov_b32_e32 v114, 0x7f800001
	s_xor_b32 exec_lo, exec_lo, s40
	s_cbranch_execz .LBB4_4820
.LBB4_5208:                             ;   in Loop: Header=BB4_4579 Depth=2
	v_cmp_ne_u16_e32 vcc_lo, 0, v116
	v_mov_b32_e32 v114, 0
	s_andn2_b32 s13, s13, exec_lo
	s_and_b32 s41, vcc_lo, exec_lo
	s_or_b32 s13, s13, s41
	s_or_b32 exec_lo, exec_lo, s40
	s_and_saveexec_b32 s40, s13
	s_cbranch_execnz .LBB4_4821
	s_branch .LBB4_4822
.LBB4_5209:                             ;   in Loop: Header=BB4_4579 Depth=2
	s_or_saveexec_b32 s40, s40
	v_mov_b32_e32 v115, 0x7f800001
	s_xor_b32 exec_lo, exec_lo, s40
	s_cbranch_execz .LBB4_4836
.LBB4_5210:                             ;   in Loop: Header=BB4_4579 Depth=2
	v_cmp_ne_u16_sdwa s41, v15, v51 src0_sel:BYTE_3 src1_sel:DWORD
	v_mov_b32_e32 v115, 0
	s_andn2_b32 s13, s13, exec_lo
	s_and_b32 s41, s41, exec_lo
	s_or_b32 s13, s13, s41
	s_or_b32 exec_lo, exec_lo, s40
	s_and_saveexec_b32 s40, s13
	s_cbranch_execnz .LBB4_4837
	s_branch .LBB4_4838
.LBB4_5211:                             ;   in Loop: Header=BB4_4579 Depth=2
	s_or_saveexec_b32 s40, s40
	v_mov_b32_e32 v116, 0x7f800001
	s_xor_b32 exec_lo, exec_lo, s40
	s_cbranch_execz .LBB4_4842
.LBB4_5212:                             ;   in Loop: Header=BB4_4579 Depth=2
	v_cmp_ne_u16_sdwa s41, v11, v51 src0_sel:BYTE_3 src1_sel:DWORD
	v_mov_b32_e32 v116, 0
	s_andn2_b32 s13, s13, exec_lo
	s_and_b32 s41, s41, exec_lo
	s_or_b32 s13, s13, s41
	s_or_b32 exec_lo, exec_lo, s40
	s_and_saveexec_b32 s40, s13
	s_cbranch_execnz .LBB4_4843
	s_branch .LBB4_4844
.LBB4_5213:                             ;   in Loop: Header=BB4_4579 Depth=2
	s_or_saveexec_b32 s40, s40
	v_mov_b32_e32 v115, 0x7f800001
	s_xor_b32 exec_lo, exec_lo, s40
	s_cbranch_execz .LBB4_4850
.LBB4_5214:                             ;   in Loop: Header=BB4_4579 Depth=2
	v_cmp_ne_u16_sdwa s41, v15, v51 src0_sel:BYTE_3 src1_sel:DWORD
	v_mov_b32_e32 v115, 0
	s_andn2_b32 s13, s13, exec_lo
	s_and_b32 s41, s41, exec_lo
	s_or_b32 s13, s13, s41
	s_or_b32 exec_lo, exec_lo, s40
	s_and_saveexec_b32 s40, s13
	s_cbranch_execnz .LBB4_4851
	s_branch .LBB4_4852
.LBB4_5215:                             ;   in Loop: Header=BB4_4579 Depth=2
	s_or_saveexec_b32 s40, s40
	v_mov_b32_e32 v15, 0x7f800001
	s_xor_b32 exec_lo, exec_lo, s40
	s_cbranch_execz .LBB4_4856
.LBB4_5216:                             ;   in Loop: Header=BB4_4579 Depth=2
	v_cmp_ne_u16_sdwa s41, v11, v51 src0_sel:BYTE_3 src1_sel:DWORD
	v_mov_b32_e32 v15, 0
	s_andn2_b32 s13, s13, exec_lo
	s_and_b32 s41, s41, exec_lo
	s_or_b32 s13, s13, s41
	s_or_b32 exec_lo, exec_lo, s40
	s_and_saveexec_b32 s40, s13
	s_cbranch_execnz .LBB4_4857
	s_branch .LBB4_4858
.LBB4_5217:                             ;   in Loop: Header=BB4_4579 Depth=2
	s_or_saveexec_b32 s40, s40
	v_mov_b32_e32 v11, 0x7f800001
	s_xor_b32 exec_lo, exec_lo, s40
	s_cbranch_execz .LBB4_4872
.LBB4_5218:                             ;   in Loop: Header=BB4_4579 Depth=2
	v_cmp_ne_u16_sdwa s41, v16, v51 src0_sel:BYTE_0 src1_sel:DWORD
	v_mov_b32_e32 v11, 0
	s_andn2_b32 s13, s13, exec_lo
	s_and_b32 s41, s41, exec_lo
	s_or_b32 s13, s13, s41
	s_or_b32 exec_lo, exec_lo, s40
	s_and_saveexec_b32 s40, s13
	s_cbranch_execnz .LBB4_4873
	s_branch .LBB4_4874
.LBB4_5219:                             ;   in Loop: Header=BB4_4579 Depth=2
	s_or_saveexec_b32 s40, s40
	v_mov_b32_e32 v115, 0x7f800001
	s_xor_b32 exec_lo, exec_lo, s40
	s_cbranch_execz .LBB4_4878
.LBB4_5220:                             ;   in Loop: Header=BB4_4579 Depth=2
	v_cmp_ne_u16_sdwa s41, v12, v51 src0_sel:BYTE_0 src1_sel:DWORD
	v_mov_b32_e32 v115, 0
	s_andn2_b32 s13, s13, exec_lo
	s_and_b32 s41, s41, exec_lo
	s_or_b32 s13, s13, s41
	s_or_b32 exec_lo, exec_lo, s40
	s_and_saveexec_b32 s40, s13
	s_cbranch_execnz .LBB4_4879
	s_branch .LBB4_4880
.LBB4_5221:                             ;   in Loop: Header=BB4_4579 Depth=2
	s_or_saveexec_b32 s40, s40
	v_mov_b32_e32 v11, 0x7f800001
	s_xor_b32 exec_lo, exec_lo, s40
	s_cbranch_execz .LBB4_4886
.LBB4_5222:                             ;   in Loop: Header=BB4_4579 Depth=2
	v_cmp_ne_u16_sdwa s41, v16, v51 src0_sel:BYTE_0 src1_sel:DWORD
	v_mov_b32_e32 v11, 0
	s_andn2_b32 s13, s13, exec_lo
	s_and_b32 s41, s41, exec_lo
	s_or_b32 s13, s13, s41
	s_or_b32 exec_lo, exec_lo, s40
	s_and_saveexec_b32 s40, s13
	s_cbranch_execnz .LBB4_4887
	s_branch .LBB4_4888
.LBB4_5223:                             ;   in Loop: Header=BB4_4579 Depth=2
	s_or_saveexec_b32 s40, s40
	v_mov_b32_e32 v115, 0x7f800001
	s_xor_b32 exec_lo, exec_lo, s40
	s_cbranch_execz .LBB4_4892
.LBB4_5224:                             ;   in Loop: Header=BB4_4579 Depth=2
	v_cmp_ne_u16_sdwa s41, v12, v51 src0_sel:BYTE_0 src1_sel:DWORD
	v_mov_b32_e32 v115, 0
	s_andn2_b32 s13, s13, exec_lo
	s_and_b32 s41, s41, exec_lo
	s_or_b32 s13, s13, s41
	s_or_b32 exec_lo, exec_lo, s40
	s_and_saveexec_b32 s40, s13
	s_cbranch_execnz .LBB4_4893
	s_branch .LBB4_4894
.LBB4_5225:                             ;   in Loop: Header=BB4_4579 Depth=2
	s_or_saveexec_b32 s40, s40
	v_mov_b32_e32 v11, 0x7f800001
	s_xor_b32 exec_lo, exec_lo, s40
	s_cbranch_execz .LBB4_4908
.LBB4_5226:                             ;   in Loop: Header=BB4_4579 Depth=2
	v_cmp_ne_u16_sdwa s41, v16, v51 src0_sel:BYTE_1 src1_sel:DWORD
	v_mov_b32_e32 v11, 0
	s_andn2_b32 s13, s13, exec_lo
	s_and_b32 s41, s41, exec_lo
	s_or_b32 s13, s13, s41
	s_or_b32 exec_lo, exec_lo, s40
	s_and_saveexec_b32 s40, s13
	s_cbranch_execnz .LBB4_4909
	s_branch .LBB4_4910
.LBB4_5227:                             ;   in Loop: Header=BB4_4579 Depth=2
	s_or_saveexec_b32 s40, s40
	v_mov_b32_e32 v116, 0x7f800001
	s_xor_b32 exec_lo, exec_lo, s40
	s_cbranch_execz .LBB4_4914
.LBB4_5228:                             ;   in Loop: Header=BB4_4579 Depth=2
	v_cmp_ne_u16_sdwa s41, v12, v51 src0_sel:BYTE_1 src1_sel:DWORD
	v_mov_b32_e32 v116, 0
	s_andn2_b32 s13, s13, exec_lo
	s_and_b32 s41, s41, exec_lo
	s_or_b32 s13, s13, s41
	s_or_b32 exec_lo, exec_lo, s40
	s_and_saveexec_b32 s40, s13
	s_cbranch_execnz .LBB4_4915
	s_branch .LBB4_4916
.LBB4_5229:                             ;   in Loop: Header=BB4_4579 Depth=2
	s_or_saveexec_b32 s40, s40
	v_mov_b32_e32 v11, 0x7f800001
	s_xor_b32 exec_lo, exec_lo, s40
	s_cbranch_execz .LBB4_4922
.LBB4_5230:                             ;   in Loop: Header=BB4_4579 Depth=2
	v_cmp_ne_u16_sdwa s41, v16, v51 src0_sel:BYTE_1 src1_sel:DWORD
	v_mov_b32_e32 v11, 0
	s_andn2_b32 s13, s13, exec_lo
	s_and_b32 s41, s41, exec_lo
	s_or_b32 s13, s13, s41
	s_or_b32 exec_lo, exec_lo, s40
	s_and_saveexec_b32 s40, s13
	s_cbranch_execnz .LBB4_4923
	s_branch .LBB4_4924
.LBB4_5231:                             ;   in Loop: Header=BB4_4579 Depth=2
	s_or_saveexec_b32 s40, s40
	v_mov_b32_e32 v116, 0x7f800001
	s_xor_b32 exec_lo, exec_lo, s40
	s_cbranch_execz .LBB4_4928
.LBB4_5232:                             ;   in Loop: Header=BB4_4579 Depth=2
	v_cmp_ne_u16_sdwa s41, v12, v51 src0_sel:BYTE_1 src1_sel:DWORD
	v_mov_b32_e32 v116, 0
	s_andn2_b32 s13, s13, exec_lo
	s_and_b32 s41, s41, exec_lo
	s_or_b32 s13, s13, s41
	s_or_b32 exec_lo, exec_lo, s40
	s_and_saveexec_b32 s40, s13
	s_cbranch_execnz .LBB4_4929
	s_branch .LBB4_4930
.LBB4_5233:                             ;   in Loop: Header=BB4_4579 Depth=2
	s_or_saveexec_b32 s13, s13
	v_mov_b32_e32 v117, 0x7f800001
	s_xor_b32 exec_lo, exec_lo, s13
	s_cbranch_execz .LBB4_4944
.LBB4_5234:                             ;   in Loop: Header=BB4_4579 Depth=2
	v_cmp_ne_u16_e32 vcc_lo, 0, v11
	v_mov_b32_e32 v117, 0
	s_andn2_b32 s40, s40, exec_lo
	s_and_b32 s41, vcc_lo, exec_lo
	s_or_b32 s40, s40, s41
	s_or_b32 exec_lo, exec_lo, s13
	s_and_saveexec_b32 s13, s40
	s_cbranch_execnz .LBB4_4945
	s_branch .LBB4_4946
.LBB4_5235:                             ;   in Loop: Header=BB4_4579 Depth=2
	s_or_saveexec_b32 s40, s40
	v_mov_b32_e32 v118, 0x7f800001
	s_xor_b32 exec_lo, exec_lo, s40
	s_cbranch_execz .LBB4_4950
.LBB4_5236:                             ;   in Loop: Header=BB4_4579 Depth=2
	v_cmp_ne_u16_e32 vcc_lo, 0, v119
	v_mov_b32_e32 v118, 0
	s_andn2_b32 s13, s13, exec_lo
	s_and_b32 s41, vcc_lo, exec_lo
	s_or_b32 s13, s13, s41
	s_or_b32 exec_lo, exec_lo, s40
	s_and_saveexec_b32 s40, s13
	s_cbranch_execnz .LBB4_4951
	s_branch .LBB4_4952
.LBB4_5237:                             ;   in Loop: Header=BB4_4579 Depth=2
	s_or_saveexec_b32 s40, s40
	v_mov_b32_e32 v117, 0x7f800001
	s_xor_b32 exec_lo, exec_lo, s40
	s_cbranch_execz .LBB4_4958
.LBB4_5238:                             ;   in Loop: Header=BB4_4579 Depth=2
	v_cmp_ne_u16_e32 vcc_lo, 0, v11
	v_mov_b32_e32 v117, 0
	s_andn2_b32 s13, s13, exec_lo
	s_and_b32 s41, vcc_lo, exec_lo
	s_or_b32 s13, s13, s41
	s_or_b32 exec_lo, exec_lo, s40
	s_and_saveexec_b32 s40, s13
	s_cbranch_execnz .LBB4_4959
	s_branch .LBB4_4960
.LBB4_5239:                             ;   in Loop: Header=BB4_4579 Depth=2
	s_or_saveexec_b32 s40, s40
	v_mov_b32_e32 v11, 0x7f800001
	s_xor_b32 exec_lo, exec_lo, s40
	s_cbranch_execz .LBB4_4964
.LBB4_5240:                             ;   in Loop: Header=BB4_4579 Depth=2
	v_cmp_ne_u16_e32 vcc_lo, 0, v118
	v_mov_b32_e32 v11, 0
	s_andn2_b32 s13, s13, exec_lo
	s_and_b32 s41, vcc_lo, exec_lo
	s_or_b32 s13, s13, s41
	s_or_b32 exec_lo, exec_lo, s40
	s_and_saveexec_b32 s40, s13
	s_cbranch_execnz .LBB4_4965
	s_branch .LBB4_4966
.LBB4_5241:                             ;   in Loop: Header=BB4_4579 Depth=2
	s_or_saveexec_b32 s40, s40
	v_mov_b32_e32 v11, 0x7f800001
	s_xor_b32 exec_lo, exec_lo, s40
	s_cbranch_execz .LBB4_4980
.LBB4_5242:                             ;   in Loop: Header=BB4_4579 Depth=2
	v_cmp_ne_u16_sdwa s41, v16, v51 src0_sel:BYTE_3 src1_sel:DWORD
	v_mov_b32_e32 v11, 0
	s_andn2_b32 s13, s13, exec_lo
	s_and_b32 s41, s41, exec_lo
	s_or_b32 s13, s13, s41
	s_or_b32 exec_lo, exec_lo, s40
	s_and_saveexec_b32 s40, s13
	s_cbranch_execnz .LBB4_4981
	s_branch .LBB4_4982
.LBB4_5243:                             ;   in Loop: Header=BB4_4579 Depth=2
	s_or_saveexec_b32 s40, s40
	v_mov_b32_e32 v118, 0x7f800001
	s_xor_b32 exec_lo, exec_lo, s40
	s_cbranch_execz .LBB4_4986
.LBB4_5244:                             ;   in Loop: Header=BB4_4579 Depth=2
	v_cmp_ne_u16_sdwa s41, v12, v51 src0_sel:BYTE_3 src1_sel:DWORD
	v_mov_b32_e32 v118, 0
	s_andn2_b32 s13, s13, exec_lo
	s_and_b32 s41, s41, exec_lo
	s_or_b32 s13, s13, s41
	s_or_b32 exec_lo, exec_lo, s40
	s_and_saveexec_b32 s40, s13
	s_cbranch_execnz .LBB4_4987
	s_branch .LBB4_4988
.LBB4_5245:                             ;   in Loop: Header=BB4_4579 Depth=2
	s_or_saveexec_b32 s40, s40
	v_mov_b32_e32 v11, 0x7f800001
	s_xor_b32 exec_lo, exec_lo, s40
	s_cbranch_execz .LBB4_4994
.LBB4_5246:                             ;   in Loop: Header=BB4_4579 Depth=2
	v_cmp_ne_u16_sdwa s41, v16, v51 src0_sel:BYTE_3 src1_sel:DWORD
	v_mov_b32_e32 v11, 0
	s_andn2_b32 s13, s13, exec_lo
	s_and_b32 s41, s41, exec_lo
	s_or_b32 s13, s13, s41
	s_or_b32 exec_lo, exec_lo, s40
	s_and_saveexec_b32 s40, s13
	s_cbranch_execnz .LBB4_4995
	s_branch .LBB4_4996
.LBB4_5247:                             ;   in Loop: Header=BB4_4579 Depth=2
	s_or_saveexec_b32 s40, s40
	v_mov_b32_e32 v16, 0x7f800001
	s_xor_b32 exec_lo, exec_lo, s40
	s_cbranch_execz .LBB4_5000
.LBB4_5248:                             ;   in Loop: Header=BB4_4579 Depth=2
	v_cmp_ne_u16_sdwa s41, v12, v51 src0_sel:BYTE_3 src1_sel:DWORD
	v_mov_b32_e32 v16, 0
	s_andn2_b32 s13, s13, exec_lo
	s_and_b32 s41, s41, exec_lo
	s_or_b32 s13, s13, s41
	s_or_b32 exec_lo, exec_lo, s40
	s_and_saveexec_b32 s40, s13
	s_cbranch_execnz .LBB4_5001
	s_branch .LBB4_5002
.LBB4_5249:                             ;   in Loop: Header=BB4_4579 Depth=2
	s_or_saveexec_b32 s40, s40
	v_mov_b32_e32 v11, 0x7f800001
	s_xor_b32 exec_lo, exec_lo, s40
	s_cbranch_execz .LBB4_5016
.LBB4_5250:                             ;   in Loop: Header=BB4_4579 Depth=2
	v_cmp_ne_u16_sdwa s41, v17, v51 src0_sel:BYTE_0 src1_sel:DWORD
	v_mov_b32_e32 v11, 0
	s_andn2_b32 s13, s13, exec_lo
	s_and_b32 s41, s41, exec_lo
	s_or_b32 s13, s13, s41
	s_or_b32 exec_lo, exec_lo, s40
	s_and_saveexec_b32 s40, s13
	s_cbranch_execnz .LBB4_5017
	s_branch .LBB4_5018
.LBB4_5251:                             ;   in Loop: Header=BB4_4579 Depth=2
	s_or_saveexec_b32 s40, s40
	v_mov_b32_e32 v12, 0x7f800001
	s_xor_b32 exec_lo, exec_lo, s40
	s_cbranch_execz .LBB4_5022
.LBB4_5252:                             ;   in Loop: Header=BB4_4579 Depth=2
	v_cmp_ne_u16_sdwa s41, v13, v51 src0_sel:BYTE_0 src1_sel:DWORD
	v_mov_b32_e32 v12, 0
	s_andn2_b32 s13, s13, exec_lo
	s_and_b32 s41, s41, exec_lo
	s_or_b32 s13, s13, s41
	s_or_b32 exec_lo, exec_lo, s40
	s_and_saveexec_b32 s40, s13
	s_cbranch_execnz .LBB4_5023
	s_branch .LBB4_5024
.LBB4_5253:                             ;   in Loop: Header=BB4_4579 Depth=2
	s_or_saveexec_b32 s40, s40
	v_mov_b32_e32 v11, 0x7f800001
	s_xor_b32 exec_lo, exec_lo, s40
	s_cbranch_execz .LBB4_5030
.LBB4_5254:                             ;   in Loop: Header=BB4_4579 Depth=2
	v_cmp_ne_u16_sdwa s41, v17, v51 src0_sel:BYTE_0 src1_sel:DWORD
	v_mov_b32_e32 v11, 0
	s_andn2_b32 s13, s13, exec_lo
	s_and_b32 s41, s41, exec_lo
	s_or_b32 s13, s13, s41
	s_or_b32 exec_lo, exec_lo, s40
	s_and_saveexec_b32 s40, s13
	s_cbranch_execnz .LBB4_5031
	s_branch .LBB4_5032
.LBB4_5255:                             ;   in Loop: Header=BB4_4579 Depth=2
	s_or_saveexec_b32 s40, s40
	v_mov_b32_e32 v12, 0x7f800001
	s_xor_b32 exec_lo, exec_lo, s40
	s_cbranch_execz .LBB4_5036
.LBB4_5256:                             ;   in Loop: Header=BB4_4579 Depth=2
	v_cmp_ne_u16_sdwa s41, v13, v51 src0_sel:BYTE_0 src1_sel:DWORD
	v_mov_b32_e32 v12, 0
	s_andn2_b32 s13, s13, exec_lo
	s_and_b32 s41, s41, exec_lo
	s_or_b32 s13, s13, s41
	s_or_b32 exec_lo, exec_lo, s40
	s_and_saveexec_b32 s40, s13
	s_cbranch_execnz .LBB4_5037
	s_branch .LBB4_5038
.LBB4_5257:                             ;   in Loop: Header=BB4_4579 Depth=2
	s_or_saveexec_b32 s40, s40
	v_mov_b32_e32 v11, 0x7f800001
	s_xor_b32 exec_lo, exec_lo, s40
	s_cbranch_execz .LBB4_5052
.LBB4_5258:                             ;   in Loop: Header=BB4_4579 Depth=2
	v_cmp_ne_u16_sdwa s41, v17, v51 src0_sel:BYTE_1 src1_sel:DWORD
	v_mov_b32_e32 v11, 0
	s_andn2_b32 s13, s13, exec_lo
	s_and_b32 s41, s41, exec_lo
	s_or_b32 s13, s13, s41
	s_or_b32 exec_lo, exec_lo, s40
	s_and_saveexec_b32 s40, s13
	s_cbranch_execnz .LBB4_5053
	s_branch .LBB4_5054
.LBB4_5259:                             ;   in Loop: Header=BB4_4579 Depth=2
	s_or_saveexec_b32 s40, s40
	v_mov_b32_e32 v12, 0x7f800001
	s_xor_b32 exec_lo, exec_lo, s40
	s_cbranch_execz .LBB4_5058
.LBB4_5260:                             ;   in Loop: Header=BB4_4579 Depth=2
	v_cmp_ne_u16_sdwa s41, v13, v51 src0_sel:BYTE_1 src1_sel:DWORD
	v_mov_b32_e32 v12, 0
	s_andn2_b32 s13, s13, exec_lo
	s_and_b32 s41, s41, exec_lo
	s_or_b32 s13, s13, s41
	s_or_b32 exec_lo, exec_lo, s40
	s_and_saveexec_b32 s40, s13
	s_cbranch_execnz .LBB4_5059
	s_branch .LBB4_5060
.LBB4_5261:                             ;   in Loop: Header=BB4_4579 Depth=2
	s_or_saveexec_b32 s40, s40
	v_mov_b32_e32 v11, 0x7f800001
	s_xor_b32 exec_lo, exec_lo, s40
	s_cbranch_execz .LBB4_5066
.LBB4_5262:                             ;   in Loop: Header=BB4_4579 Depth=2
	v_cmp_ne_u16_sdwa s41, v17, v51 src0_sel:BYTE_1 src1_sel:DWORD
	v_mov_b32_e32 v11, 0
	s_andn2_b32 s13, s13, exec_lo
	s_and_b32 s41, s41, exec_lo
	s_or_b32 s13, s13, s41
	s_or_b32 exec_lo, exec_lo, s40
	s_and_saveexec_b32 s40, s13
	s_cbranch_execnz .LBB4_5067
	s_branch .LBB4_5068
.LBB4_5263:                             ;   in Loop: Header=BB4_4579 Depth=2
	s_or_saveexec_b32 s40, s40
	v_mov_b32_e32 v12, 0x7f800001
	s_xor_b32 exec_lo, exec_lo, s40
	s_cbranch_execz .LBB4_5072
.LBB4_5264:                             ;   in Loop: Header=BB4_4579 Depth=2
	v_cmp_ne_u16_sdwa s41, v13, v51 src0_sel:BYTE_1 src1_sel:DWORD
	v_mov_b32_e32 v12, 0
	s_andn2_b32 s13, s13, exec_lo
	s_and_b32 s41, s41, exec_lo
	s_or_b32 s13, s13, s41
	s_or_b32 exec_lo, exec_lo, s40
	s_and_saveexec_b32 s40, s13
	s_cbranch_execnz .LBB4_5073
	s_branch .LBB4_5074
.LBB4_5265:                             ;   in Loop: Header=BB4_4579 Depth=2
	s_or_saveexec_b32 s13, s13
	v_mov_b32_e32 v12, 0x7f800001
	s_xor_b32 exec_lo, exec_lo, s13
	s_cbranch_execz .LBB4_5088
.LBB4_5266:                             ;   in Loop: Header=BB4_4579 Depth=2
	v_cmp_ne_u16_e32 vcc_lo, 0, v11
	v_mov_b32_e32 v12, 0
	s_andn2_b32 s40, s40, exec_lo
	s_and_b32 s41, vcc_lo, exec_lo
	s_or_b32 s40, s40, s41
	s_or_b32 exec_lo, exec_lo, s13
	s_and_saveexec_b32 s13, s40
	s_cbranch_execnz .LBB4_5089
	s_branch .LBB4_5090
.LBB4_5267:                             ;   in Loop: Header=BB4_4579 Depth=2
	s_or_saveexec_b32 s40, s40
	v_mov_b32_e32 v40, 0x7f800001
	s_xor_b32 exec_lo, exec_lo, s40
	s_cbranch_execz .LBB4_5094
.LBB4_5268:                             ;   in Loop: Header=BB4_4579 Depth=2
	v_cmp_ne_u16_e32 vcc_lo, 0, v41
	v_mov_b32_e32 v40, 0
	s_andn2_b32 s13, s13, exec_lo
	s_and_b32 s41, vcc_lo, exec_lo
	s_or_b32 s13, s13, s41
	s_or_b32 exec_lo, exec_lo, s40
	s_and_saveexec_b32 s40, s13
	s_cbranch_execnz .LBB4_5095
	s_branch .LBB4_5096
.LBB4_5269:                             ;   in Loop: Header=BB4_4579 Depth=2
	s_or_saveexec_b32 s40, s40
	v_mov_b32_e32 v12, 0x7f800001
	s_xor_b32 exec_lo, exec_lo, s40
	s_cbranch_execz .LBB4_5102
.LBB4_5270:                             ;   in Loop: Header=BB4_4579 Depth=2
	v_cmp_ne_u16_e32 vcc_lo, 0, v11
	v_mov_b32_e32 v12, 0
	s_andn2_b32 s13, s13, exec_lo
	s_and_b32 s41, vcc_lo, exec_lo
	s_or_b32 s13, s13, s41
	s_or_b32 exec_lo, exec_lo, s40
	s_and_saveexec_b32 s40, s13
	s_cbranch_execnz .LBB4_5103
	s_branch .LBB4_5104
.LBB4_5271:                             ;   in Loop: Header=BB4_4579 Depth=2
	s_or_saveexec_b32 s40, s40
	v_mov_b32_e32 v11, 0x7f800001
	s_xor_b32 exec_lo, exec_lo, s40
	s_cbranch_execz .LBB4_5108
.LBB4_5272:                             ;   in Loop: Header=BB4_4579 Depth=2
	v_cmp_ne_u16_e32 vcc_lo, 0, v40
	v_mov_b32_e32 v11, 0
	s_andn2_b32 s13, s13, exec_lo
	s_and_b32 s41, vcc_lo, exec_lo
	s_or_b32 s13, s13, s41
	s_or_b32 exec_lo, exec_lo, s40
	s_and_saveexec_b32 s40, s13
	s_cbranch_execnz .LBB4_5109
	s_branch .LBB4_5110
.LBB4_5273:                             ;   in Loop: Header=BB4_4579 Depth=2
	s_or_saveexec_b32 s40, s40
	v_mov_b32_e32 v10, 0x7f800001
	s_xor_b32 exec_lo, exec_lo, s40
	s_cbranch_execz .LBB4_5124
.LBB4_5274:                             ;   in Loop: Header=BB4_4579 Depth=2
	v_cmp_ne_u16_sdwa s41, v17, v51 src0_sel:BYTE_3 src1_sel:DWORD
	v_mov_b32_e32 v10, 0
	s_andn2_b32 s13, s13, exec_lo
	s_and_b32 s41, s41, exec_lo
	s_or_b32 s13, s13, s41
	s_or_b32 exec_lo, exec_lo, s40
	s_and_saveexec_b32 s40, s13
	s_cbranch_execnz .LBB4_5125
	s_branch .LBB4_5126
.LBB4_5275:                             ;   in Loop: Header=BB4_4579 Depth=2
	s_or_saveexec_b32 s40, s40
	v_mov_b32_e32 v11, 0x7f800001
	s_xor_b32 exec_lo, exec_lo, s40
	s_cbranch_execz .LBB4_5130
.LBB4_5276:                             ;   in Loop: Header=BB4_4579 Depth=2
	v_cmp_ne_u16_sdwa s41, v13, v51 src0_sel:BYTE_3 src1_sel:DWORD
	v_mov_b32_e32 v11, 0
	s_andn2_b32 s13, s13, exec_lo
	s_and_b32 s41, s41, exec_lo
	s_or_b32 s13, s13, s41
	s_or_b32 exec_lo, exec_lo, s40
	s_and_saveexec_b32 s40, s13
	s_cbranch_execnz .LBB4_5131
	s_branch .LBB4_5132
.LBB4_5277:                             ;   in Loop: Header=BB4_4579 Depth=2
	s_or_saveexec_b32 s40, s40
	v_mov_b32_e32 v42, 0x7f800001
	s_xor_b32 exec_lo, exec_lo, s40
	s_cbranch_execz .LBB4_5138
.LBB4_5278:                             ;   in Loop: Header=BB4_4579 Depth=2
	v_cmp_ne_u16_sdwa s41, v17, v51 src0_sel:BYTE_3 src1_sel:DWORD
	v_mov_b32_e32 v42, 0
	s_andn2_b32 s13, s13, exec_lo
	s_and_b32 s41, s41, exec_lo
	s_or_b32 s13, s13, s41
	s_or_b32 exec_lo, exec_lo, s40
	s_and_saveexec_b32 s40, s13
	s_cbranch_execnz .LBB4_5139
	s_branch .LBB4_5140
.LBB4_5279:                             ;   in Loop: Header=BB4_4579 Depth=2
	s_or_saveexec_b32 s40, s40
	v_mov_b32_e32 v10, 0x7f800001
	s_xor_b32 exec_lo, exec_lo, s40
	s_cbranch_execz .LBB4_5144
.LBB4_5280:                             ;   in Loop: Header=BB4_4579 Depth=2
	v_cmp_ne_u16_sdwa s41, v13, v51 src0_sel:BYTE_3 src1_sel:DWORD
	v_mov_b32_e32 v10, 0
	s_andn2_b32 s13, s13, exec_lo
	s_and_b32 s41, s41, exec_lo
	s_or_b32 s13, s13, s41
	s_or_b32 exec_lo, exec_lo, s40
	s_and_saveexec_b32 s40, s13
	s_cbranch_execnz .LBB4_5145
	s_branch .LBB4_5146
.LBB4_5281:                             ;   in Loop: Header=BB4_3089 Depth=1
	s_or_b32 exec_lo, exec_lo, s28
.LBB4_5282:                             ;   in Loop: Header=BB4_3089 Depth=1
	s_or_b32 exec_lo, exec_lo, s27
	v_cmp_lt_i32_e32 vcc_lo, 0, v68
	v_and_b32_e32 v10, 15, v50
	v_and_b32_e32 v11, 0x1f0, v50
	v_cndmask_b32_e32 v12, 0, v86, vcc_lo
	v_cndmask_b32_e64 v17, v25, v10, s12
	v_cndmask_b32_e64 v10, 0, v11, s12
	v_sub_nc_u32_e32 v11, v12, v68
	v_cmp_ne_u32_e32 vcc_lo, 0, v17
	v_and_or_b32 v16, 0x3ffffe00, v50, v10
	v_lshl_add_u32 v18, v11, 5, v24
	s_and_b32 s12, vcc_lo, exec_lo
.LBB4_5283:                             ;   in Loop: Header=BB4_3089 Depth=1
	s_or_b32 exec_lo, exec_lo, s26
	s_and_saveexec_b32 s13, s12
	s_cbranch_execz .LBB4_6040
.LBB4_5284:                             ;   in Loop: Header=BB4_3089 Depth=1
	v_ashrrev_i32_e32 v10, 31, v18
	v_lshrrev_b32_e32 v11, 9, v17
	s_mov_b32 s26, exec_lo
	v_lshrrev_b32_e32 v10, 27, v10
	v_add_nc_u32_e32 v10, v18, v10
	v_ashrrev_i32_e32 v19, 5, v10
	v_sub_nc_u32_e32 v20, v11, v19
	v_cmpx_lt_i32_e32 0, v20
	s_cbranch_execz .LBB4_5992
; %bb.5285:                             ;   in Loop: Header=BB4_3089 Depth=1
	v_and_b32_e32 v10, 0xffffffe0, v10
	s_trap 2
	ds_read_b64 v[12:13], v0
	v_lshlrev_b32_e32 v11, 9, v19
	v_add_co_u32 v21, vcc_lo, 0x1e0, v66
	v_sub_nc_u32_e32 v10, v18, v10
	v_add_co_ci_u32_e64 v22, null, 0, v67, vcc_lo
	s_bitcmp1_b32 s25, 0
	s_mov_b32 s28, 0
	v_add3_u32 v14, v16, v10, v11
	s_cselect_b32 s27, -1, 0
	v_ashrrev_i32_e32 v15, 31, v14
	v_add_co_u32 v10, vcc_lo, v14, v64
	v_add_co_ci_u32_e64 v11, null, v15, v65, vcc_lo
	s_waitcnt lgkmcnt(0)
	v_add_co_u32 v12, vcc_lo, v12, v14
	v_add_co_ci_u32_e64 v13, null, v13, v15, vcc_lo
	v_add_co_u32 v14, vcc_lo, v21, v14
	v_add_co_ci_u32_e64 v15, null, v22, v15, vcc_lo
	s_branch .LBB4_5289
.LBB4_5286:                             ;   in Loop: Header=BB4_5289 Depth=2
	s_or_b32 exec_lo, exec_lo, s12
	v_lshrrev_b32_e32 v22, 21, v22
	v_cmp_gt_i32_e32 vcc_lo, 32, v21
	v_min_i32_e32 v66, 31, v21
	v_and_b32_sdwa v25, v25, v101 dst_sel:DWORD dst_unused:UNUSED_PAD src0_sel:BYTE_3 src1_sel:DWORD
	v_cndmask_b32_e32 v22, 3, v22, vcc_lo
	v_lshlrev_b32_e32 v66, 2, v66
	v_and_b32_e32 v69, 3, v22
	v_or_b32_e32 v21, v21, v22
	v_or3_b32 v22, v66, v25, v69
	v_cmp_ne_u32_e32 vcc_lo, 0, v21
	v_cndmask_b32_e32 v21, 0, v22, vcc_lo
.LBB4_5287:                             ;   in Loop: Header=BB4_5289 Depth=2
	s_or_b32 exec_lo, exec_lo, s40
.LBB4_5288:                             ;   in Loop: Header=BB4_5289 Depth=2
	s_or_b32 exec_lo, exec_lo, s29
	v_add_co_u32 v42, vcc_lo, 0xfffffe20, v14
	v_add_co_ci_u32_e64 v43, null, -1, v15, vcc_lo
	v_add_co_u32 v44, vcc_lo, 0xfffffe40, v14
	v_add_co_ci_u32_e64 v45, null, -1, v15, vcc_lo
	;; [unrolled: 2-line block ×5, first 2 shown]
	v_add_co_u32 v22, vcc_lo, 0xfffffec0, v14
	flat_store_byte v[42:43], v23 glc slc
	flat_store_byte v[44:45], v64 glc slc
	;; [unrolled: 1-line block ×5, first 2 shown]
	v_add_co_ci_u32_e64 v23, null, -1, v15, vcc_lo
	v_add_co_u32 v66, vcc_lo, 0xfffffee0, v14
	v_add_co_ci_u32_e64 v67, null, -1, v15, vcc_lo
	v_add_co_u32 v69, vcc_lo, 0xffffff00, v14
	;; [unrolled: 2-line block ×4, first 2 shown]
	v_add_co_ci_u32_e64 v43, null, -1, v15, vcc_lo
	flat_store_byte v[22:23], v115 glc slc
	flat_store_byte v[66:67], v118 glc slc
	;; [unrolled: 1-line block ×5, first 2 shown]
	v_add_co_u32 v22, vcc_lo, 0xffffff60, v14
	v_add_co_ci_u32_e64 v23, null, -1, v15, vcc_lo
	v_add_co_u32 v66, vcc_lo, 0xffffff80, v14
	v_add_co_ci_u32_e64 v67, null, -1, v15, vcc_lo
	;; [unrolled: 2-line block ×4, first 2 shown]
	v_add_co_u32 v114, vcc_lo, 0xffffffe0, v14
	v_sub_nc_u32_e32 v20, v20, v86
	v_add_co_ci_u32_e64 v115, null, -1, v15, vcc_lo
	v_add_co_u32 v10, vcc_lo, v10, v97
	v_add_co_ci_u32_e64 v11, null, 0, v11, vcc_lo
	v_add_co_u32 v12, vcc_lo, v12, v97
	flat_store_byte v[22:23], v113 glc slc
	flat_store_byte v[66:67], v71 glc slc
	;; [unrolled: 1-line block ×6, first 2 shown]
	v_add_co_ci_u32_e64 v13, null, 0, v13, vcc_lo
	v_cmp_gt_i32_e32 vcc_lo, 1, v20
	v_add_co_u32 v14, s12, v14, v97
	v_add_co_ci_u32_e64 v15, null, 0, v15, s12
	s_or_b32 s28, vcc_lo, s28
	s_andn2_b32 exec_lo, exec_lo, s28
	s_cbranch_execz .LBB4_5991
.LBB4_5289:                             ;   Parent Loop BB4_3089 Depth=1
                                        ; =>  This Inner Loop Header: Depth=2
	s_clause 0xf
	flat_load_ubyte v57, v[10:11] slc
	flat_load_ubyte v56, v[10:11] offset:32 slc
	flat_load_ubyte v47, v[10:11] offset:64 slc
	;; [unrolled: 1-line block ×15, first 2 shown]
	s_clause 0xf
	flat_load_ubyte v23, v[12:13] slc
	flat_load_ubyte v64, v[12:13] offset:32 slc
	flat_load_ubyte v67, v[12:13] offset:64 slc
	;; [unrolled: 1-line block ×15, first 2 shown]
	s_and_b32 vcc_lo, exec_lo, s27
	s_mov_b32 s12, -1
                                        ; implicit-def: $vgpr58
	s_waitcnt vmcnt(31) lgkmcnt(31)
	v_cmp_gt_i16_sdwa s29, v57, v100 src0_sel:BYTE_0 src1_sel:DWORD
	s_cbranch_vccz .LBB4_5303
; %bb.5290:                             ;   in Loop: Header=BB4_5289 Depth=2
	s_mov_b32 s12, 0
	s_and_saveexec_b32 s40, s29
	s_xor_b32 s29, exec_lo, s40
	s_cbranch_execz .LBB4_5863
; %bb.5291:                             ;   in Loop: Header=BB4_5289 Depth=2
	v_cmp_eq_u16_sdwa s41, v57, v101 src0_sel:BYTE_0 src1_sel:DWORD
	s_mov_b32 s12, -1
	s_and_saveexec_b32 s40, s41
; %bb.5292:                             ;   in Loop: Header=BB4_5289 Depth=2
	s_xor_b32 s12, exec_lo, -1
; %bb.5293:                             ;   in Loop: Header=BB4_5289 Depth=2
	s_or_b32 exec_lo, exec_lo, s40
	s_and_b32 s12, s12, exec_lo
	s_or_saveexec_b32 s29, s29
	v_mov_b32_e32 v58, 0x7f800001
	s_xor_b32 exec_lo, exec_lo, s29
	s_cbranch_execnz .LBB4_5864
.LBB4_5294:                             ;   in Loop: Header=BB4_5289 Depth=2
	s_or_b32 exec_lo, exec_lo, s29
	s_and_saveexec_b32 s29, s12
	s_cbranch_execz .LBB4_5296
.LBB4_5295:                             ;   in Loop: Header=BB4_5289 Depth=2
	v_and_b32_e32 v58, 3, v57
	v_lshrrev_b16 v60, 2, v57
	v_lshlrev_b32_e32 v62, 24, v57
	v_ffbh_u32_e32 v59, v58
	v_and_b32_e32 v60, 31, v60
	v_min_u32_e32 v59, 32, v59
	v_cmp_eq_u32_e32 vcc_lo, 0, v60
	v_subrev_nc_u32_e32 v61, 29, v59
	v_sub_nc_u32_e32 v59, 30, v59
	v_lshlrev_b32_e32 v61, v61, v57
	v_cndmask_b32_e32 v59, v60, v59, vcc_lo
	v_and_b32_e32 v60, 0x80000000, v62
	v_and_b32_e32 v61, 3, v61
	v_lshl_add_u32 v59, v59, 23, 0x37800000
	v_cndmask_b32_e32 v58, v58, v61, vcc_lo
	v_lshlrev_b32_e32 v58, 21, v58
	v_or3_b32 v58, v60, v59, v58
.LBB4_5296:                             ;   in Loop: Header=BB4_5289 Depth=2
	s_or_b32 exec_lo, exec_lo, s29
	s_waitcnt vmcnt(15) lgkmcnt(15)
	v_cmp_gt_i16_sdwa s29, v23, v100 src0_sel:BYTE_0 src1_sel:DWORD
	s_mov_b32 s12, 0
	s_and_saveexec_b32 s40, s29
	s_xor_b32 s29, exec_lo, s40
	s_cbranch_execz .LBB4_5865
; %bb.5297:                             ;   in Loop: Header=BB4_5289 Depth=2
	v_cmp_eq_u16_sdwa s41, v23, v101 src0_sel:BYTE_0 src1_sel:DWORD
	s_mov_b32 s12, -1
	s_and_saveexec_b32 s40, s41
; %bb.5298:                             ;   in Loop: Header=BB4_5289 Depth=2
	s_xor_b32 s12, exec_lo, -1
; %bb.5299:                             ;   in Loop: Header=BB4_5289 Depth=2
	s_or_b32 exec_lo, exec_lo, s40
	s_and_b32 s12, s12, exec_lo
	s_or_saveexec_b32 s29, s29
	v_mov_b32_e32 v59, 0x7f800001
	s_xor_b32 exec_lo, exec_lo, s29
	s_cbranch_execnz .LBB4_5866
.LBB4_5300:                             ;   in Loop: Header=BB4_5289 Depth=2
	s_or_b32 exec_lo, exec_lo, s29
	s_and_saveexec_b32 s29, s12
	s_cbranch_execz .LBB4_5302
.LBB4_5301:                             ;   in Loop: Header=BB4_5289 Depth=2
	v_and_b32_e32 v59, 3, v23
	v_lshrrev_b16 v61, 2, v23
	v_lshlrev_b32_e32 v63, 24, v23
	v_ffbh_u32_e32 v60, v59
	v_and_b32_e32 v61, 31, v61
	v_min_u32_e32 v60, 32, v60
	v_cmp_eq_u32_e32 vcc_lo, 0, v61
	v_subrev_nc_u32_e32 v62, 29, v60
	v_sub_nc_u32_e32 v60, 30, v60
	v_lshlrev_b32_e32 v62, v62, v23
	v_cndmask_b32_e32 v60, v61, v60, vcc_lo
	v_and_b32_e32 v61, 0x80000000, v63
	v_and_b32_e32 v62, 3, v62
	v_lshl_add_u32 v60, v60, 23, 0x37800000
	v_cndmask_b32_e32 v59, v59, v62, vcc_lo
	v_lshlrev_b32_e32 v59, 21, v59
	v_or3_b32 v59, v61, v60, v59
.LBB4_5302:                             ;   in Loop: Header=BB4_5289 Depth=2
	s_or_b32 exec_lo, exec_lo, s29
	v_max_f32_e32 v59, v59, v59
	v_max_f32_e32 v58, v58, v58
	s_mov_b32 s12, 0
	v_max_f32_e32 v58, v58, v59
.LBB4_5303:                             ;   in Loop: Header=BB4_5289 Depth=2
	s_and_b32 vcc_lo, exec_lo, s12
	s_cbranch_vccz .LBB4_5317
; %bb.5304:                             ;   in Loop: Header=BB4_5289 Depth=2
	v_cmp_gt_i16_sdwa s29, v57, v100 src0_sel:BYTE_0 src1_sel:DWORD
	s_mov_b32 s12, 0
	s_and_saveexec_b32 s40, s29
	s_xor_b32 s29, exec_lo, s40
	s_cbranch_execz .LBB4_5867
; %bb.5305:                             ;   in Loop: Header=BB4_5289 Depth=2
	v_cmp_eq_u16_sdwa s41, v57, v101 src0_sel:BYTE_0 src1_sel:DWORD
	s_mov_b32 s12, -1
	s_and_saveexec_b32 s40, s41
; %bb.5306:                             ;   in Loop: Header=BB4_5289 Depth=2
	s_xor_b32 s12, exec_lo, -1
; %bb.5307:                             ;   in Loop: Header=BB4_5289 Depth=2
	s_or_b32 exec_lo, exec_lo, s40
	s_and_b32 s12, s12, exec_lo
	s_or_saveexec_b32 s29, s29
	v_mov_b32_e32 v58, 0x7f800001
	s_xor_b32 exec_lo, exec_lo, s29
	s_cbranch_execnz .LBB4_5868
.LBB4_5308:                             ;   in Loop: Header=BB4_5289 Depth=2
	s_or_b32 exec_lo, exec_lo, s29
	s_and_saveexec_b32 s29, s12
	s_cbranch_execz .LBB4_5310
.LBB4_5309:                             ;   in Loop: Header=BB4_5289 Depth=2
	v_and_b32_e32 v58, 3, v57
	v_lshrrev_b16 v60, 2, v57
	v_ffbh_u32_e32 v59, v58
	v_and_b32_e32 v60, 31, v60
	v_min_u32_e32 v59, 32, v59
	v_cmp_eq_u32_e32 vcc_lo, 0, v60
	v_subrev_nc_u32_e32 v61, 29, v59
	v_sub_nc_u32_e32 v59, 30, v59
	v_lshlrev_b32_e32 v61, v61, v57
	v_lshlrev_b32_e32 v57, 24, v57
	v_cndmask_b32_e32 v59, v60, v59, vcc_lo
	v_and_b32_e32 v61, 3, v61
	v_and_b32_e32 v57, 0x80000000, v57
	v_lshl_add_u32 v59, v59, 23, 0x37800000
	v_cndmask_b32_e32 v58, v58, v61, vcc_lo
	v_lshlrev_b32_e32 v58, 21, v58
	v_or3_b32 v58, v57, v59, v58
.LBB4_5310:                             ;   in Loop: Header=BB4_5289 Depth=2
	s_or_b32 exec_lo, exec_lo, s29
	s_waitcnt vmcnt(15) lgkmcnt(15)
	v_cmp_gt_i16_sdwa s29, v23, v100 src0_sel:BYTE_0 src1_sel:DWORD
	s_mov_b32 s12, 0
	s_and_saveexec_b32 s40, s29
	s_xor_b32 s29, exec_lo, s40
	s_cbranch_execz .LBB4_5869
; %bb.5311:                             ;   in Loop: Header=BB4_5289 Depth=2
	v_cmp_eq_u16_sdwa s41, v23, v101 src0_sel:BYTE_0 src1_sel:DWORD
	s_mov_b32 s12, -1
	s_and_saveexec_b32 s40, s41
; %bb.5312:                             ;   in Loop: Header=BB4_5289 Depth=2
	s_xor_b32 s12, exec_lo, -1
; %bb.5313:                             ;   in Loop: Header=BB4_5289 Depth=2
	s_or_b32 exec_lo, exec_lo, s40
	s_and_b32 s12, s12, exec_lo
	s_or_saveexec_b32 s29, s29
	v_mov_b32_e32 v57, 0x7f800001
	s_xor_b32 exec_lo, exec_lo, s29
	s_cbranch_execnz .LBB4_5870
.LBB4_5314:                             ;   in Loop: Header=BB4_5289 Depth=2
	s_or_b32 exec_lo, exec_lo, s29
	s_and_saveexec_b32 s29, s12
	s_cbranch_execz .LBB4_5316
.LBB4_5315:                             ;   in Loop: Header=BB4_5289 Depth=2
	v_and_b32_e32 v57, 3, v23
	v_lshrrev_b16 v60, 2, v23
	v_ffbh_u32_e32 v59, v57
	v_and_b32_e32 v60, 31, v60
	v_min_u32_e32 v59, 32, v59
	v_cmp_eq_u32_e32 vcc_lo, 0, v60
	v_subrev_nc_u32_e32 v61, 29, v59
	v_sub_nc_u32_e32 v59, 30, v59
	v_lshlrev_b32_e32 v61, v61, v23
	v_lshlrev_b32_e32 v23, 24, v23
	v_cndmask_b32_e32 v59, v60, v59, vcc_lo
	v_and_b32_e32 v61, 3, v61
	v_and_b32_e32 v23, 0x80000000, v23
	v_lshl_add_u32 v59, v59, 23, 0x37800000
	v_cndmask_b32_e32 v57, v57, v61, vcc_lo
	v_lshlrev_b32_e32 v57, 21, v57
	v_or3_b32 v57, v23, v59, v57
.LBB4_5316:                             ;   in Loop: Header=BB4_5289 Depth=2
	s_or_b32 exec_lo, exec_lo, s29
	v_max_f32_e32 v23, v57, v57
	v_max_f32_e32 v57, v58, v58
	v_min_f32_e32 v58, v57, v23
.LBB4_5317:                             ;   in Loop: Header=BB4_5289 Depth=2
	s_waitcnt vmcnt(15) lgkmcnt(15)
	v_and_b32_e32 v23, 0x7f800000, v58
	v_cmp_ne_u32_e32 vcc_lo, 0x7f800000, v23
	v_mov_b32_e32 v23, 0x80
	s_and_saveexec_b32 s29, vcc_lo
	s_cbranch_execz .LBB4_5325
; %bb.5318:                             ;   in Loop: Header=BB4_5289 Depth=2
	v_mov_b32_e32 v23, 0
	s_mov_b32 s40, exec_lo
	v_cmpx_ne_u32_e32 0, v58
	s_cbranch_execz .LBB4_5324
; %bb.5319:                             ;   in Loop: Header=BB4_5289 Depth=2
	v_bfe_u32 v23, v58, 23, 8
	v_and_b32_e32 v57, 0x7fffff, v58
	v_sub_nc_u32_e32 v59, 0x70, v23
	v_cmp_gt_u32_e32 vcc_lo, 0x71, v23
	v_or_b32_e32 v60, 0x800000, v57
	v_cndmask_b32_e32 v59, 0, v59, vcc_lo
	v_cmp_eq_u32_e32 vcc_lo, 0, v23
	v_add_nc_u32_e32 v23, 0xffffff91, v23
	v_cndmask_b32_e64 v59, v59, 0x6f, vcc_lo
	v_cndmask_b32_e32 v57, v60, v57, vcc_lo
	v_cndmask_b32_e64 v23, v23, 0xffffff92, vcc_lo
	v_lshl_add_u32 v60, 0x200000, v59, -1
	v_lshrrev_b32_e32 v61, v59, v57
	v_lshlrev_b32_e64 v63, v59, 0x100000
	v_add_nc_u32_e32 v59, v59, v23
	v_and_b32_e32 v57, v60, v57
	v_bfe_u32 v62, v61, 21, 1
	v_cmp_eq_u32_e64 s12, v57, v63
	v_add_nc_u32_e32 v60, -1, v62
	v_cndmask_b32_e64 v57, 0, v60, s12
	v_lshrrev_b32_e32 v60, 23, v61
	s_mov_b32 s12, exec_lo
	v_add_nc_u32_e32 v57, v57, v61
	v_xor_b32_e32 v60, 1, v60
	v_and_b32_e32 v23, 0x1fffff, v57
	v_add_nc_u32_e32 v57, v23, v61
                                        ; implicit-def: $vgpr23
	v_cmpx_ne_u32_e64 v59, v60
	s_xor_b32 s12, exec_lo, s12
; %bb.5320:                             ;   in Loop: Header=BB4_5289 Depth=2
	v_cmp_lt_u32_e32 vcc_lo, 0xffffff, v57
	v_sub_nc_u32_e32 v23, v59, v60
	v_cndmask_b32_e64 v59, 0, 1, vcc_lo
	v_add_co_ci_u32_e64 v23, null, 0, v23, vcc_lo
	v_lshrrev_b32_e32 v57, v59, v57
; %bb.5321:                             ;   in Loop: Header=BB4_5289 Depth=2
	s_andn2_saveexec_b32 s12, s12
; %bb.5322:                             ;   in Loop: Header=BB4_5289 Depth=2
	v_bfe_u32 v23, v57, 23, 1
; %bb.5323:                             ;   in Loop: Header=BB4_5289 Depth=2
	s_or_b32 exec_lo, exec_lo, s12
	v_lshrrev_b32_e32 v57, 21, v57
	v_cmp_gt_i32_e32 vcc_lo, 32, v23
	v_min_i32_e32 v59, 31, v23
	v_and_b32_sdwa v58, v58, v101 dst_sel:DWORD dst_unused:UNUSED_PAD src0_sel:BYTE_3 src1_sel:DWORD
	v_cndmask_b32_e32 v57, 3, v57, vcc_lo
	v_lshlrev_b32_e32 v59, 2, v59
	v_and_b32_e32 v60, 3, v57
	v_or_b32_e32 v23, v23, v57
	v_or3_b32 v57, v59, v58, v60
	v_cmp_ne_u32_e32 vcc_lo, 0, v23
	v_cndmask_b32_e32 v23, 0, v57, vcc_lo
.LBB4_5324:                             ;   in Loop: Header=BB4_5289 Depth=2
	s_or_b32 exec_lo, exec_lo, s40
.LBB4_5325:                             ;   in Loop: Header=BB4_5289 Depth=2
	s_or_b32 exec_lo, exec_lo, s29
	v_cmp_gt_i16_sdwa s29, v56, v100 src0_sel:BYTE_0 src1_sel:DWORD
	s_andn2_b32 vcc_lo, exec_lo, s27
	s_mov_b32 s12, -1
                                        ; implicit-def: $vgpr57
	s_cbranch_vccnz .LBB4_5339
; %bb.5326:                             ;   in Loop: Header=BB4_5289 Depth=2
	s_mov_b32 s12, 0
	s_and_saveexec_b32 s40, s29
	s_xor_b32 s29, exec_lo, s40
	s_cbranch_execz .LBB4_5871
; %bb.5327:                             ;   in Loop: Header=BB4_5289 Depth=2
	v_cmp_eq_u16_sdwa s41, v56, v101 src0_sel:BYTE_0 src1_sel:DWORD
	s_mov_b32 s12, -1
	s_and_saveexec_b32 s40, s41
; %bb.5328:                             ;   in Loop: Header=BB4_5289 Depth=2
	s_xor_b32 s12, exec_lo, -1
; %bb.5329:                             ;   in Loop: Header=BB4_5289 Depth=2
	s_or_b32 exec_lo, exec_lo, s40
	s_and_b32 s12, s12, exec_lo
	s_or_saveexec_b32 s29, s29
	v_mov_b32_e32 v57, 0x7f800001
	s_xor_b32 exec_lo, exec_lo, s29
	s_cbranch_execnz .LBB4_5872
.LBB4_5330:                             ;   in Loop: Header=BB4_5289 Depth=2
	s_or_b32 exec_lo, exec_lo, s29
	s_and_saveexec_b32 s29, s12
	s_cbranch_execz .LBB4_5332
.LBB4_5331:                             ;   in Loop: Header=BB4_5289 Depth=2
	v_and_b32_e32 v57, 3, v56
	v_lshrrev_b16 v59, 2, v56
	v_lshlrev_b32_e32 v61, 24, v56
	v_ffbh_u32_e32 v58, v57
	v_and_b32_e32 v59, 31, v59
	v_min_u32_e32 v58, 32, v58
	v_cmp_eq_u32_e32 vcc_lo, 0, v59
	v_subrev_nc_u32_e32 v60, 29, v58
	v_sub_nc_u32_e32 v58, 30, v58
	v_lshlrev_b32_e32 v60, v60, v56
	v_cndmask_b32_e32 v58, v59, v58, vcc_lo
	v_and_b32_e32 v59, 0x80000000, v61
	v_and_b32_e32 v60, 3, v60
	v_lshl_add_u32 v58, v58, 23, 0x37800000
	v_cndmask_b32_e32 v57, v57, v60, vcc_lo
	v_lshlrev_b32_e32 v57, 21, v57
	v_or3_b32 v57, v59, v58, v57
.LBB4_5332:                             ;   in Loop: Header=BB4_5289 Depth=2
	s_or_b32 exec_lo, exec_lo, s29
	s_waitcnt vmcnt(14) lgkmcnt(14)
	v_cmp_gt_i16_sdwa s29, v64, v100 src0_sel:BYTE_0 src1_sel:DWORD
	s_mov_b32 s12, 0
	s_and_saveexec_b32 s40, s29
	s_xor_b32 s29, exec_lo, s40
	s_cbranch_execz .LBB4_5873
; %bb.5333:                             ;   in Loop: Header=BB4_5289 Depth=2
	v_cmp_eq_u16_sdwa s41, v64, v101 src0_sel:BYTE_0 src1_sel:DWORD
	s_mov_b32 s12, -1
	s_and_saveexec_b32 s40, s41
; %bb.5334:                             ;   in Loop: Header=BB4_5289 Depth=2
	s_xor_b32 s12, exec_lo, -1
; %bb.5335:                             ;   in Loop: Header=BB4_5289 Depth=2
	s_or_b32 exec_lo, exec_lo, s40
	s_and_b32 s12, s12, exec_lo
	s_or_saveexec_b32 s29, s29
	v_mov_b32_e32 v58, 0x7f800001
	s_xor_b32 exec_lo, exec_lo, s29
	s_cbranch_execnz .LBB4_5874
.LBB4_5336:                             ;   in Loop: Header=BB4_5289 Depth=2
	s_or_b32 exec_lo, exec_lo, s29
	s_and_saveexec_b32 s29, s12
	s_cbranch_execz .LBB4_5338
.LBB4_5337:                             ;   in Loop: Header=BB4_5289 Depth=2
	v_and_b32_e32 v58, 3, v64
	v_lshrrev_b16 v60, 2, v64
	v_lshlrev_b32_e32 v62, 24, v64
	v_ffbh_u32_e32 v59, v58
	v_and_b32_e32 v60, 31, v60
	v_min_u32_e32 v59, 32, v59
	v_cmp_eq_u32_e32 vcc_lo, 0, v60
	v_subrev_nc_u32_e32 v61, 29, v59
	v_sub_nc_u32_e32 v59, 30, v59
	v_lshlrev_b32_e32 v61, v61, v64
	v_cndmask_b32_e32 v59, v60, v59, vcc_lo
	v_and_b32_e32 v60, 0x80000000, v62
	v_and_b32_e32 v61, 3, v61
	v_lshl_add_u32 v59, v59, 23, 0x37800000
	v_cndmask_b32_e32 v58, v58, v61, vcc_lo
	v_lshlrev_b32_e32 v58, 21, v58
	v_or3_b32 v58, v60, v59, v58
.LBB4_5338:                             ;   in Loop: Header=BB4_5289 Depth=2
	s_or_b32 exec_lo, exec_lo, s29
	v_max_f32_e32 v58, v58, v58
	v_max_f32_e32 v57, v57, v57
	s_mov_b32 s12, 0
	v_max_f32_e32 v57, v57, v58
.LBB4_5339:                             ;   in Loop: Header=BB4_5289 Depth=2
	s_and_b32 vcc_lo, exec_lo, s12
	s_cbranch_vccz .LBB4_5353
; %bb.5340:                             ;   in Loop: Header=BB4_5289 Depth=2
	v_cmp_gt_i16_sdwa s29, v56, v100 src0_sel:BYTE_0 src1_sel:DWORD
	s_mov_b32 s12, 0
	s_and_saveexec_b32 s40, s29
	s_xor_b32 s29, exec_lo, s40
	s_cbranch_execz .LBB4_5875
; %bb.5341:                             ;   in Loop: Header=BB4_5289 Depth=2
	v_cmp_eq_u16_sdwa s41, v56, v101 src0_sel:BYTE_0 src1_sel:DWORD
	s_mov_b32 s12, -1
	s_and_saveexec_b32 s40, s41
; %bb.5342:                             ;   in Loop: Header=BB4_5289 Depth=2
	s_xor_b32 s12, exec_lo, -1
; %bb.5343:                             ;   in Loop: Header=BB4_5289 Depth=2
	s_or_b32 exec_lo, exec_lo, s40
	s_and_b32 s12, s12, exec_lo
	s_or_saveexec_b32 s29, s29
	v_mov_b32_e32 v57, 0x7f800001
	s_xor_b32 exec_lo, exec_lo, s29
	s_cbranch_execnz .LBB4_5876
.LBB4_5344:                             ;   in Loop: Header=BB4_5289 Depth=2
	s_or_b32 exec_lo, exec_lo, s29
	s_and_saveexec_b32 s29, s12
	s_cbranch_execz .LBB4_5346
.LBB4_5345:                             ;   in Loop: Header=BB4_5289 Depth=2
	v_and_b32_e32 v57, 3, v56
	v_lshrrev_b16 v59, 2, v56
	v_ffbh_u32_e32 v58, v57
	v_and_b32_e32 v59, 31, v59
	v_min_u32_e32 v58, 32, v58
	v_cmp_eq_u32_e32 vcc_lo, 0, v59
	v_subrev_nc_u32_e32 v60, 29, v58
	v_sub_nc_u32_e32 v58, 30, v58
	v_lshlrev_b32_e32 v60, v60, v56
	v_lshlrev_b32_e32 v56, 24, v56
	v_cndmask_b32_e32 v58, v59, v58, vcc_lo
	v_and_b32_e32 v60, 3, v60
	v_and_b32_e32 v56, 0x80000000, v56
	v_lshl_add_u32 v58, v58, 23, 0x37800000
	v_cndmask_b32_e32 v57, v57, v60, vcc_lo
	v_lshlrev_b32_e32 v57, 21, v57
	v_or3_b32 v57, v56, v58, v57
.LBB4_5346:                             ;   in Loop: Header=BB4_5289 Depth=2
	s_or_b32 exec_lo, exec_lo, s29
	s_waitcnt vmcnt(14) lgkmcnt(14)
	v_cmp_gt_i16_sdwa s29, v64, v100 src0_sel:BYTE_0 src1_sel:DWORD
	s_mov_b32 s12, 0
	s_and_saveexec_b32 s40, s29
	s_xor_b32 s29, exec_lo, s40
	s_cbranch_execz .LBB4_5877
; %bb.5347:                             ;   in Loop: Header=BB4_5289 Depth=2
	v_cmp_eq_u16_sdwa s41, v64, v101 src0_sel:BYTE_0 src1_sel:DWORD
	s_mov_b32 s12, -1
	s_and_saveexec_b32 s40, s41
; %bb.5348:                             ;   in Loop: Header=BB4_5289 Depth=2
	s_xor_b32 s12, exec_lo, -1
; %bb.5349:                             ;   in Loop: Header=BB4_5289 Depth=2
	s_or_b32 exec_lo, exec_lo, s40
	s_and_b32 s12, s12, exec_lo
	s_or_saveexec_b32 s29, s29
	v_mov_b32_e32 v56, 0x7f800001
	s_xor_b32 exec_lo, exec_lo, s29
	s_cbranch_execnz .LBB4_5878
.LBB4_5350:                             ;   in Loop: Header=BB4_5289 Depth=2
	s_or_b32 exec_lo, exec_lo, s29
	s_and_saveexec_b32 s29, s12
	s_cbranch_execz .LBB4_5352
.LBB4_5351:                             ;   in Loop: Header=BB4_5289 Depth=2
	v_and_b32_e32 v56, 3, v64
	v_lshrrev_b16 v59, 2, v64
	v_ffbh_u32_e32 v58, v56
	v_and_b32_e32 v59, 31, v59
	v_min_u32_e32 v58, 32, v58
	v_cmp_eq_u32_e32 vcc_lo, 0, v59
	v_subrev_nc_u32_e32 v60, 29, v58
	v_sub_nc_u32_e32 v58, 30, v58
	v_lshlrev_b32_e32 v60, v60, v64
	v_lshlrev_b32_e32 v64, 24, v64
	v_cndmask_b32_e32 v58, v59, v58, vcc_lo
	v_and_b32_e32 v60, 3, v60
	v_and_b32_e32 v64, 0x80000000, v64
	v_lshl_add_u32 v58, v58, 23, 0x37800000
	v_cndmask_b32_e32 v56, v56, v60, vcc_lo
	v_lshlrev_b32_e32 v56, 21, v56
	v_or3_b32 v56, v64, v58, v56
.LBB4_5352:                             ;   in Loop: Header=BB4_5289 Depth=2
	s_or_b32 exec_lo, exec_lo, s29
	v_max_f32_e32 v64, v56, v56
	v_max_f32_e32 v56, v57, v57
	v_min_f32_e32 v57, v56, v64
.LBB4_5353:                             ;   in Loop: Header=BB4_5289 Depth=2
	s_waitcnt vmcnt(14) lgkmcnt(14)
	v_and_b32_e32 v64, 0x7f800000, v57
	v_cmp_ne_u32_e32 vcc_lo, 0x7f800000, v64
	v_mov_b32_e32 v64, 0x80
	s_and_saveexec_b32 s29, vcc_lo
	s_cbranch_execz .LBB4_5361
; %bb.5354:                             ;   in Loop: Header=BB4_5289 Depth=2
	v_mov_b32_e32 v64, 0
	s_mov_b32 s40, exec_lo
	v_cmpx_ne_u32_e32 0, v57
	s_cbranch_execz .LBB4_5360
; %bb.5355:                             ;   in Loop: Header=BB4_5289 Depth=2
	v_bfe_u32 v64, v57, 23, 8
	v_and_b32_e32 v56, 0x7fffff, v57
	v_sub_nc_u32_e32 v58, 0x70, v64
	v_cmp_gt_u32_e32 vcc_lo, 0x71, v64
	v_or_b32_e32 v59, 0x800000, v56
	v_cndmask_b32_e32 v58, 0, v58, vcc_lo
	v_cmp_eq_u32_e32 vcc_lo, 0, v64
	v_add_nc_u32_e32 v64, 0xffffff91, v64
	v_cndmask_b32_e64 v58, v58, 0x6f, vcc_lo
	v_cndmask_b32_e32 v56, v59, v56, vcc_lo
	v_cndmask_b32_e64 v64, v64, 0xffffff92, vcc_lo
	v_lshl_add_u32 v59, 0x200000, v58, -1
	v_lshrrev_b32_e32 v60, v58, v56
	v_lshlrev_b32_e64 v62, v58, 0x100000
	v_add_nc_u32_e32 v58, v58, v64
	v_and_b32_e32 v56, v59, v56
	v_bfe_u32 v61, v60, 21, 1
	v_cmp_eq_u32_e64 s12, v56, v62
	v_add_nc_u32_e32 v59, -1, v61
	v_cndmask_b32_e64 v56, 0, v59, s12
	v_lshrrev_b32_e32 v59, 23, v60
	s_mov_b32 s12, exec_lo
	v_add_nc_u32_e32 v56, v56, v60
	v_xor_b32_e32 v59, 1, v59
	v_and_b32_e32 v64, 0x1fffff, v56
	v_add_nc_u32_e32 v56, v64, v60
                                        ; implicit-def: $vgpr64
	v_cmpx_ne_u32_e64 v58, v59
	s_xor_b32 s12, exec_lo, s12
; %bb.5356:                             ;   in Loop: Header=BB4_5289 Depth=2
	v_cmp_lt_u32_e32 vcc_lo, 0xffffff, v56
	v_sub_nc_u32_e32 v64, v58, v59
	v_cndmask_b32_e64 v58, 0, 1, vcc_lo
	v_add_co_ci_u32_e64 v64, null, 0, v64, vcc_lo
	v_lshrrev_b32_e32 v56, v58, v56
; %bb.5357:                             ;   in Loop: Header=BB4_5289 Depth=2
	s_andn2_saveexec_b32 s12, s12
; %bb.5358:                             ;   in Loop: Header=BB4_5289 Depth=2
	v_bfe_u32 v64, v56, 23, 1
; %bb.5359:                             ;   in Loop: Header=BB4_5289 Depth=2
	s_or_b32 exec_lo, exec_lo, s12
	v_lshrrev_b32_e32 v56, 21, v56
	v_cmp_gt_i32_e32 vcc_lo, 32, v64
	v_min_i32_e32 v58, 31, v64
	v_and_b32_sdwa v57, v57, v101 dst_sel:DWORD dst_unused:UNUSED_PAD src0_sel:BYTE_3 src1_sel:DWORD
	v_cndmask_b32_e32 v56, 3, v56, vcc_lo
	v_lshlrev_b32_e32 v58, 2, v58
	v_and_b32_e32 v59, 3, v56
	v_or_b32_e32 v64, v64, v56
	v_or3_b32 v56, v58, v57, v59
	v_cmp_ne_u32_e32 vcc_lo, 0, v64
	v_cndmask_b32_e32 v64, 0, v56, vcc_lo
.LBB4_5360:                             ;   in Loop: Header=BB4_5289 Depth=2
	s_or_b32 exec_lo, exec_lo, s40
.LBB4_5361:                             ;   in Loop: Header=BB4_5289 Depth=2
	s_or_b32 exec_lo, exec_lo, s29
	v_cmp_gt_i16_sdwa s29, v47, v100 src0_sel:BYTE_0 src1_sel:DWORD
	s_andn2_b32 vcc_lo, exec_lo, s27
	s_mov_b32 s12, -1
                                        ; implicit-def: $vgpr56
	s_cbranch_vccnz .LBB4_5375
; %bb.5362:                             ;   in Loop: Header=BB4_5289 Depth=2
	s_mov_b32 s12, 0
	s_and_saveexec_b32 s40, s29
	s_xor_b32 s29, exec_lo, s40
	s_cbranch_execz .LBB4_5879
; %bb.5363:                             ;   in Loop: Header=BB4_5289 Depth=2
	v_cmp_eq_u16_sdwa s41, v47, v101 src0_sel:BYTE_0 src1_sel:DWORD
	s_mov_b32 s12, -1
	s_and_saveexec_b32 s40, s41
; %bb.5364:                             ;   in Loop: Header=BB4_5289 Depth=2
	s_xor_b32 s12, exec_lo, -1
; %bb.5365:                             ;   in Loop: Header=BB4_5289 Depth=2
	s_or_b32 exec_lo, exec_lo, s40
	s_and_b32 s12, s12, exec_lo
	s_or_saveexec_b32 s29, s29
	v_mov_b32_e32 v56, 0x7f800001
	s_xor_b32 exec_lo, exec_lo, s29
	s_cbranch_execnz .LBB4_5880
.LBB4_5366:                             ;   in Loop: Header=BB4_5289 Depth=2
	s_or_b32 exec_lo, exec_lo, s29
	s_and_saveexec_b32 s29, s12
	s_cbranch_execz .LBB4_5368
.LBB4_5367:                             ;   in Loop: Header=BB4_5289 Depth=2
	v_and_b32_e32 v56, 3, v47
	v_lshrrev_b16 v58, 2, v47
	v_lshlrev_b32_e32 v60, 24, v47
	v_ffbh_u32_e32 v57, v56
	v_and_b32_e32 v58, 31, v58
	v_min_u32_e32 v57, 32, v57
	v_cmp_eq_u32_e32 vcc_lo, 0, v58
	v_subrev_nc_u32_e32 v59, 29, v57
	v_sub_nc_u32_e32 v57, 30, v57
	v_lshlrev_b32_e32 v59, v59, v47
	v_cndmask_b32_e32 v57, v58, v57, vcc_lo
	v_and_b32_e32 v58, 0x80000000, v60
	v_and_b32_e32 v59, 3, v59
	v_lshl_add_u32 v57, v57, 23, 0x37800000
	v_cndmask_b32_e32 v56, v56, v59, vcc_lo
	v_lshlrev_b32_e32 v56, 21, v56
	v_or3_b32 v56, v58, v57, v56
.LBB4_5368:                             ;   in Loop: Header=BB4_5289 Depth=2
	s_or_b32 exec_lo, exec_lo, s29
	s_waitcnt vmcnt(13) lgkmcnt(13)
	v_cmp_gt_i16_sdwa s29, v67, v100 src0_sel:BYTE_0 src1_sel:DWORD
	s_mov_b32 s12, 0
	s_and_saveexec_b32 s40, s29
	s_xor_b32 s29, exec_lo, s40
	s_cbranch_execz .LBB4_5881
; %bb.5369:                             ;   in Loop: Header=BB4_5289 Depth=2
	v_cmp_eq_u16_sdwa s41, v67, v101 src0_sel:BYTE_0 src1_sel:DWORD
	s_mov_b32 s12, -1
	s_and_saveexec_b32 s40, s41
; %bb.5370:                             ;   in Loop: Header=BB4_5289 Depth=2
	s_xor_b32 s12, exec_lo, -1
; %bb.5371:                             ;   in Loop: Header=BB4_5289 Depth=2
	s_or_b32 exec_lo, exec_lo, s40
	s_and_b32 s12, s12, exec_lo
	s_or_saveexec_b32 s29, s29
	v_mov_b32_e32 v57, 0x7f800001
	s_xor_b32 exec_lo, exec_lo, s29
	s_cbranch_execnz .LBB4_5882
.LBB4_5372:                             ;   in Loop: Header=BB4_5289 Depth=2
	s_or_b32 exec_lo, exec_lo, s29
	s_and_saveexec_b32 s29, s12
	s_cbranch_execz .LBB4_5374
.LBB4_5373:                             ;   in Loop: Header=BB4_5289 Depth=2
	v_and_b32_e32 v57, 3, v67
	v_lshrrev_b16 v59, 2, v67
	v_lshlrev_b32_e32 v61, 24, v67
	v_ffbh_u32_e32 v58, v57
	v_and_b32_e32 v59, 31, v59
	v_min_u32_e32 v58, 32, v58
	v_cmp_eq_u32_e32 vcc_lo, 0, v59
	v_subrev_nc_u32_e32 v60, 29, v58
	v_sub_nc_u32_e32 v58, 30, v58
	v_lshlrev_b32_e32 v60, v60, v67
	v_cndmask_b32_e32 v58, v59, v58, vcc_lo
	v_and_b32_e32 v59, 0x80000000, v61
	v_and_b32_e32 v60, 3, v60
	v_lshl_add_u32 v58, v58, 23, 0x37800000
	v_cndmask_b32_e32 v57, v57, v60, vcc_lo
	v_lshlrev_b32_e32 v57, 21, v57
	v_or3_b32 v57, v59, v58, v57
.LBB4_5374:                             ;   in Loop: Header=BB4_5289 Depth=2
	s_or_b32 exec_lo, exec_lo, s29
	v_max_f32_e32 v57, v57, v57
	v_max_f32_e32 v56, v56, v56
	s_mov_b32 s12, 0
	v_max_f32_e32 v56, v56, v57
.LBB4_5375:                             ;   in Loop: Header=BB4_5289 Depth=2
	s_and_b32 vcc_lo, exec_lo, s12
	s_cbranch_vccz .LBB4_5389
; %bb.5376:                             ;   in Loop: Header=BB4_5289 Depth=2
	v_cmp_gt_i16_sdwa s29, v47, v100 src0_sel:BYTE_0 src1_sel:DWORD
	s_mov_b32 s12, 0
	s_and_saveexec_b32 s40, s29
	s_xor_b32 s29, exec_lo, s40
	s_cbranch_execz .LBB4_5883
; %bb.5377:                             ;   in Loop: Header=BB4_5289 Depth=2
	v_cmp_eq_u16_sdwa s41, v47, v101 src0_sel:BYTE_0 src1_sel:DWORD
	s_mov_b32 s12, -1
	s_and_saveexec_b32 s40, s41
; %bb.5378:                             ;   in Loop: Header=BB4_5289 Depth=2
	s_xor_b32 s12, exec_lo, -1
; %bb.5379:                             ;   in Loop: Header=BB4_5289 Depth=2
	s_or_b32 exec_lo, exec_lo, s40
	s_and_b32 s12, s12, exec_lo
	s_or_saveexec_b32 s29, s29
	v_mov_b32_e32 v56, 0x7f800001
	s_xor_b32 exec_lo, exec_lo, s29
	s_cbranch_execnz .LBB4_5884
.LBB4_5380:                             ;   in Loop: Header=BB4_5289 Depth=2
	s_or_b32 exec_lo, exec_lo, s29
	s_and_saveexec_b32 s29, s12
	s_cbranch_execz .LBB4_5382
.LBB4_5381:                             ;   in Loop: Header=BB4_5289 Depth=2
	v_and_b32_e32 v56, 3, v47
	v_lshrrev_b16 v58, 2, v47
	v_ffbh_u32_e32 v57, v56
	v_and_b32_e32 v58, 31, v58
	v_min_u32_e32 v57, 32, v57
	v_cmp_eq_u32_e32 vcc_lo, 0, v58
	v_subrev_nc_u32_e32 v59, 29, v57
	v_sub_nc_u32_e32 v57, 30, v57
	v_lshlrev_b32_e32 v59, v59, v47
	v_lshlrev_b32_e32 v47, 24, v47
	v_cndmask_b32_e32 v57, v58, v57, vcc_lo
	v_and_b32_e32 v59, 3, v59
	v_and_b32_e32 v47, 0x80000000, v47
	v_lshl_add_u32 v57, v57, 23, 0x37800000
	v_cndmask_b32_e32 v56, v56, v59, vcc_lo
	v_lshlrev_b32_e32 v56, 21, v56
	v_or3_b32 v56, v47, v57, v56
.LBB4_5382:                             ;   in Loop: Header=BB4_5289 Depth=2
	s_or_b32 exec_lo, exec_lo, s29
	s_waitcnt vmcnt(13) lgkmcnt(13)
	v_cmp_gt_i16_sdwa s29, v67, v100 src0_sel:BYTE_0 src1_sel:DWORD
	s_mov_b32 s12, 0
	s_and_saveexec_b32 s40, s29
	s_xor_b32 s29, exec_lo, s40
	s_cbranch_execz .LBB4_5885
; %bb.5383:                             ;   in Loop: Header=BB4_5289 Depth=2
	v_cmp_eq_u16_sdwa s41, v67, v101 src0_sel:BYTE_0 src1_sel:DWORD
	s_mov_b32 s12, -1
	s_and_saveexec_b32 s40, s41
; %bb.5384:                             ;   in Loop: Header=BB4_5289 Depth=2
	s_xor_b32 s12, exec_lo, -1
; %bb.5385:                             ;   in Loop: Header=BB4_5289 Depth=2
	s_or_b32 exec_lo, exec_lo, s40
	s_and_b32 s12, s12, exec_lo
	s_or_saveexec_b32 s29, s29
	v_mov_b32_e32 v47, 0x7f800001
	s_xor_b32 exec_lo, exec_lo, s29
	s_cbranch_execnz .LBB4_5886
.LBB4_5386:                             ;   in Loop: Header=BB4_5289 Depth=2
	s_or_b32 exec_lo, exec_lo, s29
	s_and_saveexec_b32 s29, s12
	s_cbranch_execz .LBB4_5388
.LBB4_5387:                             ;   in Loop: Header=BB4_5289 Depth=2
	v_and_b32_e32 v47, 3, v67
	v_lshrrev_b16 v58, 2, v67
	v_ffbh_u32_e32 v57, v47
	v_and_b32_e32 v58, 31, v58
	v_min_u32_e32 v57, 32, v57
	v_cmp_eq_u32_e32 vcc_lo, 0, v58
	v_subrev_nc_u32_e32 v59, 29, v57
	v_sub_nc_u32_e32 v57, 30, v57
	v_lshlrev_b32_e32 v59, v59, v67
	v_lshlrev_b32_e32 v67, 24, v67
	v_cndmask_b32_e32 v57, v58, v57, vcc_lo
	v_and_b32_e32 v59, 3, v59
	v_and_b32_e32 v67, 0x80000000, v67
	v_lshl_add_u32 v57, v57, 23, 0x37800000
	v_cndmask_b32_e32 v47, v47, v59, vcc_lo
	v_lshlrev_b32_e32 v47, 21, v47
	v_or3_b32 v47, v67, v57, v47
.LBB4_5388:                             ;   in Loop: Header=BB4_5289 Depth=2
	s_or_b32 exec_lo, exec_lo, s29
	v_max_f32_e32 v67, v47, v47
	v_max_f32_e32 v47, v56, v56
	v_min_f32_e32 v56, v47, v67
.LBB4_5389:                             ;   in Loop: Header=BB4_5289 Depth=2
	s_waitcnt vmcnt(13) lgkmcnt(13)
	v_and_b32_e32 v67, 0x7f800000, v56
	v_cmp_ne_u32_e32 vcc_lo, 0x7f800000, v67
	v_mov_b32_e32 v67, 0x80
	s_and_saveexec_b32 s29, vcc_lo
	s_cbranch_execz .LBB4_5397
; %bb.5390:                             ;   in Loop: Header=BB4_5289 Depth=2
	v_mov_b32_e32 v67, 0
	s_mov_b32 s40, exec_lo
	v_cmpx_ne_u32_e32 0, v56
	s_cbranch_execz .LBB4_5396
; %bb.5391:                             ;   in Loop: Header=BB4_5289 Depth=2
	v_bfe_u32 v67, v56, 23, 8
	v_and_b32_e32 v47, 0x7fffff, v56
	v_sub_nc_u32_e32 v57, 0x70, v67
	v_cmp_gt_u32_e32 vcc_lo, 0x71, v67
	v_or_b32_e32 v58, 0x800000, v47
	v_cndmask_b32_e32 v57, 0, v57, vcc_lo
	v_cmp_eq_u32_e32 vcc_lo, 0, v67
	v_add_nc_u32_e32 v67, 0xffffff91, v67
	v_cndmask_b32_e64 v57, v57, 0x6f, vcc_lo
	v_cndmask_b32_e32 v47, v58, v47, vcc_lo
	v_cndmask_b32_e64 v67, v67, 0xffffff92, vcc_lo
	v_lshl_add_u32 v58, 0x200000, v57, -1
	v_lshrrev_b32_e32 v59, v57, v47
	v_lshlrev_b32_e64 v61, v57, 0x100000
	v_add_nc_u32_e32 v57, v57, v67
	v_and_b32_e32 v47, v58, v47
	v_bfe_u32 v60, v59, 21, 1
	v_cmp_eq_u32_e64 s12, v47, v61
	v_add_nc_u32_e32 v58, -1, v60
	v_cndmask_b32_e64 v47, 0, v58, s12
	v_lshrrev_b32_e32 v58, 23, v59
	s_mov_b32 s12, exec_lo
	v_add_nc_u32_e32 v47, v47, v59
	v_xor_b32_e32 v58, 1, v58
	v_and_b32_e32 v67, 0x1fffff, v47
	v_add_nc_u32_e32 v47, v67, v59
                                        ; implicit-def: $vgpr67
	v_cmpx_ne_u32_e64 v57, v58
	s_xor_b32 s12, exec_lo, s12
; %bb.5392:                             ;   in Loop: Header=BB4_5289 Depth=2
	v_cmp_lt_u32_e32 vcc_lo, 0xffffff, v47
	v_sub_nc_u32_e32 v67, v57, v58
	v_cndmask_b32_e64 v57, 0, 1, vcc_lo
	v_add_co_ci_u32_e64 v67, null, 0, v67, vcc_lo
	v_lshrrev_b32_e32 v47, v57, v47
; %bb.5393:                             ;   in Loop: Header=BB4_5289 Depth=2
	s_andn2_saveexec_b32 s12, s12
; %bb.5394:                             ;   in Loop: Header=BB4_5289 Depth=2
	v_bfe_u32 v67, v47, 23, 1
; %bb.5395:                             ;   in Loop: Header=BB4_5289 Depth=2
	s_or_b32 exec_lo, exec_lo, s12
	v_lshrrev_b32_e32 v47, 21, v47
	v_cmp_gt_i32_e32 vcc_lo, 32, v67
	v_min_i32_e32 v57, 31, v67
	v_and_b32_sdwa v56, v56, v101 dst_sel:DWORD dst_unused:UNUSED_PAD src0_sel:BYTE_3 src1_sel:DWORD
	v_cndmask_b32_e32 v47, 3, v47, vcc_lo
	v_lshlrev_b32_e32 v57, 2, v57
	v_and_b32_e32 v58, 3, v47
	v_or_b32_e32 v67, v67, v47
	v_or3_b32 v47, v57, v56, v58
	v_cmp_ne_u32_e32 vcc_lo, 0, v67
	v_cndmask_b32_e32 v67, 0, v47, vcc_lo
.LBB4_5396:                             ;   in Loop: Header=BB4_5289 Depth=2
	s_or_b32 exec_lo, exec_lo, s40
.LBB4_5397:                             ;   in Loop: Header=BB4_5289 Depth=2
	s_or_b32 exec_lo, exec_lo, s29
	v_cmp_gt_i16_sdwa s29, v46, v100 src0_sel:BYTE_0 src1_sel:DWORD
	s_andn2_b32 vcc_lo, exec_lo, s27
	s_mov_b32 s12, -1
                                        ; implicit-def: $vgpr47
	s_cbranch_vccnz .LBB4_5411
; %bb.5398:                             ;   in Loop: Header=BB4_5289 Depth=2
	s_mov_b32 s12, 0
	s_and_saveexec_b32 s40, s29
	s_xor_b32 s29, exec_lo, s40
	s_cbranch_execz .LBB4_5887
; %bb.5399:                             ;   in Loop: Header=BB4_5289 Depth=2
	v_cmp_eq_u16_sdwa s41, v46, v101 src0_sel:BYTE_0 src1_sel:DWORD
	s_mov_b32 s12, -1
	s_and_saveexec_b32 s40, s41
; %bb.5400:                             ;   in Loop: Header=BB4_5289 Depth=2
	s_xor_b32 s12, exec_lo, -1
; %bb.5401:                             ;   in Loop: Header=BB4_5289 Depth=2
	s_or_b32 exec_lo, exec_lo, s40
	s_and_b32 s12, s12, exec_lo
	s_or_saveexec_b32 s29, s29
	v_mov_b32_e32 v47, 0x7f800001
	s_xor_b32 exec_lo, exec_lo, s29
	s_cbranch_execnz .LBB4_5888
.LBB4_5402:                             ;   in Loop: Header=BB4_5289 Depth=2
	s_or_b32 exec_lo, exec_lo, s29
	s_and_saveexec_b32 s29, s12
	s_cbranch_execz .LBB4_5404
.LBB4_5403:                             ;   in Loop: Header=BB4_5289 Depth=2
	v_and_b32_e32 v47, 3, v46
	v_lshrrev_b16 v57, 2, v46
	v_lshlrev_b32_e32 v59, 24, v46
	v_ffbh_u32_e32 v56, v47
	v_and_b32_e32 v57, 31, v57
	v_min_u32_e32 v56, 32, v56
	v_cmp_eq_u32_e32 vcc_lo, 0, v57
	v_subrev_nc_u32_e32 v58, 29, v56
	v_sub_nc_u32_e32 v56, 30, v56
	v_lshlrev_b32_e32 v58, v58, v46
	v_cndmask_b32_e32 v56, v57, v56, vcc_lo
	v_and_b32_e32 v57, 0x80000000, v59
	v_and_b32_e32 v58, 3, v58
	v_lshl_add_u32 v56, v56, 23, 0x37800000
	v_cndmask_b32_e32 v47, v47, v58, vcc_lo
	v_lshlrev_b32_e32 v47, 21, v47
	v_or3_b32 v47, v57, v56, v47
.LBB4_5404:                             ;   in Loop: Header=BB4_5289 Depth=2
	s_or_b32 exec_lo, exec_lo, s29
	s_waitcnt vmcnt(12) lgkmcnt(12)
	v_cmp_gt_i16_sdwa s29, v70, v100 src0_sel:BYTE_0 src1_sel:DWORD
	s_mov_b32 s12, 0
	s_and_saveexec_b32 s40, s29
	s_xor_b32 s29, exec_lo, s40
	s_cbranch_execz .LBB4_5889
; %bb.5405:                             ;   in Loop: Header=BB4_5289 Depth=2
	v_cmp_eq_u16_sdwa s41, v70, v101 src0_sel:BYTE_0 src1_sel:DWORD
	s_mov_b32 s12, -1
	s_and_saveexec_b32 s40, s41
; %bb.5406:                             ;   in Loop: Header=BB4_5289 Depth=2
	s_xor_b32 s12, exec_lo, -1
; %bb.5407:                             ;   in Loop: Header=BB4_5289 Depth=2
	s_or_b32 exec_lo, exec_lo, s40
	s_and_b32 s12, s12, exec_lo
	s_or_saveexec_b32 s29, s29
	v_mov_b32_e32 v56, 0x7f800001
	s_xor_b32 exec_lo, exec_lo, s29
	s_cbranch_execnz .LBB4_5890
.LBB4_5408:                             ;   in Loop: Header=BB4_5289 Depth=2
	s_or_b32 exec_lo, exec_lo, s29
	s_and_saveexec_b32 s29, s12
	s_cbranch_execz .LBB4_5410
.LBB4_5409:                             ;   in Loop: Header=BB4_5289 Depth=2
	v_and_b32_e32 v56, 3, v70
	v_lshrrev_b16 v58, 2, v70
	v_lshlrev_b32_e32 v60, 24, v70
	v_ffbh_u32_e32 v57, v56
	v_and_b32_e32 v58, 31, v58
	v_min_u32_e32 v57, 32, v57
	v_cmp_eq_u32_e32 vcc_lo, 0, v58
	v_subrev_nc_u32_e32 v59, 29, v57
	v_sub_nc_u32_e32 v57, 30, v57
	v_lshlrev_b32_e32 v59, v59, v70
	v_cndmask_b32_e32 v57, v58, v57, vcc_lo
	v_and_b32_e32 v58, 0x80000000, v60
	v_and_b32_e32 v59, 3, v59
	v_lshl_add_u32 v57, v57, 23, 0x37800000
	v_cndmask_b32_e32 v56, v56, v59, vcc_lo
	v_lshlrev_b32_e32 v56, 21, v56
	v_or3_b32 v56, v58, v57, v56
.LBB4_5410:                             ;   in Loop: Header=BB4_5289 Depth=2
	s_or_b32 exec_lo, exec_lo, s29
	v_max_f32_e32 v56, v56, v56
	v_max_f32_e32 v47, v47, v47
	s_mov_b32 s12, 0
	v_max_f32_e32 v47, v47, v56
.LBB4_5411:                             ;   in Loop: Header=BB4_5289 Depth=2
	s_and_b32 vcc_lo, exec_lo, s12
	s_cbranch_vccz .LBB4_5425
; %bb.5412:                             ;   in Loop: Header=BB4_5289 Depth=2
	v_cmp_gt_i16_sdwa s29, v46, v100 src0_sel:BYTE_0 src1_sel:DWORD
	s_mov_b32 s12, 0
	s_and_saveexec_b32 s40, s29
	s_xor_b32 s29, exec_lo, s40
	s_cbranch_execz .LBB4_5891
; %bb.5413:                             ;   in Loop: Header=BB4_5289 Depth=2
	v_cmp_eq_u16_sdwa s41, v46, v101 src0_sel:BYTE_0 src1_sel:DWORD
	s_mov_b32 s12, -1
	s_and_saveexec_b32 s40, s41
; %bb.5414:                             ;   in Loop: Header=BB4_5289 Depth=2
	s_xor_b32 s12, exec_lo, -1
; %bb.5415:                             ;   in Loop: Header=BB4_5289 Depth=2
	s_or_b32 exec_lo, exec_lo, s40
	s_and_b32 s12, s12, exec_lo
	s_or_saveexec_b32 s29, s29
	v_mov_b32_e32 v47, 0x7f800001
	s_xor_b32 exec_lo, exec_lo, s29
	s_cbranch_execnz .LBB4_5892
.LBB4_5416:                             ;   in Loop: Header=BB4_5289 Depth=2
	s_or_b32 exec_lo, exec_lo, s29
	s_and_saveexec_b32 s29, s12
	s_cbranch_execz .LBB4_5418
.LBB4_5417:                             ;   in Loop: Header=BB4_5289 Depth=2
	v_and_b32_e32 v47, 3, v46
	v_lshrrev_b16 v57, 2, v46
	v_ffbh_u32_e32 v56, v47
	v_and_b32_e32 v57, 31, v57
	v_min_u32_e32 v56, 32, v56
	v_cmp_eq_u32_e32 vcc_lo, 0, v57
	v_subrev_nc_u32_e32 v58, 29, v56
	v_sub_nc_u32_e32 v56, 30, v56
	v_lshlrev_b32_e32 v58, v58, v46
	v_lshlrev_b32_e32 v46, 24, v46
	v_cndmask_b32_e32 v56, v57, v56, vcc_lo
	v_and_b32_e32 v58, 3, v58
	v_and_b32_e32 v46, 0x80000000, v46
	v_lshl_add_u32 v56, v56, 23, 0x37800000
	v_cndmask_b32_e32 v47, v47, v58, vcc_lo
	v_lshlrev_b32_e32 v47, 21, v47
	v_or3_b32 v47, v46, v56, v47
.LBB4_5418:                             ;   in Loop: Header=BB4_5289 Depth=2
	s_or_b32 exec_lo, exec_lo, s29
	s_waitcnt vmcnt(12) lgkmcnt(12)
	v_cmp_gt_i16_sdwa s29, v70, v100 src0_sel:BYTE_0 src1_sel:DWORD
	s_mov_b32 s12, 0
	s_and_saveexec_b32 s40, s29
	s_xor_b32 s29, exec_lo, s40
	s_cbranch_execz .LBB4_5893
; %bb.5419:                             ;   in Loop: Header=BB4_5289 Depth=2
	v_cmp_eq_u16_sdwa s41, v70, v101 src0_sel:BYTE_0 src1_sel:DWORD
	s_mov_b32 s12, -1
	s_and_saveexec_b32 s40, s41
; %bb.5420:                             ;   in Loop: Header=BB4_5289 Depth=2
	s_xor_b32 s12, exec_lo, -1
; %bb.5421:                             ;   in Loop: Header=BB4_5289 Depth=2
	s_or_b32 exec_lo, exec_lo, s40
	s_and_b32 s12, s12, exec_lo
	s_or_saveexec_b32 s29, s29
	v_mov_b32_e32 v46, 0x7f800001
	s_xor_b32 exec_lo, exec_lo, s29
	s_cbranch_execnz .LBB4_5894
.LBB4_5422:                             ;   in Loop: Header=BB4_5289 Depth=2
	s_or_b32 exec_lo, exec_lo, s29
	s_and_saveexec_b32 s29, s12
	s_cbranch_execz .LBB4_5424
.LBB4_5423:                             ;   in Loop: Header=BB4_5289 Depth=2
	v_and_b32_e32 v46, 3, v70
	v_lshrrev_b16 v57, 2, v70
	v_ffbh_u32_e32 v56, v46
	v_and_b32_e32 v57, 31, v57
	v_min_u32_e32 v56, 32, v56
	v_cmp_eq_u32_e32 vcc_lo, 0, v57
	v_subrev_nc_u32_e32 v58, 29, v56
	v_sub_nc_u32_e32 v56, 30, v56
	v_lshlrev_b32_e32 v58, v58, v70
	v_lshlrev_b32_e32 v70, 24, v70
	v_cndmask_b32_e32 v56, v57, v56, vcc_lo
	v_and_b32_e32 v58, 3, v58
	v_and_b32_e32 v70, 0x80000000, v70
	v_lshl_add_u32 v56, v56, 23, 0x37800000
	v_cndmask_b32_e32 v46, v46, v58, vcc_lo
	v_lshlrev_b32_e32 v46, 21, v46
	v_or3_b32 v46, v70, v56, v46
.LBB4_5424:                             ;   in Loop: Header=BB4_5289 Depth=2
	s_or_b32 exec_lo, exec_lo, s29
	v_max_f32_e32 v70, v46, v46
	v_max_f32_e32 v46, v47, v47
	v_min_f32_e32 v47, v46, v70
.LBB4_5425:                             ;   in Loop: Header=BB4_5289 Depth=2
	s_waitcnt vmcnt(12) lgkmcnt(12)
	v_and_b32_e32 v70, 0x7f800000, v47
	v_cmp_ne_u32_e32 vcc_lo, 0x7f800000, v70
	v_mov_b32_e32 v70, 0x80
	s_and_saveexec_b32 s29, vcc_lo
	s_cbranch_execz .LBB4_5433
; %bb.5426:                             ;   in Loop: Header=BB4_5289 Depth=2
	v_mov_b32_e32 v70, 0
	s_mov_b32 s40, exec_lo
	v_cmpx_ne_u32_e32 0, v47
	s_cbranch_execz .LBB4_5432
; %bb.5427:                             ;   in Loop: Header=BB4_5289 Depth=2
	v_bfe_u32 v70, v47, 23, 8
	v_and_b32_e32 v46, 0x7fffff, v47
	v_sub_nc_u32_e32 v56, 0x70, v70
	v_cmp_gt_u32_e32 vcc_lo, 0x71, v70
	v_or_b32_e32 v57, 0x800000, v46
	v_cndmask_b32_e32 v56, 0, v56, vcc_lo
	v_cmp_eq_u32_e32 vcc_lo, 0, v70
	v_add_nc_u32_e32 v70, 0xffffff91, v70
	v_cndmask_b32_e64 v56, v56, 0x6f, vcc_lo
	v_cndmask_b32_e32 v46, v57, v46, vcc_lo
	v_cndmask_b32_e64 v70, v70, 0xffffff92, vcc_lo
	v_lshl_add_u32 v57, 0x200000, v56, -1
	v_lshrrev_b32_e32 v58, v56, v46
	v_lshlrev_b32_e64 v60, v56, 0x100000
	v_add_nc_u32_e32 v56, v56, v70
	v_and_b32_e32 v46, v57, v46
	v_bfe_u32 v59, v58, 21, 1
	v_cmp_eq_u32_e64 s12, v46, v60
	v_add_nc_u32_e32 v57, -1, v59
	v_cndmask_b32_e64 v46, 0, v57, s12
	v_lshrrev_b32_e32 v57, 23, v58
	s_mov_b32 s12, exec_lo
	v_add_nc_u32_e32 v46, v46, v58
	v_xor_b32_e32 v57, 1, v57
	v_and_b32_e32 v70, 0x1fffff, v46
	v_add_nc_u32_e32 v46, v70, v58
                                        ; implicit-def: $vgpr70
	v_cmpx_ne_u32_e64 v56, v57
	s_xor_b32 s12, exec_lo, s12
; %bb.5428:                             ;   in Loop: Header=BB4_5289 Depth=2
	v_cmp_lt_u32_e32 vcc_lo, 0xffffff, v46
	v_sub_nc_u32_e32 v70, v56, v57
	v_cndmask_b32_e64 v56, 0, 1, vcc_lo
	v_add_co_ci_u32_e64 v70, null, 0, v70, vcc_lo
	v_lshrrev_b32_e32 v46, v56, v46
; %bb.5429:                             ;   in Loop: Header=BB4_5289 Depth=2
	s_andn2_saveexec_b32 s12, s12
; %bb.5430:                             ;   in Loop: Header=BB4_5289 Depth=2
	v_bfe_u32 v70, v46, 23, 1
; %bb.5431:                             ;   in Loop: Header=BB4_5289 Depth=2
	s_or_b32 exec_lo, exec_lo, s12
	v_lshrrev_b32_e32 v46, 21, v46
	v_cmp_gt_i32_e32 vcc_lo, 32, v70
	v_min_i32_e32 v56, 31, v70
	v_and_b32_sdwa v47, v47, v101 dst_sel:DWORD dst_unused:UNUSED_PAD src0_sel:BYTE_3 src1_sel:DWORD
	v_cndmask_b32_e32 v46, 3, v46, vcc_lo
	v_lshlrev_b32_e32 v56, 2, v56
	v_and_b32_e32 v57, 3, v46
	v_or_b32_e32 v70, v70, v46
	v_or3_b32 v46, v56, v47, v57
	v_cmp_ne_u32_e32 vcc_lo, 0, v70
	v_cndmask_b32_e32 v70, 0, v46, vcc_lo
.LBB4_5432:                             ;   in Loop: Header=BB4_5289 Depth=2
	s_or_b32 exec_lo, exec_lo, s40
.LBB4_5433:                             ;   in Loop: Header=BB4_5289 Depth=2
	s_or_b32 exec_lo, exec_lo, s29
	v_cmp_gt_i16_sdwa s29, v45, v100 src0_sel:BYTE_0 src1_sel:DWORD
	s_andn2_b32 vcc_lo, exec_lo, s27
	s_mov_b32 s12, -1
                                        ; implicit-def: $vgpr46
	s_cbranch_vccnz .LBB4_5447
; %bb.5434:                             ;   in Loop: Header=BB4_5289 Depth=2
	s_mov_b32 s12, 0
	s_and_saveexec_b32 s40, s29
	s_xor_b32 s29, exec_lo, s40
	s_cbranch_execz .LBB4_5895
; %bb.5435:                             ;   in Loop: Header=BB4_5289 Depth=2
	v_cmp_eq_u16_sdwa s41, v45, v101 src0_sel:BYTE_0 src1_sel:DWORD
	s_mov_b32 s12, -1
	s_and_saveexec_b32 s40, s41
; %bb.5436:                             ;   in Loop: Header=BB4_5289 Depth=2
	s_xor_b32 s12, exec_lo, -1
; %bb.5437:                             ;   in Loop: Header=BB4_5289 Depth=2
	s_or_b32 exec_lo, exec_lo, s40
	s_and_b32 s12, s12, exec_lo
	s_or_saveexec_b32 s29, s29
	v_mov_b32_e32 v46, 0x7f800001
	s_xor_b32 exec_lo, exec_lo, s29
	s_cbranch_execnz .LBB4_5896
.LBB4_5438:                             ;   in Loop: Header=BB4_5289 Depth=2
	s_or_b32 exec_lo, exec_lo, s29
	s_and_saveexec_b32 s29, s12
	s_cbranch_execz .LBB4_5440
.LBB4_5439:                             ;   in Loop: Header=BB4_5289 Depth=2
	v_and_b32_e32 v46, 3, v45
	v_lshrrev_b16 v56, 2, v45
	v_lshlrev_b32_e32 v58, 24, v45
	v_ffbh_u32_e32 v47, v46
	v_and_b32_e32 v56, 31, v56
	v_min_u32_e32 v47, 32, v47
	v_cmp_eq_u32_e32 vcc_lo, 0, v56
	v_subrev_nc_u32_e32 v57, 29, v47
	v_sub_nc_u32_e32 v47, 30, v47
	v_lshlrev_b32_e32 v57, v57, v45
	v_cndmask_b32_e32 v47, v56, v47, vcc_lo
	v_and_b32_e32 v56, 0x80000000, v58
	v_and_b32_e32 v57, 3, v57
	v_lshl_add_u32 v47, v47, 23, 0x37800000
	v_cndmask_b32_e32 v46, v46, v57, vcc_lo
	v_lshlrev_b32_e32 v46, 21, v46
	v_or3_b32 v46, v56, v47, v46
.LBB4_5440:                             ;   in Loop: Header=BB4_5289 Depth=2
	s_or_b32 exec_lo, exec_lo, s29
	s_waitcnt vmcnt(11) lgkmcnt(11)
	v_cmp_gt_i16_sdwa s29, v81, v100 src0_sel:BYTE_0 src1_sel:DWORD
	s_mov_b32 s12, 0
	s_and_saveexec_b32 s40, s29
	s_xor_b32 s29, exec_lo, s40
	s_cbranch_execz .LBB4_5897
; %bb.5441:                             ;   in Loop: Header=BB4_5289 Depth=2
	v_cmp_eq_u16_sdwa s41, v81, v101 src0_sel:BYTE_0 src1_sel:DWORD
	s_mov_b32 s12, -1
	s_and_saveexec_b32 s40, s41
; %bb.5442:                             ;   in Loop: Header=BB4_5289 Depth=2
	s_xor_b32 s12, exec_lo, -1
; %bb.5443:                             ;   in Loop: Header=BB4_5289 Depth=2
	s_or_b32 exec_lo, exec_lo, s40
	s_and_b32 s12, s12, exec_lo
	s_or_saveexec_b32 s29, s29
	v_mov_b32_e32 v47, 0x7f800001
	s_xor_b32 exec_lo, exec_lo, s29
	s_cbranch_execnz .LBB4_5898
.LBB4_5444:                             ;   in Loop: Header=BB4_5289 Depth=2
	s_or_b32 exec_lo, exec_lo, s29
	s_and_saveexec_b32 s29, s12
	s_cbranch_execz .LBB4_5446
.LBB4_5445:                             ;   in Loop: Header=BB4_5289 Depth=2
	v_and_b32_e32 v47, 3, v81
	v_lshrrev_b16 v57, 2, v81
	v_lshlrev_b32_e32 v59, 24, v81
	v_ffbh_u32_e32 v56, v47
	v_and_b32_e32 v57, 31, v57
	v_min_u32_e32 v56, 32, v56
	v_cmp_eq_u32_e32 vcc_lo, 0, v57
	v_subrev_nc_u32_e32 v58, 29, v56
	v_sub_nc_u32_e32 v56, 30, v56
	v_lshlrev_b32_e32 v58, v58, v81
	v_cndmask_b32_e32 v56, v57, v56, vcc_lo
	v_and_b32_e32 v57, 0x80000000, v59
	v_and_b32_e32 v58, 3, v58
	v_lshl_add_u32 v56, v56, 23, 0x37800000
	v_cndmask_b32_e32 v47, v47, v58, vcc_lo
	v_lshlrev_b32_e32 v47, 21, v47
	v_or3_b32 v47, v57, v56, v47
.LBB4_5446:                             ;   in Loop: Header=BB4_5289 Depth=2
	s_or_b32 exec_lo, exec_lo, s29
	v_max_f32_e32 v47, v47, v47
	v_max_f32_e32 v46, v46, v46
	s_mov_b32 s12, 0
	v_max_f32_e32 v46, v46, v47
.LBB4_5447:                             ;   in Loop: Header=BB4_5289 Depth=2
	s_and_b32 vcc_lo, exec_lo, s12
	s_cbranch_vccz .LBB4_5461
; %bb.5448:                             ;   in Loop: Header=BB4_5289 Depth=2
	v_cmp_gt_i16_sdwa s29, v45, v100 src0_sel:BYTE_0 src1_sel:DWORD
	s_mov_b32 s12, 0
	s_and_saveexec_b32 s40, s29
	s_xor_b32 s29, exec_lo, s40
	s_cbranch_execz .LBB4_5899
; %bb.5449:                             ;   in Loop: Header=BB4_5289 Depth=2
	v_cmp_eq_u16_sdwa s41, v45, v101 src0_sel:BYTE_0 src1_sel:DWORD
	s_mov_b32 s12, -1
	s_and_saveexec_b32 s40, s41
; %bb.5450:                             ;   in Loop: Header=BB4_5289 Depth=2
	s_xor_b32 s12, exec_lo, -1
; %bb.5451:                             ;   in Loop: Header=BB4_5289 Depth=2
	s_or_b32 exec_lo, exec_lo, s40
	s_and_b32 s12, s12, exec_lo
	s_or_saveexec_b32 s29, s29
	v_mov_b32_e32 v46, 0x7f800001
	s_xor_b32 exec_lo, exec_lo, s29
	s_cbranch_execnz .LBB4_5900
.LBB4_5452:                             ;   in Loop: Header=BB4_5289 Depth=2
	s_or_b32 exec_lo, exec_lo, s29
	s_and_saveexec_b32 s29, s12
	s_cbranch_execz .LBB4_5454
.LBB4_5453:                             ;   in Loop: Header=BB4_5289 Depth=2
	v_and_b32_e32 v46, 3, v45
	v_lshrrev_b16 v56, 2, v45
	v_ffbh_u32_e32 v47, v46
	v_and_b32_e32 v56, 31, v56
	v_min_u32_e32 v47, 32, v47
	v_cmp_eq_u32_e32 vcc_lo, 0, v56
	v_subrev_nc_u32_e32 v57, 29, v47
	v_sub_nc_u32_e32 v47, 30, v47
	v_lshlrev_b32_e32 v57, v57, v45
	v_lshlrev_b32_e32 v45, 24, v45
	v_cndmask_b32_e32 v47, v56, v47, vcc_lo
	v_and_b32_e32 v57, 3, v57
	v_and_b32_e32 v45, 0x80000000, v45
	v_lshl_add_u32 v47, v47, 23, 0x37800000
	v_cndmask_b32_e32 v46, v46, v57, vcc_lo
	v_lshlrev_b32_e32 v46, 21, v46
	v_or3_b32 v46, v45, v47, v46
.LBB4_5454:                             ;   in Loop: Header=BB4_5289 Depth=2
	s_or_b32 exec_lo, exec_lo, s29
	s_waitcnt vmcnt(11) lgkmcnt(11)
	v_cmp_gt_i16_sdwa s29, v81, v100 src0_sel:BYTE_0 src1_sel:DWORD
	s_mov_b32 s12, 0
	s_and_saveexec_b32 s40, s29
	s_xor_b32 s29, exec_lo, s40
	s_cbranch_execz .LBB4_5901
; %bb.5455:                             ;   in Loop: Header=BB4_5289 Depth=2
	v_cmp_eq_u16_sdwa s41, v81, v101 src0_sel:BYTE_0 src1_sel:DWORD
	s_mov_b32 s12, -1
	s_and_saveexec_b32 s40, s41
; %bb.5456:                             ;   in Loop: Header=BB4_5289 Depth=2
	s_xor_b32 s12, exec_lo, -1
; %bb.5457:                             ;   in Loop: Header=BB4_5289 Depth=2
	s_or_b32 exec_lo, exec_lo, s40
	s_and_b32 s12, s12, exec_lo
	s_or_saveexec_b32 s29, s29
	v_mov_b32_e32 v45, 0x7f800001
	s_xor_b32 exec_lo, exec_lo, s29
	s_cbranch_execnz .LBB4_5902
.LBB4_5458:                             ;   in Loop: Header=BB4_5289 Depth=2
	s_or_b32 exec_lo, exec_lo, s29
	s_and_saveexec_b32 s29, s12
	s_cbranch_execz .LBB4_5460
.LBB4_5459:                             ;   in Loop: Header=BB4_5289 Depth=2
	v_and_b32_e32 v45, 3, v81
	v_lshrrev_b16 v56, 2, v81
	v_ffbh_u32_e32 v47, v45
	v_and_b32_e32 v56, 31, v56
	v_min_u32_e32 v47, 32, v47
	v_cmp_eq_u32_e32 vcc_lo, 0, v56
	v_subrev_nc_u32_e32 v57, 29, v47
	v_sub_nc_u32_e32 v47, 30, v47
	v_lshlrev_b32_e32 v57, v57, v81
	v_lshlrev_b32_e32 v81, 24, v81
	v_cndmask_b32_e32 v47, v56, v47, vcc_lo
	v_and_b32_e32 v57, 3, v57
	v_and_b32_e32 v81, 0x80000000, v81
	v_lshl_add_u32 v47, v47, 23, 0x37800000
	v_cndmask_b32_e32 v45, v45, v57, vcc_lo
	v_lshlrev_b32_e32 v45, 21, v45
	v_or3_b32 v45, v81, v47, v45
.LBB4_5460:                             ;   in Loop: Header=BB4_5289 Depth=2
	s_or_b32 exec_lo, exec_lo, s29
	v_max_f32_e32 v81, v45, v45
	v_max_f32_e32 v45, v46, v46
	v_min_f32_e32 v46, v45, v81
.LBB4_5461:                             ;   in Loop: Header=BB4_5289 Depth=2
	s_waitcnt vmcnt(11) lgkmcnt(11)
	v_and_b32_e32 v81, 0x7f800000, v46
	v_cmp_ne_u32_e32 vcc_lo, 0x7f800000, v81
	v_mov_b32_e32 v81, 0x80
	s_and_saveexec_b32 s29, vcc_lo
	s_cbranch_execz .LBB4_5469
; %bb.5462:                             ;   in Loop: Header=BB4_5289 Depth=2
	v_mov_b32_e32 v81, 0
	s_mov_b32 s40, exec_lo
	v_cmpx_ne_u32_e32 0, v46
	s_cbranch_execz .LBB4_5468
; %bb.5463:                             ;   in Loop: Header=BB4_5289 Depth=2
	v_bfe_u32 v81, v46, 23, 8
	v_and_b32_e32 v45, 0x7fffff, v46
	v_sub_nc_u32_e32 v47, 0x70, v81
	v_cmp_gt_u32_e32 vcc_lo, 0x71, v81
	v_or_b32_e32 v56, 0x800000, v45
	v_cndmask_b32_e32 v47, 0, v47, vcc_lo
	v_cmp_eq_u32_e32 vcc_lo, 0, v81
	v_add_nc_u32_e32 v81, 0xffffff91, v81
	v_cndmask_b32_e64 v47, v47, 0x6f, vcc_lo
	v_cndmask_b32_e32 v45, v56, v45, vcc_lo
	v_cndmask_b32_e64 v81, v81, 0xffffff92, vcc_lo
	v_lshl_add_u32 v56, 0x200000, v47, -1
	v_lshrrev_b32_e32 v57, v47, v45
	v_lshlrev_b32_e64 v59, v47, 0x100000
	v_add_nc_u32_e32 v47, v47, v81
	v_and_b32_e32 v45, v56, v45
	v_bfe_u32 v58, v57, 21, 1
	v_cmp_eq_u32_e64 s12, v45, v59
	v_add_nc_u32_e32 v56, -1, v58
	v_cndmask_b32_e64 v45, 0, v56, s12
	v_lshrrev_b32_e32 v56, 23, v57
	s_mov_b32 s12, exec_lo
	v_add_nc_u32_e32 v45, v45, v57
	v_xor_b32_e32 v56, 1, v56
	v_and_b32_e32 v81, 0x1fffff, v45
	v_add_nc_u32_e32 v45, v81, v57
                                        ; implicit-def: $vgpr81
	v_cmpx_ne_u32_e64 v47, v56
	s_xor_b32 s12, exec_lo, s12
; %bb.5464:                             ;   in Loop: Header=BB4_5289 Depth=2
	v_cmp_lt_u32_e32 vcc_lo, 0xffffff, v45
	v_sub_nc_u32_e32 v81, v47, v56
	v_cndmask_b32_e64 v47, 0, 1, vcc_lo
	v_add_co_ci_u32_e64 v81, null, 0, v81, vcc_lo
	v_lshrrev_b32_e32 v45, v47, v45
; %bb.5465:                             ;   in Loop: Header=BB4_5289 Depth=2
	s_andn2_saveexec_b32 s12, s12
; %bb.5466:                             ;   in Loop: Header=BB4_5289 Depth=2
	v_bfe_u32 v81, v45, 23, 1
; %bb.5467:                             ;   in Loop: Header=BB4_5289 Depth=2
	s_or_b32 exec_lo, exec_lo, s12
	v_lshrrev_b32_e32 v45, 21, v45
	v_cmp_gt_i32_e32 vcc_lo, 32, v81
	v_min_i32_e32 v47, 31, v81
	v_and_b32_sdwa v46, v46, v101 dst_sel:DWORD dst_unused:UNUSED_PAD src0_sel:BYTE_3 src1_sel:DWORD
	v_cndmask_b32_e32 v45, 3, v45, vcc_lo
	v_lshlrev_b32_e32 v47, 2, v47
	v_and_b32_e32 v56, 3, v45
	v_or_b32_e32 v81, v81, v45
	v_or3_b32 v45, v47, v46, v56
	v_cmp_ne_u32_e32 vcc_lo, 0, v81
	v_cndmask_b32_e32 v81, 0, v45, vcc_lo
.LBB4_5468:                             ;   in Loop: Header=BB4_5289 Depth=2
	s_or_b32 exec_lo, exec_lo, s40
.LBB4_5469:                             ;   in Loop: Header=BB4_5289 Depth=2
	s_or_b32 exec_lo, exec_lo, s29
	v_cmp_gt_i16_sdwa s29, v44, v100 src0_sel:BYTE_0 src1_sel:DWORD
	s_andn2_b32 vcc_lo, exec_lo, s27
	s_mov_b32 s12, -1
                                        ; implicit-def: $vgpr45
	s_cbranch_vccnz .LBB4_5483
; %bb.5470:                             ;   in Loop: Header=BB4_5289 Depth=2
	s_mov_b32 s12, 0
	s_and_saveexec_b32 s40, s29
	s_xor_b32 s29, exec_lo, s40
	s_cbranch_execz .LBB4_5903
; %bb.5471:                             ;   in Loop: Header=BB4_5289 Depth=2
	v_cmp_eq_u16_sdwa s41, v44, v101 src0_sel:BYTE_0 src1_sel:DWORD
	s_mov_b32 s12, -1
	s_and_saveexec_b32 s40, s41
; %bb.5472:                             ;   in Loop: Header=BB4_5289 Depth=2
	s_xor_b32 s12, exec_lo, -1
; %bb.5473:                             ;   in Loop: Header=BB4_5289 Depth=2
	s_or_b32 exec_lo, exec_lo, s40
	s_and_b32 s12, s12, exec_lo
	s_or_saveexec_b32 s29, s29
	v_mov_b32_e32 v45, 0x7f800001
	s_xor_b32 exec_lo, exec_lo, s29
	s_cbranch_execnz .LBB4_5904
.LBB4_5474:                             ;   in Loop: Header=BB4_5289 Depth=2
	s_or_b32 exec_lo, exec_lo, s29
	s_and_saveexec_b32 s29, s12
	s_cbranch_execz .LBB4_5476
.LBB4_5475:                             ;   in Loop: Header=BB4_5289 Depth=2
	v_and_b32_e32 v45, 3, v44
	v_lshrrev_b16 v47, 2, v44
	v_lshlrev_b32_e32 v57, 24, v44
	v_ffbh_u32_e32 v46, v45
	v_and_b32_e32 v47, 31, v47
	v_min_u32_e32 v46, 32, v46
	v_cmp_eq_u32_e32 vcc_lo, 0, v47
	v_subrev_nc_u32_e32 v56, 29, v46
	v_sub_nc_u32_e32 v46, 30, v46
	v_lshlrev_b32_e32 v56, v56, v44
	v_cndmask_b32_e32 v46, v47, v46, vcc_lo
	v_and_b32_e32 v47, 0x80000000, v57
	v_and_b32_e32 v56, 3, v56
	v_lshl_add_u32 v46, v46, 23, 0x37800000
	v_cndmask_b32_e32 v45, v45, v56, vcc_lo
	v_lshlrev_b32_e32 v45, 21, v45
	v_or3_b32 v45, v47, v46, v45
.LBB4_5476:                             ;   in Loop: Header=BB4_5289 Depth=2
	s_or_b32 exec_lo, exec_lo, s29
	s_waitcnt vmcnt(10) lgkmcnt(10)
	v_cmp_gt_i16_sdwa s29, v115, v100 src0_sel:BYTE_0 src1_sel:DWORD
	s_mov_b32 s12, 0
	s_and_saveexec_b32 s40, s29
	s_xor_b32 s29, exec_lo, s40
	s_cbranch_execz .LBB4_5905
; %bb.5477:                             ;   in Loop: Header=BB4_5289 Depth=2
	v_cmp_eq_u16_sdwa s41, v115, v101 src0_sel:BYTE_0 src1_sel:DWORD
	s_mov_b32 s12, -1
	s_and_saveexec_b32 s40, s41
; %bb.5478:                             ;   in Loop: Header=BB4_5289 Depth=2
	s_xor_b32 s12, exec_lo, -1
; %bb.5479:                             ;   in Loop: Header=BB4_5289 Depth=2
	s_or_b32 exec_lo, exec_lo, s40
	s_and_b32 s12, s12, exec_lo
	s_or_saveexec_b32 s29, s29
	v_mov_b32_e32 v46, 0x7f800001
	s_xor_b32 exec_lo, exec_lo, s29
	s_cbranch_execnz .LBB4_5906
.LBB4_5480:                             ;   in Loop: Header=BB4_5289 Depth=2
	s_or_b32 exec_lo, exec_lo, s29
	s_and_saveexec_b32 s29, s12
	s_cbranch_execz .LBB4_5482
.LBB4_5481:                             ;   in Loop: Header=BB4_5289 Depth=2
	v_and_b32_e32 v46, 3, v115
	v_lshrrev_b16 v56, 2, v115
	v_lshlrev_b32_e32 v58, 24, v115
	v_ffbh_u32_e32 v47, v46
	v_and_b32_e32 v56, 31, v56
	v_min_u32_e32 v47, 32, v47
	v_cmp_eq_u32_e32 vcc_lo, 0, v56
	v_subrev_nc_u32_e32 v57, 29, v47
	v_sub_nc_u32_e32 v47, 30, v47
	v_lshlrev_b32_e32 v57, v57, v115
	v_cndmask_b32_e32 v47, v56, v47, vcc_lo
	v_and_b32_e32 v56, 0x80000000, v58
	v_and_b32_e32 v57, 3, v57
	v_lshl_add_u32 v47, v47, 23, 0x37800000
	v_cndmask_b32_e32 v46, v46, v57, vcc_lo
	v_lshlrev_b32_e32 v46, 21, v46
	v_or3_b32 v46, v56, v47, v46
.LBB4_5482:                             ;   in Loop: Header=BB4_5289 Depth=2
	s_or_b32 exec_lo, exec_lo, s29
	v_max_f32_e32 v46, v46, v46
	v_max_f32_e32 v45, v45, v45
	s_mov_b32 s12, 0
	v_max_f32_e32 v45, v45, v46
.LBB4_5483:                             ;   in Loop: Header=BB4_5289 Depth=2
	s_and_b32 vcc_lo, exec_lo, s12
	s_cbranch_vccz .LBB4_5497
; %bb.5484:                             ;   in Loop: Header=BB4_5289 Depth=2
	v_cmp_gt_i16_sdwa s29, v44, v100 src0_sel:BYTE_0 src1_sel:DWORD
	s_mov_b32 s12, 0
	s_and_saveexec_b32 s40, s29
	s_xor_b32 s29, exec_lo, s40
	s_cbranch_execz .LBB4_5907
; %bb.5485:                             ;   in Loop: Header=BB4_5289 Depth=2
	v_cmp_eq_u16_sdwa s41, v44, v101 src0_sel:BYTE_0 src1_sel:DWORD
	s_mov_b32 s12, -1
	s_and_saveexec_b32 s40, s41
; %bb.5486:                             ;   in Loop: Header=BB4_5289 Depth=2
	s_xor_b32 s12, exec_lo, -1
; %bb.5487:                             ;   in Loop: Header=BB4_5289 Depth=2
	s_or_b32 exec_lo, exec_lo, s40
	s_and_b32 s12, s12, exec_lo
	s_or_saveexec_b32 s29, s29
	v_mov_b32_e32 v45, 0x7f800001
	s_xor_b32 exec_lo, exec_lo, s29
	s_cbranch_execnz .LBB4_5908
.LBB4_5488:                             ;   in Loop: Header=BB4_5289 Depth=2
	s_or_b32 exec_lo, exec_lo, s29
	s_and_saveexec_b32 s29, s12
	s_cbranch_execz .LBB4_5490
.LBB4_5489:                             ;   in Loop: Header=BB4_5289 Depth=2
	v_and_b32_e32 v45, 3, v44
	v_lshrrev_b16 v47, 2, v44
	v_ffbh_u32_e32 v46, v45
	v_and_b32_e32 v47, 31, v47
	v_min_u32_e32 v46, 32, v46
	v_cmp_eq_u32_e32 vcc_lo, 0, v47
	v_subrev_nc_u32_e32 v56, 29, v46
	v_sub_nc_u32_e32 v46, 30, v46
	v_lshlrev_b32_e32 v56, v56, v44
	v_lshlrev_b32_e32 v44, 24, v44
	v_cndmask_b32_e32 v46, v47, v46, vcc_lo
	v_and_b32_e32 v56, 3, v56
	v_and_b32_e32 v44, 0x80000000, v44
	v_lshl_add_u32 v46, v46, 23, 0x37800000
	v_cndmask_b32_e32 v45, v45, v56, vcc_lo
	v_lshlrev_b32_e32 v45, 21, v45
	v_or3_b32 v45, v44, v46, v45
.LBB4_5490:                             ;   in Loop: Header=BB4_5289 Depth=2
	s_or_b32 exec_lo, exec_lo, s29
	s_waitcnt vmcnt(10) lgkmcnt(10)
	v_cmp_gt_i16_sdwa s29, v115, v100 src0_sel:BYTE_0 src1_sel:DWORD
	s_mov_b32 s12, 0
	s_and_saveexec_b32 s40, s29
	s_xor_b32 s29, exec_lo, s40
	s_cbranch_execz .LBB4_5909
; %bb.5491:                             ;   in Loop: Header=BB4_5289 Depth=2
	v_cmp_eq_u16_sdwa s41, v115, v101 src0_sel:BYTE_0 src1_sel:DWORD
	s_mov_b32 s12, -1
	s_and_saveexec_b32 s40, s41
; %bb.5492:                             ;   in Loop: Header=BB4_5289 Depth=2
	s_xor_b32 s12, exec_lo, -1
; %bb.5493:                             ;   in Loop: Header=BB4_5289 Depth=2
	s_or_b32 exec_lo, exec_lo, s40
	s_and_b32 s12, s12, exec_lo
	s_or_saveexec_b32 s29, s29
	v_mov_b32_e32 v44, 0x7f800001
	s_xor_b32 exec_lo, exec_lo, s29
	s_cbranch_execnz .LBB4_5910
.LBB4_5494:                             ;   in Loop: Header=BB4_5289 Depth=2
	s_or_b32 exec_lo, exec_lo, s29
	s_and_saveexec_b32 s29, s12
	s_cbranch_execz .LBB4_5496
.LBB4_5495:                             ;   in Loop: Header=BB4_5289 Depth=2
	v_and_b32_e32 v44, 3, v115
	v_lshrrev_b16 v47, 2, v115
	v_ffbh_u32_e32 v46, v44
	v_and_b32_e32 v47, 31, v47
	v_min_u32_e32 v46, 32, v46
	v_cmp_eq_u32_e32 vcc_lo, 0, v47
	v_subrev_nc_u32_e32 v56, 29, v46
	v_sub_nc_u32_e32 v46, 30, v46
	v_lshlrev_b32_e32 v56, v56, v115
	v_lshlrev_b32_e32 v115, 24, v115
	v_cndmask_b32_e32 v46, v47, v46, vcc_lo
	v_and_b32_e32 v56, 3, v56
	v_and_b32_e32 v115, 0x80000000, v115
	v_lshl_add_u32 v46, v46, 23, 0x37800000
	v_cndmask_b32_e32 v44, v44, v56, vcc_lo
	v_lshlrev_b32_e32 v44, 21, v44
	v_or3_b32 v44, v115, v46, v44
.LBB4_5496:                             ;   in Loop: Header=BB4_5289 Depth=2
	s_or_b32 exec_lo, exec_lo, s29
	v_max_f32_e32 v115, v44, v44
	v_max_f32_e32 v44, v45, v45
	v_min_f32_e32 v45, v44, v115
.LBB4_5497:                             ;   in Loop: Header=BB4_5289 Depth=2
	s_waitcnt vmcnt(10) lgkmcnt(10)
	v_and_b32_e32 v115, 0x7f800000, v45
	v_cmp_ne_u32_e32 vcc_lo, 0x7f800000, v115
	v_mov_b32_e32 v115, 0x80
	s_and_saveexec_b32 s29, vcc_lo
	s_cbranch_execz .LBB4_5505
; %bb.5498:                             ;   in Loop: Header=BB4_5289 Depth=2
	v_mov_b32_e32 v115, 0
	s_mov_b32 s40, exec_lo
	v_cmpx_ne_u32_e32 0, v45
	s_cbranch_execz .LBB4_5504
; %bb.5499:                             ;   in Loop: Header=BB4_5289 Depth=2
	v_bfe_u32 v115, v45, 23, 8
	v_and_b32_e32 v44, 0x7fffff, v45
	v_sub_nc_u32_e32 v46, 0x70, v115
	v_cmp_gt_u32_e32 vcc_lo, 0x71, v115
	v_or_b32_e32 v47, 0x800000, v44
	v_cndmask_b32_e32 v46, 0, v46, vcc_lo
	v_cmp_eq_u32_e32 vcc_lo, 0, v115
	v_add_nc_u32_e32 v115, 0xffffff91, v115
	v_cndmask_b32_e64 v46, v46, 0x6f, vcc_lo
	v_cndmask_b32_e32 v44, v47, v44, vcc_lo
	v_cndmask_b32_e64 v115, v115, 0xffffff92, vcc_lo
	v_lshl_add_u32 v47, 0x200000, v46, -1
	v_lshrrev_b32_e32 v56, v46, v44
	v_lshlrev_b32_e64 v58, v46, 0x100000
	v_add_nc_u32_e32 v46, v46, v115
	v_and_b32_e32 v44, v47, v44
	v_bfe_u32 v57, v56, 21, 1
	v_cmp_eq_u32_e64 s12, v44, v58
	v_add_nc_u32_e32 v47, -1, v57
	v_cndmask_b32_e64 v44, 0, v47, s12
	v_lshrrev_b32_e32 v47, 23, v56
	s_mov_b32 s12, exec_lo
	v_add_nc_u32_e32 v44, v44, v56
	v_xor_b32_e32 v47, 1, v47
	v_and_b32_e32 v115, 0x1fffff, v44
	v_add_nc_u32_e32 v44, v115, v56
                                        ; implicit-def: $vgpr115
	v_cmpx_ne_u32_e64 v46, v47
	s_xor_b32 s12, exec_lo, s12
; %bb.5500:                             ;   in Loop: Header=BB4_5289 Depth=2
	v_cmp_lt_u32_e32 vcc_lo, 0xffffff, v44
	v_sub_nc_u32_e32 v115, v46, v47
	v_cndmask_b32_e64 v46, 0, 1, vcc_lo
	v_add_co_ci_u32_e64 v115, null, 0, v115, vcc_lo
	v_lshrrev_b32_e32 v44, v46, v44
; %bb.5501:                             ;   in Loop: Header=BB4_5289 Depth=2
	s_andn2_saveexec_b32 s12, s12
; %bb.5502:                             ;   in Loop: Header=BB4_5289 Depth=2
	v_bfe_u32 v115, v44, 23, 1
; %bb.5503:                             ;   in Loop: Header=BB4_5289 Depth=2
	s_or_b32 exec_lo, exec_lo, s12
	v_lshrrev_b32_e32 v44, 21, v44
	v_cmp_gt_i32_e32 vcc_lo, 32, v115
	v_min_i32_e32 v46, 31, v115
	v_and_b32_sdwa v45, v45, v101 dst_sel:DWORD dst_unused:UNUSED_PAD src0_sel:BYTE_3 src1_sel:DWORD
	v_cndmask_b32_e32 v44, 3, v44, vcc_lo
	v_lshlrev_b32_e32 v46, 2, v46
	v_and_b32_e32 v47, 3, v44
	v_or_b32_e32 v115, v115, v44
	v_or3_b32 v44, v46, v45, v47
	v_cmp_ne_u32_e32 vcc_lo, 0, v115
	v_cndmask_b32_e32 v115, 0, v44, vcc_lo
.LBB4_5504:                             ;   in Loop: Header=BB4_5289 Depth=2
	s_or_b32 exec_lo, exec_lo, s40
.LBB4_5505:                             ;   in Loop: Header=BB4_5289 Depth=2
	s_or_b32 exec_lo, exec_lo, s29
	v_cmp_gt_i16_sdwa s29, v43, v100 src0_sel:BYTE_0 src1_sel:DWORD
	s_andn2_b32 vcc_lo, exec_lo, s27
	s_mov_b32 s12, -1
                                        ; implicit-def: $vgpr44
	s_cbranch_vccnz .LBB4_5519
; %bb.5506:                             ;   in Loop: Header=BB4_5289 Depth=2
	s_mov_b32 s12, 0
	s_and_saveexec_b32 s40, s29
	s_xor_b32 s29, exec_lo, s40
	s_cbranch_execz .LBB4_5911
; %bb.5507:                             ;   in Loop: Header=BB4_5289 Depth=2
	v_cmp_eq_u16_sdwa s41, v43, v101 src0_sel:BYTE_0 src1_sel:DWORD
	s_mov_b32 s12, -1
	s_and_saveexec_b32 s40, s41
; %bb.5508:                             ;   in Loop: Header=BB4_5289 Depth=2
	s_xor_b32 s12, exec_lo, -1
; %bb.5509:                             ;   in Loop: Header=BB4_5289 Depth=2
	s_or_b32 exec_lo, exec_lo, s40
	s_and_b32 s12, s12, exec_lo
	s_or_saveexec_b32 s29, s29
	v_mov_b32_e32 v44, 0x7f800001
	s_xor_b32 exec_lo, exec_lo, s29
	s_cbranch_execnz .LBB4_5912
.LBB4_5510:                             ;   in Loop: Header=BB4_5289 Depth=2
	s_or_b32 exec_lo, exec_lo, s29
	s_and_saveexec_b32 s29, s12
	s_cbranch_execz .LBB4_5512
.LBB4_5511:                             ;   in Loop: Header=BB4_5289 Depth=2
	v_and_b32_e32 v44, 3, v43
	v_lshrrev_b16 v46, 2, v43
	v_lshlrev_b32_e32 v56, 24, v43
	v_ffbh_u32_e32 v45, v44
	v_and_b32_e32 v46, 31, v46
	v_min_u32_e32 v45, 32, v45
	v_cmp_eq_u32_e32 vcc_lo, 0, v46
	v_subrev_nc_u32_e32 v47, 29, v45
	v_sub_nc_u32_e32 v45, 30, v45
	v_lshlrev_b32_e32 v47, v47, v43
	v_cndmask_b32_e32 v45, v46, v45, vcc_lo
	v_and_b32_e32 v46, 0x80000000, v56
	v_and_b32_e32 v47, 3, v47
	v_lshl_add_u32 v45, v45, 23, 0x37800000
	v_cndmask_b32_e32 v44, v44, v47, vcc_lo
	v_lshlrev_b32_e32 v44, 21, v44
	v_or3_b32 v44, v46, v45, v44
.LBB4_5512:                             ;   in Loop: Header=BB4_5289 Depth=2
	s_or_b32 exec_lo, exec_lo, s29
	s_waitcnt vmcnt(9) lgkmcnt(9)
	v_cmp_gt_i16_sdwa s29, v118, v100 src0_sel:BYTE_0 src1_sel:DWORD
	s_mov_b32 s12, 0
	s_and_saveexec_b32 s40, s29
	s_xor_b32 s29, exec_lo, s40
	s_cbranch_execz .LBB4_5913
; %bb.5513:                             ;   in Loop: Header=BB4_5289 Depth=2
	v_cmp_eq_u16_sdwa s41, v118, v101 src0_sel:BYTE_0 src1_sel:DWORD
	s_mov_b32 s12, -1
	s_and_saveexec_b32 s40, s41
; %bb.5514:                             ;   in Loop: Header=BB4_5289 Depth=2
	s_xor_b32 s12, exec_lo, -1
; %bb.5515:                             ;   in Loop: Header=BB4_5289 Depth=2
	s_or_b32 exec_lo, exec_lo, s40
	s_and_b32 s12, s12, exec_lo
	s_or_saveexec_b32 s29, s29
	v_mov_b32_e32 v45, 0x7f800001
	s_xor_b32 exec_lo, exec_lo, s29
	s_cbranch_execnz .LBB4_5914
.LBB4_5516:                             ;   in Loop: Header=BB4_5289 Depth=2
	s_or_b32 exec_lo, exec_lo, s29
	s_and_saveexec_b32 s29, s12
	s_cbranch_execz .LBB4_5518
.LBB4_5517:                             ;   in Loop: Header=BB4_5289 Depth=2
	v_and_b32_e32 v45, 3, v118
	v_lshrrev_b16 v47, 2, v118
	v_lshlrev_b32_e32 v57, 24, v118
	v_ffbh_u32_e32 v46, v45
	v_and_b32_e32 v47, 31, v47
	v_min_u32_e32 v46, 32, v46
	v_cmp_eq_u32_e32 vcc_lo, 0, v47
	v_subrev_nc_u32_e32 v56, 29, v46
	v_sub_nc_u32_e32 v46, 30, v46
	v_lshlrev_b32_e32 v56, v56, v118
	v_cndmask_b32_e32 v46, v47, v46, vcc_lo
	v_and_b32_e32 v47, 0x80000000, v57
	v_and_b32_e32 v56, 3, v56
	v_lshl_add_u32 v46, v46, 23, 0x37800000
	v_cndmask_b32_e32 v45, v45, v56, vcc_lo
	v_lshlrev_b32_e32 v45, 21, v45
	v_or3_b32 v45, v47, v46, v45
.LBB4_5518:                             ;   in Loop: Header=BB4_5289 Depth=2
	s_or_b32 exec_lo, exec_lo, s29
	v_max_f32_e32 v45, v45, v45
	v_max_f32_e32 v44, v44, v44
	s_mov_b32 s12, 0
	v_max_f32_e32 v44, v44, v45
.LBB4_5519:                             ;   in Loop: Header=BB4_5289 Depth=2
	s_and_b32 vcc_lo, exec_lo, s12
	s_cbranch_vccz .LBB4_5533
; %bb.5520:                             ;   in Loop: Header=BB4_5289 Depth=2
	v_cmp_gt_i16_sdwa s29, v43, v100 src0_sel:BYTE_0 src1_sel:DWORD
	s_mov_b32 s12, 0
	s_and_saveexec_b32 s40, s29
	s_xor_b32 s29, exec_lo, s40
	s_cbranch_execz .LBB4_5915
; %bb.5521:                             ;   in Loop: Header=BB4_5289 Depth=2
	v_cmp_eq_u16_sdwa s41, v43, v101 src0_sel:BYTE_0 src1_sel:DWORD
	s_mov_b32 s12, -1
	s_and_saveexec_b32 s40, s41
; %bb.5522:                             ;   in Loop: Header=BB4_5289 Depth=2
	s_xor_b32 s12, exec_lo, -1
; %bb.5523:                             ;   in Loop: Header=BB4_5289 Depth=2
	s_or_b32 exec_lo, exec_lo, s40
	s_and_b32 s12, s12, exec_lo
	s_or_saveexec_b32 s29, s29
	v_mov_b32_e32 v44, 0x7f800001
	s_xor_b32 exec_lo, exec_lo, s29
	s_cbranch_execnz .LBB4_5916
.LBB4_5524:                             ;   in Loop: Header=BB4_5289 Depth=2
	s_or_b32 exec_lo, exec_lo, s29
	s_and_saveexec_b32 s29, s12
	s_cbranch_execz .LBB4_5526
.LBB4_5525:                             ;   in Loop: Header=BB4_5289 Depth=2
	v_and_b32_e32 v44, 3, v43
	v_lshrrev_b16 v46, 2, v43
	v_ffbh_u32_e32 v45, v44
	v_and_b32_e32 v46, 31, v46
	v_min_u32_e32 v45, 32, v45
	v_cmp_eq_u32_e32 vcc_lo, 0, v46
	v_subrev_nc_u32_e32 v47, 29, v45
	v_sub_nc_u32_e32 v45, 30, v45
	v_lshlrev_b32_e32 v47, v47, v43
	v_lshlrev_b32_e32 v43, 24, v43
	v_cndmask_b32_e32 v45, v46, v45, vcc_lo
	v_and_b32_e32 v47, 3, v47
	v_and_b32_e32 v43, 0x80000000, v43
	v_lshl_add_u32 v45, v45, 23, 0x37800000
	v_cndmask_b32_e32 v44, v44, v47, vcc_lo
	v_lshlrev_b32_e32 v44, 21, v44
	v_or3_b32 v44, v43, v45, v44
.LBB4_5526:                             ;   in Loop: Header=BB4_5289 Depth=2
	s_or_b32 exec_lo, exec_lo, s29
	s_waitcnt vmcnt(9) lgkmcnt(9)
	v_cmp_gt_i16_sdwa s29, v118, v100 src0_sel:BYTE_0 src1_sel:DWORD
	s_mov_b32 s12, 0
	s_and_saveexec_b32 s40, s29
	s_xor_b32 s29, exec_lo, s40
	s_cbranch_execz .LBB4_5917
; %bb.5527:                             ;   in Loop: Header=BB4_5289 Depth=2
	v_cmp_eq_u16_sdwa s41, v118, v101 src0_sel:BYTE_0 src1_sel:DWORD
	s_mov_b32 s12, -1
	s_and_saveexec_b32 s40, s41
; %bb.5528:                             ;   in Loop: Header=BB4_5289 Depth=2
	s_xor_b32 s12, exec_lo, -1
; %bb.5529:                             ;   in Loop: Header=BB4_5289 Depth=2
	s_or_b32 exec_lo, exec_lo, s40
	s_and_b32 s12, s12, exec_lo
	s_or_saveexec_b32 s29, s29
	v_mov_b32_e32 v43, 0x7f800001
	s_xor_b32 exec_lo, exec_lo, s29
	s_cbranch_execnz .LBB4_5918
.LBB4_5530:                             ;   in Loop: Header=BB4_5289 Depth=2
	s_or_b32 exec_lo, exec_lo, s29
	s_and_saveexec_b32 s29, s12
	s_cbranch_execz .LBB4_5532
.LBB4_5531:                             ;   in Loop: Header=BB4_5289 Depth=2
	v_and_b32_e32 v43, 3, v118
	v_lshrrev_b16 v46, 2, v118
	v_ffbh_u32_e32 v45, v43
	v_and_b32_e32 v46, 31, v46
	v_min_u32_e32 v45, 32, v45
	v_cmp_eq_u32_e32 vcc_lo, 0, v46
	v_subrev_nc_u32_e32 v47, 29, v45
	v_sub_nc_u32_e32 v45, 30, v45
	v_lshlrev_b32_e32 v47, v47, v118
	v_lshlrev_b32_e32 v118, 24, v118
	v_cndmask_b32_e32 v45, v46, v45, vcc_lo
	v_and_b32_e32 v47, 3, v47
	v_and_b32_e32 v118, 0x80000000, v118
	v_lshl_add_u32 v45, v45, 23, 0x37800000
	v_cndmask_b32_e32 v43, v43, v47, vcc_lo
	v_lshlrev_b32_e32 v43, 21, v43
	v_or3_b32 v43, v118, v45, v43
.LBB4_5532:                             ;   in Loop: Header=BB4_5289 Depth=2
	s_or_b32 exec_lo, exec_lo, s29
	v_max_f32_e32 v118, v43, v43
	v_max_f32_e32 v43, v44, v44
	v_min_f32_e32 v44, v43, v118
.LBB4_5533:                             ;   in Loop: Header=BB4_5289 Depth=2
	s_waitcnt vmcnt(9) lgkmcnt(9)
	v_and_b32_e32 v118, 0x7f800000, v44
	v_cmp_ne_u32_e32 vcc_lo, 0x7f800000, v118
	v_mov_b32_e32 v118, 0x80
	s_and_saveexec_b32 s29, vcc_lo
	s_cbranch_execz .LBB4_5541
; %bb.5534:                             ;   in Loop: Header=BB4_5289 Depth=2
	v_mov_b32_e32 v118, 0
	s_mov_b32 s40, exec_lo
	v_cmpx_ne_u32_e32 0, v44
	s_cbranch_execz .LBB4_5540
; %bb.5535:                             ;   in Loop: Header=BB4_5289 Depth=2
	v_bfe_u32 v118, v44, 23, 8
	v_and_b32_e32 v43, 0x7fffff, v44
	v_sub_nc_u32_e32 v45, 0x70, v118
	v_cmp_gt_u32_e32 vcc_lo, 0x71, v118
	v_or_b32_e32 v46, 0x800000, v43
	v_cndmask_b32_e32 v45, 0, v45, vcc_lo
	v_cmp_eq_u32_e32 vcc_lo, 0, v118
	v_add_nc_u32_e32 v118, 0xffffff91, v118
	v_cndmask_b32_e64 v45, v45, 0x6f, vcc_lo
	v_cndmask_b32_e32 v43, v46, v43, vcc_lo
	v_cndmask_b32_e64 v118, v118, 0xffffff92, vcc_lo
	v_lshl_add_u32 v46, 0x200000, v45, -1
	v_lshrrev_b32_e32 v47, v45, v43
	v_lshlrev_b32_e64 v57, v45, 0x100000
	v_add_nc_u32_e32 v45, v45, v118
	v_and_b32_e32 v43, v46, v43
	v_bfe_u32 v56, v47, 21, 1
	v_cmp_eq_u32_e64 s12, v43, v57
	v_add_nc_u32_e32 v46, -1, v56
	v_cndmask_b32_e64 v43, 0, v46, s12
	v_lshrrev_b32_e32 v46, 23, v47
	s_mov_b32 s12, exec_lo
	v_add_nc_u32_e32 v43, v43, v47
	v_xor_b32_e32 v46, 1, v46
	v_and_b32_e32 v118, 0x1fffff, v43
	v_add_nc_u32_e32 v43, v118, v47
                                        ; implicit-def: $vgpr118
	v_cmpx_ne_u32_e64 v45, v46
	s_xor_b32 s12, exec_lo, s12
; %bb.5536:                             ;   in Loop: Header=BB4_5289 Depth=2
	v_cmp_lt_u32_e32 vcc_lo, 0xffffff, v43
	v_sub_nc_u32_e32 v118, v45, v46
	v_cndmask_b32_e64 v45, 0, 1, vcc_lo
	v_add_co_ci_u32_e64 v118, null, 0, v118, vcc_lo
	v_lshrrev_b32_e32 v43, v45, v43
; %bb.5537:                             ;   in Loop: Header=BB4_5289 Depth=2
	s_andn2_saveexec_b32 s12, s12
; %bb.5538:                             ;   in Loop: Header=BB4_5289 Depth=2
	v_bfe_u32 v118, v43, 23, 1
; %bb.5539:                             ;   in Loop: Header=BB4_5289 Depth=2
	s_or_b32 exec_lo, exec_lo, s12
	v_lshrrev_b32_e32 v43, 21, v43
	v_cmp_gt_i32_e32 vcc_lo, 32, v118
	v_min_i32_e32 v45, 31, v118
	v_and_b32_sdwa v44, v44, v101 dst_sel:DWORD dst_unused:UNUSED_PAD src0_sel:BYTE_3 src1_sel:DWORD
	v_cndmask_b32_e32 v43, 3, v43, vcc_lo
	v_lshlrev_b32_e32 v45, 2, v45
	v_and_b32_e32 v46, 3, v43
	v_or_b32_e32 v118, v118, v43
	v_or3_b32 v43, v45, v44, v46
	v_cmp_ne_u32_e32 vcc_lo, 0, v118
	v_cndmask_b32_e32 v118, 0, v43, vcc_lo
.LBB4_5540:                             ;   in Loop: Header=BB4_5289 Depth=2
	s_or_b32 exec_lo, exec_lo, s40
.LBB4_5541:                             ;   in Loop: Header=BB4_5289 Depth=2
	s_or_b32 exec_lo, exec_lo, s29
	v_cmp_gt_i16_sdwa s29, v42, v100 src0_sel:BYTE_0 src1_sel:DWORD
	s_andn2_b32 vcc_lo, exec_lo, s27
	s_mov_b32 s12, -1
                                        ; implicit-def: $vgpr43
	s_cbranch_vccnz .LBB4_5555
; %bb.5542:                             ;   in Loop: Header=BB4_5289 Depth=2
	s_mov_b32 s12, 0
	s_and_saveexec_b32 s40, s29
	s_xor_b32 s29, exec_lo, s40
	s_cbranch_execz .LBB4_5919
; %bb.5543:                             ;   in Loop: Header=BB4_5289 Depth=2
	v_cmp_eq_u16_sdwa s41, v42, v101 src0_sel:BYTE_0 src1_sel:DWORD
	s_mov_b32 s12, -1
	s_and_saveexec_b32 s40, s41
; %bb.5544:                             ;   in Loop: Header=BB4_5289 Depth=2
	s_xor_b32 s12, exec_lo, -1
; %bb.5545:                             ;   in Loop: Header=BB4_5289 Depth=2
	s_or_b32 exec_lo, exec_lo, s40
	s_and_b32 s12, s12, exec_lo
	s_or_saveexec_b32 s29, s29
	v_mov_b32_e32 v43, 0x7f800001
	s_xor_b32 exec_lo, exec_lo, s29
	s_cbranch_execnz .LBB4_5920
.LBB4_5546:                             ;   in Loop: Header=BB4_5289 Depth=2
	s_or_b32 exec_lo, exec_lo, s29
	s_and_saveexec_b32 s29, s12
	s_cbranch_execz .LBB4_5548
.LBB4_5547:                             ;   in Loop: Header=BB4_5289 Depth=2
	v_and_b32_e32 v43, 3, v42
	v_lshrrev_b16 v45, 2, v42
	v_lshlrev_b32_e32 v47, 24, v42
	v_ffbh_u32_e32 v44, v43
	v_and_b32_e32 v45, 31, v45
	v_min_u32_e32 v44, 32, v44
	v_cmp_eq_u32_e32 vcc_lo, 0, v45
	v_subrev_nc_u32_e32 v46, 29, v44
	v_sub_nc_u32_e32 v44, 30, v44
	v_lshlrev_b32_e32 v46, v46, v42
	v_cndmask_b32_e32 v44, v45, v44, vcc_lo
	v_and_b32_e32 v45, 0x80000000, v47
	v_and_b32_e32 v46, 3, v46
	v_lshl_add_u32 v44, v44, 23, 0x37800000
	v_cndmask_b32_e32 v43, v43, v46, vcc_lo
	v_lshlrev_b32_e32 v43, 21, v43
	v_or3_b32 v43, v45, v44, v43
.LBB4_5548:                             ;   in Loop: Header=BB4_5289 Depth=2
	s_or_b32 exec_lo, exec_lo, s29
	s_waitcnt vmcnt(8) lgkmcnt(8)
	v_cmp_gt_i16_sdwa s29, v41, v100 src0_sel:BYTE_0 src1_sel:DWORD
	s_mov_b32 s12, 0
	s_and_saveexec_b32 s40, s29
	s_xor_b32 s29, exec_lo, s40
	s_cbranch_execz .LBB4_5921
; %bb.5549:                             ;   in Loop: Header=BB4_5289 Depth=2
	v_cmp_eq_u16_sdwa s41, v41, v101 src0_sel:BYTE_0 src1_sel:DWORD
	s_mov_b32 s12, -1
	s_and_saveexec_b32 s40, s41
; %bb.5550:                             ;   in Loop: Header=BB4_5289 Depth=2
	s_xor_b32 s12, exec_lo, -1
; %bb.5551:                             ;   in Loop: Header=BB4_5289 Depth=2
	s_or_b32 exec_lo, exec_lo, s40
	s_and_b32 s12, s12, exec_lo
	s_or_saveexec_b32 s29, s29
	v_mov_b32_e32 v44, 0x7f800001
	s_xor_b32 exec_lo, exec_lo, s29
	s_cbranch_execnz .LBB4_5922
.LBB4_5552:                             ;   in Loop: Header=BB4_5289 Depth=2
	s_or_b32 exec_lo, exec_lo, s29
	s_and_saveexec_b32 s29, s12
	s_cbranch_execz .LBB4_5554
.LBB4_5553:                             ;   in Loop: Header=BB4_5289 Depth=2
	v_and_b32_e32 v44, 3, v41
	v_lshrrev_b16 v46, 2, v41
	v_lshlrev_b32_e32 v56, 24, v41
	v_ffbh_u32_e32 v45, v44
	v_and_b32_e32 v46, 31, v46
	v_min_u32_e32 v45, 32, v45
	v_cmp_eq_u32_e32 vcc_lo, 0, v46
	v_subrev_nc_u32_e32 v47, 29, v45
	v_sub_nc_u32_e32 v45, 30, v45
	v_lshlrev_b32_e32 v47, v47, v41
	v_cndmask_b32_e32 v45, v46, v45, vcc_lo
	v_and_b32_e32 v46, 0x80000000, v56
	v_and_b32_e32 v47, 3, v47
	v_lshl_add_u32 v45, v45, 23, 0x37800000
	v_cndmask_b32_e32 v44, v44, v47, vcc_lo
	v_lshlrev_b32_e32 v44, 21, v44
	v_or3_b32 v44, v46, v45, v44
.LBB4_5554:                             ;   in Loop: Header=BB4_5289 Depth=2
	s_or_b32 exec_lo, exec_lo, s29
	v_max_f32_e32 v44, v44, v44
	v_max_f32_e32 v43, v43, v43
	s_mov_b32 s12, 0
	v_max_f32_e32 v43, v43, v44
.LBB4_5555:                             ;   in Loop: Header=BB4_5289 Depth=2
	s_and_b32 vcc_lo, exec_lo, s12
	s_cbranch_vccz .LBB4_5569
; %bb.5556:                             ;   in Loop: Header=BB4_5289 Depth=2
	v_cmp_gt_i16_sdwa s29, v42, v100 src0_sel:BYTE_0 src1_sel:DWORD
	s_mov_b32 s12, 0
	s_and_saveexec_b32 s40, s29
	s_xor_b32 s29, exec_lo, s40
	s_cbranch_execz .LBB4_5923
; %bb.5557:                             ;   in Loop: Header=BB4_5289 Depth=2
	v_cmp_eq_u16_sdwa s41, v42, v101 src0_sel:BYTE_0 src1_sel:DWORD
	s_mov_b32 s12, -1
	s_and_saveexec_b32 s40, s41
; %bb.5558:                             ;   in Loop: Header=BB4_5289 Depth=2
	s_xor_b32 s12, exec_lo, -1
; %bb.5559:                             ;   in Loop: Header=BB4_5289 Depth=2
	s_or_b32 exec_lo, exec_lo, s40
	s_and_b32 s12, s12, exec_lo
	s_or_saveexec_b32 s29, s29
	v_mov_b32_e32 v43, 0x7f800001
	s_xor_b32 exec_lo, exec_lo, s29
	s_cbranch_execnz .LBB4_5924
.LBB4_5560:                             ;   in Loop: Header=BB4_5289 Depth=2
	s_or_b32 exec_lo, exec_lo, s29
	s_and_saveexec_b32 s29, s12
	s_cbranch_execz .LBB4_5562
.LBB4_5561:                             ;   in Loop: Header=BB4_5289 Depth=2
	v_and_b32_e32 v43, 3, v42
	v_lshrrev_b16 v45, 2, v42
	v_ffbh_u32_e32 v44, v43
	v_and_b32_e32 v45, 31, v45
	v_min_u32_e32 v44, 32, v44
	v_cmp_eq_u32_e32 vcc_lo, 0, v45
	v_subrev_nc_u32_e32 v46, 29, v44
	v_sub_nc_u32_e32 v44, 30, v44
	v_lshlrev_b32_e32 v46, v46, v42
	v_lshlrev_b32_e32 v42, 24, v42
	v_cndmask_b32_e32 v44, v45, v44, vcc_lo
	v_and_b32_e32 v46, 3, v46
	v_and_b32_e32 v42, 0x80000000, v42
	v_lshl_add_u32 v44, v44, 23, 0x37800000
	v_cndmask_b32_e32 v43, v43, v46, vcc_lo
	v_lshlrev_b32_e32 v43, 21, v43
	v_or3_b32 v43, v42, v44, v43
.LBB4_5562:                             ;   in Loop: Header=BB4_5289 Depth=2
	s_or_b32 exec_lo, exec_lo, s29
	s_waitcnt vmcnt(8) lgkmcnt(8)
	v_cmp_gt_i16_sdwa s29, v41, v100 src0_sel:BYTE_0 src1_sel:DWORD
	s_mov_b32 s12, 0
	s_and_saveexec_b32 s40, s29
	s_xor_b32 s29, exec_lo, s40
	s_cbranch_execz .LBB4_5925
; %bb.5563:                             ;   in Loop: Header=BB4_5289 Depth=2
	v_cmp_eq_u16_sdwa s41, v41, v101 src0_sel:BYTE_0 src1_sel:DWORD
	s_mov_b32 s12, -1
	s_and_saveexec_b32 s40, s41
; %bb.5564:                             ;   in Loop: Header=BB4_5289 Depth=2
	s_xor_b32 s12, exec_lo, -1
; %bb.5565:                             ;   in Loop: Header=BB4_5289 Depth=2
	s_or_b32 exec_lo, exec_lo, s40
	s_and_b32 s12, s12, exec_lo
	s_or_saveexec_b32 s29, s29
	v_mov_b32_e32 v42, 0x7f800001
	s_xor_b32 exec_lo, exec_lo, s29
	s_cbranch_execnz .LBB4_5926
.LBB4_5566:                             ;   in Loop: Header=BB4_5289 Depth=2
	s_or_b32 exec_lo, exec_lo, s29
	s_and_saveexec_b32 s29, s12
	s_cbranch_execz .LBB4_5568
.LBB4_5567:                             ;   in Loop: Header=BB4_5289 Depth=2
	v_and_b32_e32 v42, 3, v41
	v_lshrrev_b16 v45, 2, v41
	v_ffbh_u32_e32 v44, v42
	v_and_b32_e32 v45, 31, v45
	v_min_u32_e32 v44, 32, v44
	v_cmp_eq_u32_e32 vcc_lo, 0, v45
	v_subrev_nc_u32_e32 v46, 29, v44
	v_sub_nc_u32_e32 v44, 30, v44
	v_lshlrev_b32_e32 v46, v46, v41
	v_lshlrev_b32_e32 v41, 24, v41
	v_cndmask_b32_e32 v44, v45, v44, vcc_lo
	v_and_b32_e32 v46, 3, v46
	v_and_b32_e32 v41, 0x80000000, v41
	v_lshl_add_u32 v44, v44, 23, 0x37800000
	v_cndmask_b32_e32 v42, v42, v46, vcc_lo
	v_lshlrev_b32_e32 v42, 21, v42
	v_or3_b32 v42, v41, v44, v42
.LBB4_5568:                             ;   in Loop: Header=BB4_5289 Depth=2
	s_or_b32 exec_lo, exec_lo, s29
	v_max_f32_e32 v41, v42, v42
	v_max_f32_e32 v42, v43, v43
	v_min_f32_e32 v43, v42, v41
.LBB4_5569:                             ;   in Loop: Header=BB4_5289 Depth=2
	s_waitcnt vmcnt(8) lgkmcnt(8)
	v_and_b32_e32 v41, 0x7f800000, v43
	v_cmp_ne_u32_e32 vcc_lo, 0x7f800000, v41
	v_mov_b32_e32 v41, 0x80
	s_and_saveexec_b32 s29, vcc_lo
	s_cbranch_execz .LBB4_5577
; %bb.5570:                             ;   in Loop: Header=BB4_5289 Depth=2
	v_mov_b32_e32 v41, 0
	s_mov_b32 s40, exec_lo
	v_cmpx_ne_u32_e32 0, v43
	s_cbranch_execz .LBB4_5576
; %bb.5571:                             ;   in Loop: Header=BB4_5289 Depth=2
	v_bfe_u32 v41, v43, 23, 8
	v_and_b32_e32 v42, 0x7fffff, v43
	v_sub_nc_u32_e32 v44, 0x70, v41
	v_cmp_gt_u32_e32 vcc_lo, 0x71, v41
	v_or_b32_e32 v45, 0x800000, v42
	v_cndmask_b32_e32 v44, 0, v44, vcc_lo
	v_cmp_eq_u32_e32 vcc_lo, 0, v41
	v_add_nc_u32_e32 v41, 0xffffff91, v41
	v_cndmask_b32_e64 v44, v44, 0x6f, vcc_lo
	v_cndmask_b32_e32 v42, v45, v42, vcc_lo
	v_cndmask_b32_e64 v41, v41, 0xffffff92, vcc_lo
	v_lshl_add_u32 v45, 0x200000, v44, -1
	v_lshrrev_b32_e32 v46, v44, v42
	v_lshlrev_b32_e64 v56, v44, 0x100000
	v_add_nc_u32_e32 v44, v44, v41
	v_and_b32_e32 v42, v45, v42
	v_bfe_u32 v47, v46, 21, 1
	v_cmp_eq_u32_e64 s12, v42, v56
	v_add_nc_u32_e32 v45, -1, v47
	v_cndmask_b32_e64 v42, 0, v45, s12
	v_lshrrev_b32_e32 v45, 23, v46
	s_mov_b32 s12, exec_lo
	v_add_nc_u32_e32 v42, v42, v46
	v_xor_b32_e32 v45, 1, v45
	v_and_b32_e32 v41, 0x1fffff, v42
	v_add_nc_u32_e32 v42, v41, v46
                                        ; implicit-def: $vgpr41
	v_cmpx_ne_u32_e64 v44, v45
	s_xor_b32 s12, exec_lo, s12
; %bb.5572:                             ;   in Loop: Header=BB4_5289 Depth=2
	v_cmp_lt_u32_e32 vcc_lo, 0xffffff, v42
	v_sub_nc_u32_e32 v41, v44, v45
	v_cndmask_b32_e64 v44, 0, 1, vcc_lo
	v_add_co_ci_u32_e64 v41, null, 0, v41, vcc_lo
	v_lshrrev_b32_e32 v42, v44, v42
; %bb.5573:                             ;   in Loop: Header=BB4_5289 Depth=2
	s_andn2_saveexec_b32 s12, s12
; %bb.5574:                             ;   in Loop: Header=BB4_5289 Depth=2
	v_bfe_u32 v41, v42, 23, 1
; %bb.5575:                             ;   in Loop: Header=BB4_5289 Depth=2
	s_or_b32 exec_lo, exec_lo, s12
	v_lshrrev_b32_e32 v42, 21, v42
	v_cmp_gt_i32_e32 vcc_lo, 32, v41
	v_min_i32_e32 v44, 31, v41
	v_and_b32_sdwa v43, v43, v101 dst_sel:DWORD dst_unused:UNUSED_PAD src0_sel:BYTE_3 src1_sel:DWORD
	v_cndmask_b32_e32 v42, 3, v42, vcc_lo
	v_lshlrev_b32_e32 v44, 2, v44
	v_and_b32_e32 v45, 3, v42
	v_or_b32_e32 v41, v41, v42
	v_or3_b32 v42, v44, v43, v45
	v_cmp_ne_u32_e32 vcc_lo, 0, v41
	v_cndmask_b32_e32 v41, 0, v42, vcc_lo
.LBB4_5576:                             ;   in Loop: Header=BB4_5289 Depth=2
	s_or_b32 exec_lo, exec_lo, s40
.LBB4_5577:                             ;   in Loop: Header=BB4_5289 Depth=2
	s_or_b32 exec_lo, exec_lo, s29
	v_cmp_gt_i16_sdwa s29, v40, v100 src0_sel:BYTE_0 src1_sel:DWORD
	s_andn2_b32 vcc_lo, exec_lo, s27
	s_mov_b32 s12, -1
                                        ; implicit-def: $vgpr42
	s_cbranch_vccnz .LBB4_5591
; %bb.5578:                             ;   in Loop: Header=BB4_5289 Depth=2
	s_mov_b32 s12, 0
	s_and_saveexec_b32 s40, s29
	s_xor_b32 s29, exec_lo, s40
	s_cbranch_execz .LBB4_5927
; %bb.5579:                             ;   in Loop: Header=BB4_5289 Depth=2
	v_cmp_eq_u16_sdwa s41, v40, v101 src0_sel:BYTE_0 src1_sel:DWORD
	s_mov_b32 s12, -1
	s_and_saveexec_b32 s40, s41
; %bb.5580:                             ;   in Loop: Header=BB4_5289 Depth=2
	s_xor_b32 s12, exec_lo, -1
; %bb.5581:                             ;   in Loop: Header=BB4_5289 Depth=2
	s_or_b32 exec_lo, exec_lo, s40
	s_and_b32 s12, s12, exec_lo
	s_or_saveexec_b32 s29, s29
	v_mov_b32_e32 v42, 0x7f800001
	s_xor_b32 exec_lo, exec_lo, s29
	s_cbranch_execnz .LBB4_5928
.LBB4_5582:                             ;   in Loop: Header=BB4_5289 Depth=2
	s_or_b32 exec_lo, exec_lo, s29
	s_and_saveexec_b32 s29, s12
	s_cbranch_execz .LBB4_5584
.LBB4_5583:                             ;   in Loop: Header=BB4_5289 Depth=2
	v_and_b32_e32 v42, 3, v40
	v_lshrrev_b16 v44, 2, v40
	v_lshlrev_b32_e32 v46, 24, v40
	v_ffbh_u32_e32 v43, v42
	v_and_b32_e32 v44, 31, v44
	v_min_u32_e32 v43, 32, v43
	v_cmp_eq_u32_e32 vcc_lo, 0, v44
	v_subrev_nc_u32_e32 v45, 29, v43
	v_sub_nc_u32_e32 v43, 30, v43
	v_lshlrev_b32_e32 v45, v45, v40
	v_cndmask_b32_e32 v43, v44, v43, vcc_lo
	v_and_b32_e32 v44, 0x80000000, v46
	v_and_b32_e32 v45, 3, v45
	v_lshl_add_u32 v43, v43, 23, 0x37800000
	v_cndmask_b32_e32 v42, v42, v45, vcc_lo
	v_lshlrev_b32_e32 v42, 21, v42
	v_or3_b32 v42, v44, v43, v42
.LBB4_5584:                             ;   in Loop: Header=BB4_5289 Depth=2
	s_or_b32 exec_lo, exec_lo, s29
	s_waitcnt vmcnt(7) lgkmcnt(7)
	v_cmp_gt_i16_sdwa s29, v119, v100 src0_sel:BYTE_0 src1_sel:DWORD
	s_mov_b32 s12, 0
	s_and_saveexec_b32 s40, s29
	s_xor_b32 s29, exec_lo, s40
	s_cbranch_execz .LBB4_5929
; %bb.5585:                             ;   in Loop: Header=BB4_5289 Depth=2
	v_cmp_eq_u16_sdwa s41, v119, v101 src0_sel:BYTE_0 src1_sel:DWORD
	s_mov_b32 s12, -1
	s_and_saveexec_b32 s40, s41
; %bb.5586:                             ;   in Loop: Header=BB4_5289 Depth=2
	s_xor_b32 s12, exec_lo, -1
; %bb.5587:                             ;   in Loop: Header=BB4_5289 Depth=2
	s_or_b32 exec_lo, exec_lo, s40
	s_and_b32 s12, s12, exec_lo
	s_or_saveexec_b32 s29, s29
	v_mov_b32_e32 v43, 0x7f800001
	s_xor_b32 exec_lo, exec_lo, s29
	s_cbranch_execnz .LBB4_5930
.LBB4_5588:                             ;   in Loop: Header=BB4_5289 Depth=2
	s_or_b32 exec_lo, exec_lo, s29
	s_and_saveexec_b32 s29, s12
	s_cbranch_execz .LBB4_5590
.LBB4_5589:                             ;   in Loop: Header=BB4_5289 Depth=2
	v_and_b32_e32 v43, 3, v119
	v_lshrrev_b16 v45, 2, v119
	v_lshlrev_b32_e32 v47, 24, v119
	v_ffbh_u32_e32 v44, v43
	v_and_b32_e32 v45, 31, v45
	v_min_u32_e32 v44, 32, v44
	v_cmp_eq_u32_e32 vcc_lo, 0, v45
	v_subrev_nc_u32_e32 v46, 29, v44
	v_sub_nc_u32_e32 v44, 30, v44
	v_lshlrev_b32_e32 v46, v46, v119
	v_cndmask_b32_e32 v44, v45, v44, vcc_lo
	v_and_b32_e32 v45, 0x80000000, v47
	v_and_b32_e32 v46, 3, v46
	v_lshl_add_u32 v44, v44, 23, 0x37800000
	v_cndmask_b32_e32 v43, v43, v46, vcc_lo
	v_lshlrev_b32_e32 v43, 21, v43
	v_or3_b32 v43, v45, v44, v43
.LBB4_5590:                             ;   in Loop: Header=BB4_5289 Depth=2
	s_or_b32 exec_lo, exec_lo, s29
	v_max_f32_e32 v43, v43, v43
	v_max_f32_e32 v42, v42, v42
	s_mov_b32 s12, 0
	v_max_f32_e32 v42, v42, v43
.LBB4_5591:                             ;   in Loop: Header=BB4_5289 Depth=2
	s_and_b32 vcc_lo, exec_lo, s12
	s_cbranch_vccz .LBB4_5605
; %bb.5592:                             ;   in Loop: Header=BB4_5289 Depth=2
	v_cmp_gt_i16_sdwa s29, v40, v100 src0_sel:BYTE_0 src1_sel:DWORD
	s_mov_b32 s12, 0
	s_and_saveexec_b32 s40, s29
	s_xor_b32 s29, exec_lo, s40
	s_cbranch_execz .LBB4_5931
; %bb.5593:                             ;   in Loop: Header=BB4_5289 Depth=2
	v_cmp_eq_u16_sdwa s41, v40, v101 src0_sel:BYTE_0 src1_sel:DWORD
	s_mov_b32 s12, -1
	s_and_saveexec_b32 s40, s41
; %bb.5594:                             ;   in Loop: Header=BB4_5289 Depth=2
	s_xor_b32 s12, exec_lo, -1
; %bb.5595:                             ;   in Loop: Header=BB4_5289 Depth=2
	s_or_b32 exec_lo, exec_lo, s40
	s_and_b32 s12, s12, exec_lo
	s_or_saveexec_b32 s29, s29
	v_mov_b32_e32 v42, 0x7f800001
	s_xor_b32 exec_lo, exec_lo, s29
	s_cbranch_execnz .LBB4_5932
.LBB4_5596:                             ;   in Loop: Header=BB4_5289 Depth=2
	s_or_b32 exec_lo, exec_lo, s29
	s_and_saveexec_b32 s29, s12
	s_cbranch_execz .LBB4_5598
.LBB4_5597:                             ;   in Loop: Header=BB4_5289 Depth=2
	v_and_b32_e32 v42, 3, v40
	v_lshrrev_b16 v44, 2, v40
	v_ffbh_u32_e32 v43, v42
	v_and_b32_e32 v44, 31, v44
	v_min_u32_e32 v43, 32, v43
	v_cmp_eq_u32_e32 vcc_lo, 0, v44
	v_subrev_nc_u32_e32 v45, 29, v43
	v_sub_nc_u32_e32 v43, 30, v43
	v_lshlrev_b32_e32 v45, v45, v40
	v_lshlrev_b32_e32 v40, 24, v40
	v_cndmask_b32_e32 v43, v44, v43, vcc_lo
	v_and_b32_e32 v45, 3, v45
	v_and_b32_e32 v40, 0x80000000, v40
	v_lshl_add_u32 v43, v43, 23, 0x37800000
	v_cndmask_b32_e32 v42, v42, v45, vcc_lo
	v_lshlrev_b32_e32 v42, 21, v42
	v_or3_b32 v42, v40, v43, v42
.LBB4_5598:                             ;   in Loop: Header=BB4_5289 Depth=2
	s_or_b32 exec_lo, exec_lo, s29
	s_waitcnt vmcnt(7) lgkmcnt(7)
	v_cmp_gt_i16_sdwa s29, v119, v100 src0_sel:BYTE_0 src1_sel:DWORD
	s_mov_b32 s12, 0
	s_and_saveexec_b32 s40, s29
	s_xor_b32 s29, exec_lo, s40
	s_cbranch_execz .LBB4_5933
; %bb.5599:                             ;   in Loop: Header=BB4_5289 Depth=2
	v_cmp_eq_u16_sdwa s41, v119, v101 src0_sel:BYTE_0 src1_sel:DWORD
	s_mov_b32 s12, -1
	s_and_saveexec_b32 s40, s41
; %bb.5600:                             ;   in Loop: Header=BB4_5289 Depth=2
	s_xor_b32 s12, exec_lo, -1
; %bb.5601:                             ;   in Loop: Header=BB4_5289 Depth=2
	s_or_b32 exec_lo, exec_lo, s40
	s_and_b32 s12, s12, exec_lo
	s_or_saveexec_b32 s29, s29
	v_mov_b32_e32 v40, 0x7f800001
	s_xor_b32 exec_lo, exec_lo, s29
	s_cbranch_execnz .LBB4_5934
.LBB4_5602:                             ;   in Loop: Header=BB4_5289 Depth=2
	s_or_b32 exec_lo, exec_lo, s29
	s_and_saveexec_b32 s29, s12
	s_cbranch_execz .LBB4_5604
.LBB4_5603:                             ;   in Loop: Header=BB4_5289 Depth=2
	v_and_b32_e32 v40, 3, v119
	v_lshrrev_b16 v44, 2, v119
	v_ffbh_u32_e32 v43, v40
	v_and_b32_e32 v44, 31, v44
	v_min_u32_e32 v43, 32, v43
	v_cmp_eq_u32_e32 vcc_lo, 0, v44
	v_subrev_nc_u32_e32 v45, 29, v43
	v_sub_nc_u32_e32 v43, 30, v43
	v_lshlrev_b32_e32 v45, v45, v119
	v_lshlrev_b32_e32 v119, 24, v119
	v_cndmask_b32_e32 v43, v44, v43, vcc_lo
	v_and_b32_e32 v45, 3, v45
	v_and_b32_e32 v119, 0x80000000, v119
	v_lshl_add_u32 v43, v43, 23, 0x37800000
	v_cndmask_b32_e32 v40, v40, v45, vcc_lo
	v_lshlrev_b32_e32 v40, 21, v40
	v_or3_b32 v40, v119, v43, v40
.LBB4_5604:                             ;   in Loop: Header=BB4_5289 Depth=2
	s_or_b32 exec_lo, exec_lo, s29
	v_max_f32_e32 v119, v40, v40
	v_max_f32_e32 v40, v42, v42
	v_min_f32_e32 v42, v40, v119
.LBB4_5605:                             ;   in Loop: Header=BB4_5289 Depth=2
	s_waitcnt vmcnt(7) lgkmcnt(7)
	v_and_b32_e32 v119, 0x7f800000, v42
	v_cmp_ne_u32_e32 vcc_lo, 0x7f800000, v119
	v_mov_b32_e32 v119, 0x80
	s_and_saveexec_b32 s29, vcc_lo
	s_cbranch_execz .LBB4_5613
; %bb.5606:                             ;   in Loop: Header=BB4_5289 Depth=2
	v_mov_b32_e32 v119, 0
	s_mov_b32 s40, exec_lo
	v_cmpx_ne_u32_e32 0, v42
	s_cbranch_execz .LBB4_5612
; %bb.5607:                             ;   in Loop: Header=BB4_5289 Depth=2
	v_bfe_u32 v119, v42, 23, 8
	v_and_b32_e32 v40, 0x7fffff, v42
	v_sub_nc_u32_e32 v43, 0x70, v119
	v_cmp_gt_u32_e32 vcc_lo, 0x71, v119
	v_or_b32_e32 v44, 0x800000, v40
	v_cndmask_b32_e32 v43, 0, v43, vcc_lo
	v_cmp_eq_u32_e32 vcc_lo, 0, v119
	v_add_nc_u32_e32 v119, 0xffffff91, v119
	v_cndmask_b32_e64 v43, v43, 0x6f, vcc_lo
	v_cndmask_b32_e32 v40, v44, v40, vcc_lo
	v_cndmask_b32_e64 v119, v119, 0xffffff92, vcc_lo
	v_lshl_add_u32 v44, 0x200000, v43, -1
	v_lshrrev_b32_e32 v45, v43, v40
	v_lshlrev_b32_e64 v47, v43, 0x100000
	v_add_nc_u32_e32 v43, v43, v119
	v_and_b32_e32 v40, v44, v40
	v_bfe_u32 v46, v45, 21, 1
	v_cmp_eq_u32_e64 s12, v40, v47
	v_add_nc_u32_e32 v44, -1, v46
	v_cndmask_b32_e64 v40, 0, v44, s12
	v_lshrrev_b32_e32 v44, 23, v45
	s_mov_b32 s12, exec_lo
	v_add_nc_u32_e32 v40, v40, v45
	v_xor_b32_e32 v44, 1, v44
	v_and_b32_e32 v119, 0x1fffff, v40
	v_add_nc_u32_e32 v40, v119, v45
                                        ; implicit-def: $vgpr119
	v_cmpx_ne_u32_e64 v43, v44
	s_xor_b32 s12, exec_lo, s12
; %bb.5608:                             ;   in Loop: Header=BB4_5289 Depth=2
	v_cmp_lt_u32_e32 vcc_lo, 0xffffff, v40
	v_sub_nc_u32_e32 v119, v43, v44
	v_cndmask_b32_e64 v43, 0, 1, vcc_lo
	v_add_co_ci_u32_e64 v119, null, 0, v119, vcc_lo
	v_lshrrev_b32_e32 v40, v43, v40
; %bb.5609:                             ;   in Loop: Header=BB4_5289 Depth=2
	s_andn2_saveexec_b32 s12, s12
; %bb.5610:                             ;   in Loop: Header=BB4_5289 Depth=2
	v_bfe_u32 v119, v40, 23, 1
; %bb.5611:                             ;   in Loop: Header=BB4_5289 Depth=2
	s_or_b32 exec_lo, exec_lo, s12
	v_lshrrev_b32_e32 v40, 21, v40
	v_cmp_gt_i32_e32 vcc_lo, 32, v119
	v_min_i32_e32 v43, 31, v119
	v_and_b32_sdwa v42, v42, v101 dst_sel:DWORD dst_unused:UNUSED_PAD src0_sel:BYTE_3 src1_sel:DWORD
	v_cndmask_b32_e32 v40, 3, v40, vcc_lo
	v_lshlrev_b32_e32 v43, 2, v43
	v_and_b32_e32 v44, 3, v40
	v_or_b32_e32 v119, v119, v40
	v_or3_b32 v40, v43, v42, v44
	v_cmp_ne_u32_e32 vcc_lo, 0, v119
	v_cndmask_b32_e32 v119, 0, v40, vcc_lo
.LBB4_5612:                             ;   in Loop: Header=BB4_5289 Depth=2
	s_or_b32 exec_lo, exec_lo, s40
.LBB4_5613:                             ;   in Loop: Header=BB4_5289 Depth=2
	s_or_b32 exec_lo, exec_lo, s29
	v_cmp_gt_i16_sdwa s29, v117, v100 src0_sel:BYTE_0 src1_sel:DWORD
	s_andn2_b32 vcc_lo, exec_lo, s27
	s_mov_b32 s12, -1
                                        ; implicit-def: $vgpr40
	s_cbranch_vccnz .LBB4_5627
; %bb.5614:                             ;   in Loop: Header=BB4_5289 Depth=2
	s_mov_b32 s12, 0
	s_and_saveexec_b32 s40, s29
	s_xor_b32 s29, exec_lo, s40
	s_cbranch_execz .LBB4_5935
; %bb.5615:                             ;   in Loop: Header=BB4_5289 Depth=2
	v_cmp_eq_u16_sdwa s41, v117, v101 src0_sel:BYTE_0 src1_sel:DWORD
	s_mov_b32 s12, -1
	s_and_saveexec_b32 s40, s41
; %bb.5616:                             ;   in Loop: Header=BB4_5289 Depth=2
	s_xor_b32 s12, exec_lo, -1
; %bb.5617:                             ;   in Loop: Header=BB4_5289 Depth=2
	s_or_b32 exec_lo, exec_lo, s40
	s_and_b32 s12, s12, exec_lo
	s_or_saveexec_b32 s29, s29
	v_mov_b32_e32 v40, 0x7f800001
	s_xor_b32 exec_lo, exec_lo, s29
	s_cbranch_execnz .LBB4_5936
.LBB4_5618:                             ;   in Loop: Header=BB4_5289 Depth=2
	s_or_b32 exec_lo, exec_lo, s29
	s_and_saveexec_b32 s29, s12
	s_cbranch_execz .LBB4_5620
.LBB4_5619:                             ;   in Loop: Header=BB4_5289 Depth=2
	v_and_b32_e32 v40, 3, v117
	v_lshrrev_b16 v43, 2, v117
	v_lshlrev_b32_e32 v45, 24, v117
	v_ffbh_u32_e32 v42, v40
	v_and_b32_e32 v43, 31, v43
	v_min_u32_e32 v42, 32, v42
	v_cmp_eq_u32_e32 vcc_lo, 0, v43
	v_subrev_nc_u32_e32 v44, 29, v42
	v_sub_nc_u32_e32 v42, 30, v42
	v_lshlrev_b32_e32 v44, v44, v117
	v_cndmask_b32_e32 v42, v43, v42, vcc_lo
	v_and_b32_e32 v43, 0x80000000, v45
	v_and_b32_e32 v44, 3, v44
	v_lshl_add_u32 v42, v42, 23, 0x37800000
	v_cndmask_b32_e32 v40, v40, v44, vcc_lo
	v_lshlrev_b32_e32 v40, 21, v40
	v_or3_b32 v40, v43, v42, v40
.LBB4_5620:                             ;   in Loop: Header=BB4_5289 Depth=2
	s_or_b32 exec_lo, exec_lo, s29
	s_waitcnt vmcnt(6) lgkmcnt(6)
	v_cmp_gt_i16_sdwa s29, v116, v100 src0_sel:BYTE_0 src1_sel:DWORD
	s_mov_b32 s12, 0
	s_and_saveexec_b32 s40, s29
	s_xor_b32 s29, exec_lo, s40
	s_cbranch_execz .LBB4_5937
; %bb.5621:                             ;   in Loop: Header=BB4_5289 Depth=2
	v_cmp_eq_u16_sdwa s41, v116, v101 src0_sel:BYTE_0 src1_sel:DWORD
	s_mov_b32 s12, -1
	s_and_saveexec_b32 s40, s41
; %bb.5622:                             ;   in Loop: Header=BB4_5289 Depth=2
	s_xor_b32 s12, exec_lo, -1
; %bb.5623:                             ;   in Loop: Header=BB4_5289 Depth=2
	s_or_b32 exec_lo, exec_lo, s40
	s_and_b32 s12, s12, exec_lo
	s_or_saveexec_b32 s29, s29
	v_mov_b32_e32 v42, 0x7f800001
	s_xor_b32 exec_lo, exec_lo, s29
	s_cbranch_execnz .LBB4_5938
.LBB4_5624:                             ;   in Loop: Header=BB4_5289 Depth=2
	s_or_b32 exec_lo, exec_lo, s29
	s_and_saveexec_b32 s29, s12
	s_cbranch_execz .LBB4_5626
.LBB4_5625:                             ;   in Loop: Header=BB4_5289 Depth=2
	v_and_b32_e32 v42, 3, v116
	v_lshrrev_b16 v44, 2, v116
	v_lshlrev_b32_e32 v46, 24, v116
	v_ffbh_u32_e32 v43, v42
	v_and_b32_e32 v44, 31, v44
	v_min_u32_e32 v43, 32, v43
	v_cmp_eq_u32_e32 vcc_lo, 0, v44
	v_subrev_nc_u32_e32 v45, 29, v43
	v_sub_nc_u32_e32 v43, 30, v43
	v_lshlrev_b32_e32 v45, v45, v116
	v_cndmask_b32_e32 v43, v44, v43, vcc_lo
	v_and_b32_e32 v44, 0x80000000, v46
	v_and_b32_e32 v45, 3, v45
	v_lshl_add_u32 v43, v43, 23, 0x37800000
	v_cndmask_b32_e32 v42, v42, v45, vcc_lo
	v_lshlrev_b32_e32 v42, 21, v42
	v_or3_b32 v42, v44, v43, v42
.LBB4_5626:                             ;   in Loop: Header=BB4_5289 Depth=2
	s_or_b32 exec_lo, exec_lo, s29
	v_max_f32_e32 v42, v42, v42
	v_max_f32_e32 v40, v40, v40
	s_mov_b32 s12, 0
	v_max_f32_e32 v40, v40, v42
.LBB4_5627:                             ;   in Loop: Header=BB4_5289 Depth=2
	s_and_b32 vcc_lo, exec_lo, s12
	s_cbranch_vccz .LBB4_5641
; %bb.5628:                             ;   in Loop: Header=BB4_5289 Depth=2
	v_cmp_gt_i16_sdwa s29, v117, v100 src0_sel:BYTE_0 src1_sel:DWORD
	s_mov_b32 s12, 0
	s_and_saveexec_b32 s40, s29
	s_xor_b32 s29, exec_lo, s40
	s_cbranch_execz .LBB4_5939
; %bb.5629:                             ;   in Loop: Header=BB4_5289 Depth=2
	v_cmp_eq_u16_sdwa s41, v117, v101 src0_sel:BYTE_0 src1_sel:DWORD
	s_mov_b32 s12, -1
	s_and_saveexec_b32 s40, s41
; %bb.5630:                             ;   in Loop: Header=BB4_5289 Depth=2
	s_xor_b32 s12, exec_lo, -1
; %bb.5631:                             ;   in Loop: Header=BB4_5289 Depth=2
	s_or_b32 exec_lo, exec_lo, s40
	s_and_b32 s12, s12, exec_lo
	s_or_saveexec_b32 s29, s29
	v_mov_b32_e32 v40, 0x7f800001
	s_xor_b32 exec_lo, exec_lo, s29
	s_cbranch_execnz .LBB4_5940
.LBB4_5632:                             ;   in Loop: Header=BB4_5289 Depth=2
	s_or_b32 exec_lo, exec_lo, s29
	s_and_saveexec_b32 s29, s12
	s_cbranch_execz .LBB4_5634
.LBB4_5633:                             ;   in Loop: Header=BB4_5289 Depth=2
	v_and_b32_e32 v40, 3, v117
	v_lshrrev_b16 v43, 2, v117
	v_ffbh_u32_e32 v42, v40
	v_and_b32_e32 v43, 31, v43
	v_min_u32_e32 v42, 32, v42
	v_cmp_eq_u32_e32 vcc_lo, 0, v43
	v_subrev_nc_u32_e32 v44, 29, v42
	v_sub_nc_u32_e32 v42, 30, v42
	v_lshlrev_b32_e32 v44, v44, v117
	v_lshlrev_b32_e32 v117, 24, v117
	v_cndmask_b32_e32 v42, v43, v42, vcc_lo
	v_and_b32_e32 v44, 3, v44
	v_and_b32_e32 v117, 0x80000000, v117
	v_lshl_add_u32 v42, v42, 23, 0x37800000
	v_cndmask_b32_e32 v40, v40, v44, vcc_lo
	v_lshlrev_b32_e32 v40, 21, v40
	v_or3_b32 v40, v117, v42, v40
.LBB4_5634:                             ;   in Loop: Header=BB4_5289 Depth=2
	s_or_b32 exec_lo, exec_lo, s29
	s_waitcnt vmcnt(6) lgkmcnt(6)
	v_cmp_gt_i16_sdwa s29, v116, v100 src0_sel:BYTE_0 src1_sel:DWORD
	s_mov_b32 s12, 0
	s_and_saveexec_b32 s40, s29
	s_xor_b32 s29, exec_lo, s40
	s_cbranch_execz .LBB4_5941
; %bb.5635:                             ;   in Loop: Header=BB4_5289 Depth=2
	v_cmp_eq_u16_sdwa s41, v116, v101 src0_sel:BYTE_0 src1_sel:DWORD
	s_mov_b32 s12, -1
	s_and_saveexec_b32 s40, s41
; %bb.5636:                             ;   in Loop: Header=BB4_5289 Depth=2
	s_xor_b32 s12, exec_lo, -1
; %bb.5637:                             ;   in Loop: Header=BB4_5289 Depth=2
	s_or_b32 exec_lo, exec_lo, s40
	s_and_b32 s12, s12, exec_lo
	s_or_saveexec_b32 s29, s29
	v_mov_b32_e32 v117, 0x7f800001
	s_xor_b32 exec_lo, exec_lo, s29
	s_cbranch_execnz .LBB4_5942
.LBB4_5638:                             ;   in Loop: Header=BB4_5289 Depth=2
	s_or_b32 exec_lo, exec_lo, s29
	s_and_saveexec_b32 s29, s12
	s_cbranch_execz .LBB4_5640
.LBB4_5639:                             ;   in Loop: Header=BB4_5289 Depth=2
	v_and_b32_e32 v117, 3, v116
	v_lshrrev_b16 v43, 2, v116
	v_ffbh_u32_e32 v42, v117
	v_and_b32_e32 v43, 31, v43
	v_min_u32_e32 v42, 32, v42
	v_cmp_eq_u32_e32 vcc_lo, 0, v43
	v_subrev_nc_u32_e32 v44, 29, v42
	v_sub_nc_u32_e32 v42, 30, v42
	v_lshlrev_b32_e32 v44, v44, v116
	v_lshlrev_b32_e32 v116, 24, v116
	v_cndmask_b32_e32 v42, v43, v42, vcc_lo
	v_and_b32_e32 v44, 3, v44
	v_and_b32_e32 v116, 0x80000000, v116
	v_lshl_add_u32 v42, v42, 23, 0x37800000
	v_cndmask_b32_e32 v117, v117, v44, vcc_lo
	v_lshlrev_b32_e32 v117, 21, v117
	v_or3_b32 v117, v116, v42, v117
.LBB4_5640:                             ;   in Loop: Header=BB4_5289 Depth=2
	s_or_b32 exec_lo, exec_lo, s29
	v_max_f32_e32 v116, v117, v117
	v_max_f32_e32 v117, v40, v40
	v_min_f32_e32 v40, v117, v116
.LBB4_5641:                             ;   in Loop: Header=BB4_5289 Depth=2
	s_waitcnt vmcnt(6) lgkmcnt(6)
	v_and_b32_e32 v116, 0x7f800000, v40
	v_cmp_ne_u32_e32 vcc_lo, 0x7f800000, v116
	v_mov_b32_e32 v116, 0x80
	s_and_saveexec_b32 s29, vcc_lo
	s_cbranch_execz .LBB4_5649
; %bb.5642:                             ;   in Loop: Header=BB4_5289 Depth=2
	v_mov_b32_e32 v116, 0
	s_mov_b32 s40, exec_lo
	v_cmpx_ne_u32_e32 0, v40
	s_cbranch_execz .LBB4_5648
; %bb.5643:                             ;   in Loop: Header=BB4_5289 Depth=2
	v_bfe_u32 v116, v40, 23, 8
	v_and_b32_e32 v117, 0x7fffff, v40
	v_sub_nc_u32_e32 v42, 0x70, v116
	v_cmp_gt_u32_e32 vcc_lo, 0x71, v116
	v_or_b32_e32 v43, 0x800000, v117
	v_cndmask_b32_e32 v42, 0, v42, vcc_lo
	v_cmp_eq_u32_e32 vcc_lo, 0, v116
	v_add_nc_u32_e32 v116, 0xffffff91, v116
	v_cndmask_b32_e64 v42, v42, 0x6f, vcc_lo
	v_cndmask_b32_e32 v117, v43, v117, vcc_lo
	v_cndmask_b32_e64 v116, v116, 0xffffff92, vcc_lo
	v_lshl_add_u32 v43, 0x200000, v42, -1
	v_lshrrev_b32_e32 v44, v42, v117
	v_lshlrev_b32_e64 v46, v42, 0x100000
	v_add_nc_u32_e32 v42, v42, v116
	v_and_b32_e32 v117, v43, v117
	v_bfe_u32 v45, v44, 21, 1
	v_cmp_eq_u32_e64 s12, v117, v46
	v_add_nc_u32_e32 v43, -1, v45
	v_cndmask_b32_e64 v117, 0, v43, s12
	v_lshrrev_b32_e32 v43, 23, v44
	s_mov_b32 s12, exec_lo
	v_add_nc_u32_e32 v117, v117, v44
	v_xor_b32_e32 v43, 1, v43
	v_and_b32_e32 v116, 0x1fffff, v117
	v_add_nc_u32_e32 v117, v116, v44
                                        ; implicit-def: $vgpr116
	v_cmpx_ne_u32_e64 v42, v43
	s_xor_b32 s12, exec_lo, s12
; %bb.5644:                             ;   in Loop: Header=BB4_5289 Depth=2
	v_cmp_lt_u32_e32 vcc_lo, 0xffffff, v117
	v_sub_nc_u32_e32 v116, v42, v43
	v_cndmask_b32_e64 v42, 0, 1, vcc_lo
	v_add_co_ci_u32_e64 v116, null, 0, v116, vcc_lo
	v_lshrrev_b32_e32 v117, v42, v117
; %bb.5645:                             ;   in Loop: Header=BB4_5289 Depth=2
	s_andn2_saveexec_b32 s12, s12
; %bb.5646:                             ;   in Loop: Header=BB4_5289 Depth=2
	v_bfe_u32 v116, v117, 23, 1
; %bb.5647:                             ;   in Loop: Header=BB4_5289 Depth=2
	s_or_b32 exec_lo, exec_lo, s12
	v_lshrrev_b32_e32 v117, 21, v117
	v_cmp_gt_i32_e32 vcc_lo, 32, v116
	v_min_i32_e32 v42, 31, v116
	v_and_b32_sdwa v40, v40, v101 dst_sel:DWORD dst_unused:UNUSED_PAD src0_sel:BYTE_3 src1_sel:DWORD
	v_cndmask_b32_e32 v117, 3, v117, vcc_lo
	v_lshlrev_b32_e32 v42, 2, v42
	v_and_b32_e32 v43, 3, v117
	v_or_b32_e32 v116, v116, v117
	v_or3_b32 v117, v42, v40, v43
	v_cmp_ne_u32_e32 vcc_lo, 0, v116
	v_cndmask_b32_e32 v116, 0, v117, vcc_lo
.LBB4_5648:                             ;   in Loop: Header=BB4_5289 Depth=2
	s_or_b32 exec_lo, exec_lo, s40
.LBB4_5649:                             ;   in Loop: Header=BB4_5289 Depth=2
	s_or_b32 exec_lo, exec_lo, s29
	v_cmp_gt_i16_sdwa s29, v114, v100 src0_sel:BYTE_0 src1_sel:DWORD
	s_andn2_b32 vcc_lo, exec_lo, s27
	s_mov_b32 s12, -1
                                        ; implicit-def: $vgpr117
	s_cbranch_vccnz .LBB4_5663
; %bb.5650:                             ;   in Loop: Header=BB4_5289 Depth=2
	s_mov_b32 s12, 0
	s_and_saveexec_b32 s40, s29
	s_xor_b32 s29, exec_lo, s40
	s_cbranch_execz .LBB4_5943
; %bb.5651:                             ;   in Loop: Header=BB4_5289 Depth=2
	v_cmp_eq_u16_sdwa s41, v114, v101 src0_sel:BYTE_0 src1_sel:DWORD
	s_mov_b32 s12, -1
	s_and_saveexec_b32 s40, s41
; %bb.5652:                             ;   in Loop: Header=BB4_5289 Depth=2
	s_xor_b32 s12, exec_lo, -1
; %bb.5653:                             ;   in Loop: Header=BB4_5289 Depth=2
	s_or_b32 exec_lo, exec_lo, s40
	s_and_b32 s12, s12, exec_lo
	s_or_saveexec_b32 s29, s29
	v_mov_b32_e32 v117, 0x7f800001
	s_xor_b32 exec_lo, exec_lo, s29
	s_cbranch_execnz .LBB4_5944
.LBB4_5654:                             ;   in Loop: Header=BB4_5289 Depth=2
	s_or_b32 exec_lo, exec_lo, s29
	s_and_saveexec_b32 s29, s12
	s_cbranch_execz .LBB4_5656
.LBB4_5655:                             ;   in Loop: Header=BB4_5289 Depth=2
	v_and_b32_e32 v117, 3, v114
	v_lshrrev_b16 v42, 2, v114
	v_lshlrev_b32_e32 v44, 24, v114
	v_ffbh_u32_e32 v40, v117
	v_and_b32_e32 v42, 31, v42
	v_min_u32_e32 v40, 32, v40
	v_cmp_eq_u32_e32 vcc_lo, 0, v42
	v_subrev_nc_u32_e32 v43, 29, v40
	v_sub_nc_u32_e32 v40, 30, v40
	v_lshlrev_b32_e32 v43, v43, v114
	v_cndmask_b32_e32 v40, v42, v40, vcc_lo
	v_and_b32_e32 v42, 0x80000000, v44
	v_and_b32_e32 v43, 3, v43
	v_lshl_add_u32 v40, v40, 23, 0x37800000
	v_cndmask_b32_e32 v117, v117, v43, vcc_lo
	v_lshlrev_b32_e32 v117, 21, v117
	v_or3_b32 v117, v42, v40, v117
.LBB4_5656:                             ;   in Loop: Header=BB4_5289 Depth=2
	s_or_b32 exec_lo, exec_lo, s29
	s_waitcnt vmcnt(5) lgkmcnt(5)
	v_cmp_gt_i16_sdwa s29, v113, v100 src0_sel:BYTE_0 src1_sel:DWORD
	s_mov_b32 s12, 0
	s_and_saveexec_b32 s40, s29
	s_xor_b32 s29, exec_lo, s40
	s_cbranch_execz .LBB4_5945
; %bb.5657:                             ;   in Loop: Header=BB4_5289 Depth=2
	v_cmp_eq_u16_sdwa s41, v113, v101 src0_sel:BYTE_0 src1_sel:DWORD
	s_mov_b32 s12, -1
	s_and_saveexec_b32 s40, s41
; %bb.5658:                             ;   in Loop: Header=BB4_5289 Depth=2
	s_xor_b32 s12, exec_lo, -1
; %bb.5659:                             ;   in Loop: Header=BB4_5289 Depth=2
	s_or_b32 exec_lo, exec_lo, s40
	s_and_b32 s12, s12, exec_lo
	s_or_saveexec_b32 s29, s29
	v_mov_b32_e32 v40, 0x7f800001
	s_xor_b32 exec_lo, exec_lo, s29
	s_cbranch_execnz .LBB4_5946
.LBB4_5660:                             ;   in Loop: Header=BB4_5289 Depth=2
	s_or_b32 exec_lo, exec_lo, s29
	s_and_saveexec_b32 s29, s12
	s_cbranch_execz .LBB4_5662
.LBB4_5661:                             ;   in Loop: Header=BB4_5289 Depth=2
	v_and_b32_e32 v40, 3, v113
	v_lshrrev_b16 v43, 2, v113
	v_lshlrev_b32_e32 v45, 24, v113
	v_ffbh_u32_e32 v42, v40
	v_and_b32_e32 v43, 31, v43
	v_min_u32_e32 v42, 32, v42
	v_cmp_eq_u32_e32 vcc_lo, 0, v43
	v_subrev_nc_u32_e32 v44, 29, v42
	v_sub_nc_u32_e32 v42, 30, v42
	v_lshlrev_b32_e32 v44, v44, v113
	v_cndmask_b32_e32 v42, v43, v42, vcc_lo
	v_and_b32_e32 v43, 0x80000000, v45
	v_and_b32_e32 v44, 3, v44
	v_lshl_add_u32 v42, v42, 23, 0x37800000
	v_cndmask_b32_e32 v40, v40, v44, vcc_lo
	v_lshlrev_b32_e32 v40, 21, v40
	v_or3_b32 v40, v43, v42, v40
.LBB4_5662:                             ;   in Loop: Header=BB4_5289 Depth=2
	s_or_b32 exec_lo, exec_lo, s29
	v_max_f32_e32 v40, v40, v40
	v_max_f32_e32 v117, v117, v117
	s_mov_b32 s12, 0
	v_max_f32_e32 v117, v117, v40
.LBB4_5663:                             ;   in Loop: Header=BB4_5289 Depth=2
	s_and_b32 vcc_lo, exec_lo, s12
	s_cbranch_vccz .LBB4_5677
; %bb.5664:                             ;   in Loop: Header=BB4_5289 Depth=2
	v_cmp_gt_i16_sdwa s29, v114, v100 src0_sel:BYTE_0 src1_sel:DWORD
	s_mov_b32 s12, 0
	s_and_saveexec_b32 s40, s29
	s_xor_b32 s29, exec_lo, s40
	s_cbranch_execz .LBB4_5947
; %bb.5665:                             ;   in Loop: Header=BB4_5289 Depth=2
	v_cmp_eq_u16_sdwa s41, v114, v101 src0_sel:BYTE_0 src1_sel:DWORD
	s_mov_b32 s12, -1
	s_and_saveexec_b32 s40, s41
; %bb.5666:                             ;   in Loop: Header=BB4_5289 Depth=2
	s_xor_b32 s12, exec_lo, -1
; %bb.5667:                             ;   in Loop: Header=BB4_5289 Depth=2
	s_or_b32 exec_lo, exec_lo, s40
	s_and_b32 s12, s12, exec_lo
	s_or_saveexec_b32 s29, s29
	v_mov_b32_e32 v117, 0x7f800001
	s_xor_b32 exec_lo, exec_lo, s29
	s_cbranch_execnz .LBB4_5948
.LBB4_5668:                             ;   in Loop: Header=BB4_5289 Depth=2
	s_or_b32 exec_lo, exec_lo, s29
	s_and_saveexec_b32 s29, s12
	s_cbranch_execz .LBB4_5670
.LBB4_5669:                             ;   in Loop: Header=BB4_5289 Depth=2
	v_and_b32_e32 v117, 3, v114
	v_lshrrev_b16 v42, 2, v114
	v_ffbh_u32_e32 v40, v117
	v_and_b32_e32 v42, 31, v42
	v_min_u32_e32 v40, 32, v40
	v_cmp_eq_u32_e32 vcc_lo, 0, v42
	v_subrev_nc_u32_e32 v43, 29, v40
	v_sub_nc_u32_e32 v40, 30, v40
	v_lshlrev_b32_e32 v43, v43, v114
	v_lshlrev_b32_e32 v114, 24, v114
	v_cndmask_b32_e32 v40, v42, v40, vcc_lo
	v_and_b32_e32 v43, 3, v43
	v_and_b32_e32 v114, 0x80000000, v114
	v_lshl_add_u32 v40, v40, 23, 0x37800000
	v_cndmask_b32_e32 v117, v117, v43, vcc_lo
	v_lshlrev_b32_e32 v117, 21, v117
	v_or3_b32 v117, v114, v40, v117
.LBB4_5670:                             ;   in Loop: Header=BB4_5289 Depth=2
	s_or_b32 exec_lo, exec_lo, s29
	s_waitcnt vmcnt(5) lgkmcnt(5)
	v_cmp_gt_i16_sdwa s29, v113, v100 src0_sel:BYTE_0 src1_sel:DWORD
	s_mov_b32 s12, 0
	s_and_saveexec_b32 s40, s29
	s_xor_b32 s29, exec_lo, s40
	s_cbranch_execz .LBB4_5949
; %bb.5671:                             ;   in Loop: Header=BB4_5289 Depth=2
	v_cmp_eq_u16_sdwa s41, v113, v101 src0_sel:BYTE_0 src1_sel:DWORD
	s_mov_b32 s12, -1
	s_and_saveexec_b32 s40, s41
; %bb.5672:                             ;   in Loop: Header=BB4_5289 Depth=2
	s_xor_b32 s12, exec_lo, -1
; %bb.5673:                             ;   in Loop: Header=BB4_5289 Depth=2
	s_or_b32 exec_lo, exec_lo, s40
	s_and_b32 s12, s12, exec_lo
	s_or_saveexec_b32 s29, s29
	v_mov_b32_e32 v114, 0x7f800001
	s_xor_b32 exec_lo, exec_lo, s29
	s_cbranch_execnz .LBB4_5950
.LBB4_5674:                             ;   in Loop: Header=BB4_5289 Depth=2
	s_or_b32 exec_lo, exec_lo, s29
	s_and_saveexec_b32 s29, s12
	s_cbranch_execz .LBB4_5676
.LBB4_5675:                             ;   in Loop: Header=BB4_5289 Depth=2
	v_and_b32_e32 v114, 3, v113
	v_lshrrev_b16 v42, 2, v113
	v_ffbh_u32_e32 v40, v114
	v_and_b32_e32 v42, 31, v42
	v_min_u32_e32 v40, 32, v40
	v_cmp_eq_u32_e32 vcc_lo, 0, v42
	v_subrev_nc_u32_e32 v43, 29, v40
	v_sub_nc_u32_e32 v40, 30, v40
	v_lshlrev_b32_e32 v43, v43, v113
	v_lshlrev_b32_e32 v113, 24, v113
	v_cndmask_b32_e32 v40, v42, v40, vcc_lo
	v_and_b32_e32 v43, 3, v43
	v_and_b32_e32 v113, 0x80000000, v113
	v_lshl_add_u32 v40, v40, 23, 0x37800000
	v_cndmask_b32_e32 v114, v114, v43, vcc_lo
	v_lshlrev_b32_e32 v114, 21, v114
	v_or3_b32 v114, v113, v40, v114
.LBB4_5676:                             ;   in Loop: Header=BB4_5289 Depth=2
	s_or_b32 exec_lo, exec_lo, s29
	v_max_f32_e32 v113, v114, v114
	v_max_f32_e32 v114, v117, v117
	v_min_f32_e32 v117, v114, v113
.LBB4_5677:                             ;   in Loop: Header=BB4_5289 Depth=2
	s_waitcnt vmcnt(5) lgkmcnt(5)
	v_and_b32_e32 v113, 0x7f800000, v117
	v_cmp_ne_u32_e32 vcc_lo, 0x7f800000, v113
	v_mov_b32_e32 v113, 0x80
	s_and_saveexec_b32 s29, vcc_lo
	s_cbranch_execz .LBB4_5685
; %bb.5678:                             ;   in Loop: Header=BB4_5289 Depth=2
	v_mov_b32_e32 v113, 0
	s_mov_b32 s40, exec_lo
	v_cmpx_ne_u32_e32 0, v117
	s_cbranch_execz .LBB4_5684
; %bb.5679:                             ;   in Loop: Header=BB4_5289 Depth=2
	v_bfe_u32 v113, v117, 23, 8
	v_and_b32_e32 v114, 0x7fffff, v117
	v_sub_nc_u32_e32 v40, 0x70, v113
	v_cmp_gt_u32_e32 vcc_lo, 0x71, v113
	v_or_b32_e32 v42, 0x800000, v114
	v_cndmask_b32_e32 v40, 0, v40, vcc_lo
	v_cmp_eq_u32_e32 vcc_lo, 0, v113
	v_add_nc_u32_e32 v113, 0xffffff91, v113
	v_cndmask_b32_e64 v40, v40, 0x6f, vcc_lo
	v_cndmask_b32_e32 v114, v42, v114, vcc_lo
	v_cndmask_b32_e64 v113, v113, 0xffffff92, vcc_lo
	v_lshl_add_u32 v42, 0x200000, v40, -1
	v_lshrrev_b32_e32 v43, v40, v114
	v_lshlrev_b32_e64 v45, v40, 0x100000
	v_add_nc_u32_e32 v40, v40, v113
	v_and_b32_e32 v114, v42, v114
	v_bfe_u32 v44, v43, 21, 1
	v_cmp_eq_u32_e64 s12, v114, v45
	v_add_nc_u32_e32 v42, -1, v44
	v_cndmask_b32_e64 v114, 0, v42, s12
	v_lshrrev_b32_e32 v42, 23, v43
	s_mov_b32 s12, exec_lo
	v_add_nc_u32_e32 v114, v114, v43
	v_xor_b32_e32 v42, 1, v42
	v_and_b32_e32 v113, 0x1fffff, v114
	v_add_nc_u32_e32 v114, v113, v43
                                        ; implicit-def: $vgpr113
	v_cmpx_ne_u32_e64 v40, v42
	s_xor_b32 s12, exec_lo, s12
; %bb.5680:                             ;   in Loop: Header=BB4_5289 Depth=2
	v_cmp_lt_u32_e32 vcc_lo, 0xffffff, v114
	v_sub_nc_u32_e32 v113, v40, v42
	v_cndmask_b32_e64 v40, 0, 1, vcc_lo
	v_add_co_ci_u32_e64 v113, null, 0, v113, vcc_lo
	v_lshrrev_b32_e32 v114, v40, v114
; %bb.5681:                             ;   in Loop: Header=BB4_5289 Depth=2
	s_andn2_saveexec_b32 s12, s12
; %bb.5682:                             ;   in Loop: Header=BB4_5289 Depth=2
	v_bfe_u32 v113, v114, 23, 1
; %bb.5683:                             ;   in Loop: Header=BB4_5289 Depth=2
	s_or_b32 exec_lo, exec_lo, s12
	v_lshrrev_b32_e32 v114, 21, v114
	v_cmp_gt_i32_e32 vcc_lo, 32, v113
	v_min_i32_e32 v40, 31, v113
	v_and_b32_sdwa v117, v117, v101 dst_sel:DWORD dst_unused:UNUSED_PAD src0_sel:BYTE_3 src1_sel:DWORD
	v_cndmask_b32_e32 v114, 3, v114, vcc_lo
	v_lshlrev_b32_e32 v40, 2, v40
	v_and_b32_e32 v42, 3, v114
	v_or_b32_e32 v113, v113, v114
	v_or3_b32 v114, v40, v117, v42
	v_cmp_ne_u32_e32 vcc_lo, 0, v113
	v_cndmask_b32_e32 v113, 0, v114, vcc_lo
.LBB4_5684:                             ;   in Loop: Header=BB4_5289 Depth=2
	s_or_b32 exec_lo, exec_lo, s40
.LBB4_5685:                             ;   in Loop: Header=BB4_5289 Depth=2
	s_or_b32 exec_lo, exec_lo, s29
	v_cmp_gt_i16_sdwa s29, v80, v100 src0_sel:BYTE_0 src1_sel:DWORD
	s_andn2_b32 vcc_lo, exec_lo, s27
	s_mov_b32 s12, -1
                                        ; implicit-def: $vgpr114
	s_cbranch_vccnz .LBB4_5699
; %bb.5686:                             ;   in Loop: Header=BB4_5289 Depth=2
	s_mov_b32 s12, 0
	s_and_saveexec_b32 s40, s29
	s_xor_b32 s29, exec_lo, s40
	s_cbranch_execz .LBB4_5951
; %bb.5687:                             ;   in Loop: Header=BB4_5289 Depth=2
	v_cmp_eq_u16_sdwa s41, v80, v101 src0_sel:BYTE_0 src1_sel:DWORD
	s_mov_b32 s12, -1
	s_and_saveexec_b32 s40, s41
; %bb.5688:                             ;   in Loop: Header=BB4_5289 Depth=2
	s_xor_b32 s12, exec_lo, -1
; %bb.5689:                             ;   in Loop: Header=BB4_5289 Depth=2
	s_or_b32 exec_lo, exec_lo, s40
	s_and_b32 s12, s12, exec_lo
	s_or_saveexec_b32 s29, s29
	v_mov_b32_e32 v114, 0x7f800001
	s_xor_b32 exec_lo, exec_lo, s29
	s_cbranch_execnz .LBB4_5952
.LBB4_5690:                             ;   in Loop: Header=BB4_5289 Depth=2
	s_or_b32 exec_lo, exec_lo, s29
	s_and_saveexec_b32 s29, s12
	s_cbranch_execz .LBB4_5692
.LBB4_5691:                             ;   in Loop: Header=BB4_5289 Depth=2
	v_and_b32_e32 v114, 3, v80
	v_lshrrev_b16 v40, 2, v80
	v_lshlrev_b32_e32 v43, 24, v80
	v_ffbh_u32_e32 v117, v114
	v_and_b32_e32 v40, 31, v40
	v_min_u32_e32 v117, 32, v117
	v_cmp_eq_u32_e32 vcc_lo, 0, v40
	v_subrev_nc_u32_e32 v42, 29, v117
	v_sub_nc_u32_e32 v117, 30, v117
	v_lshlrev_b32_e32 v42, v42, v80
	v_cndmask_b32_e32 v117, v40, v117, vcc_lo
	v_and_b32_e32 v40, 0x80000000, v43
	v_and_b32_e32 v42, 3, v42
	v_lshl_add_u32 v117, v117, 23, 0x37800000
	v_cndmask_b32_e32 v114, v114, v42, vcc_lo
	v_lshlrev_b32_e32 v114, 21, v114
	v_or3_b32 v114, v40, v117, v114
.LBB4_5692:                             ;   in Loop: Header=BB4_5289 Depth=2
	s_or_b32 exec_lo, exec_lo, s29
	s_waitcnt vmcnt(4) lgkmcnt(4)
	v_cmp_gt_i16_sdwa s29, v71, v100 src0_sel:BYTE_0 src1_sel:DWORD
	s_mov_b32 s12, 0
	s_and_saveexec_b32 s40, s29
	s_xor_b32 s29, exec_lo, s40
	s_cbranch_execz .LBB4_5953
; %bb.5693:                             ;   in Loop: Header=BB4_5289 Depth=2
	v_cmp_eq_u16_sdwa s41, v71, v101 src0_sel:BYTE_0 src1_sel:DWORD
	s_mov_b32 s12, -1
	s_and_saveexec_b32 s40, s41
; %bb.5694:                             ;   in Loop: Header=BB4_5289 Depth=2
	s_xor_b32 s12, exec_lo, -1
; %bb.5695:                             ;   in Loop: Header=BB4_5289 Depth=2
	s_or_b32 exec_lo, exec_lo, s40
	s_and_b32 s12, s12, exec_lo
	s_or_saveexec_b32 s29, s29
	v_mov_b32_e32 v117, 0x7f800001
	s_xor_b32 exec_lo, exec_lo, s29
	s_cbranch_execnz .LBB4_5954
.LBB4_5696:                             ;   in Loop: Header=BB4_5289 Depth=2
	s_or_b32 exec_lo, exec_lo, s29
	s_and_saveexec_b32 s29, s12
	s_cbranch_execz .LBB4_5698
.LBB4_5697:                             ;   in Loop: Header=BB4_5289 Depth=2
	v_and_b32_e32 v117, 3, v71
	v_lshrrev_b16 v42, 2, v71
	v_lshlrev_b32_e32 v44, 24, v71
	v_ffbh_u32_e32 v40, v117
	v_and_b32_e32 v42, 31, v42
	v_min_u32_e32 v40, 32, v40
	v_cmp_eq_u32_e32 vcc_lo, 0, v42
	v_subrev_nc_u32_e32 v43, 29, v40
	v_sub_nc_u32_e32 v40, 30, v40
	v_lshlrev_b32_e32 v43, v43, v71
	v_cndmask_b32_e32 v40, v42, v40, vcc_lo
	v_and_b32_e32 v42, 0x80000000, v44
	v_and_b32_e32 v43, 3, v43
	v_lshl_add_u32 v40, v40, 23, 0x37800000
	v_cndmask_b32_e32 v117, v117, v43, vcc_lo
	v_lshlrev_b32_e32 v117, 21, v117
	v_or3_b32 v117, v42, v40, v117
.LBB4_5698:                             ;   in Loop: Header=BB4_5289 Depth=2
	s_or_b32 exec_lo, exec_lo, s29
	v_max_f32_e32 v117, v117, v117
	v_max_f32_e32 v114, v114, v114
	s_mov_b32 s12, 0
	v_max_f32_e32 v114, v114, v117
.LBB4_5699:                             ;   in Loop: Header=BB4_5289 Depth=2
	s_and_b32 vcc_lo, exec_lo, s12
	s_cbranch_vccz .LBB4_5713
; %bb.5700:                             ;   in Loop: Header=BB4_5289 Depth=2
	v_cmp_gt_i16_sdwa s29, v80, v100 src0_sel:BYTE_0 src1_sel:DWORD
	s_mov_b32 s12, 0
	s_and_saveexec_b32 s40, s29
	s_xor_b32 s29, exec_lo, s40
	s_cbranch_execz .LBB4_5955
; %bb.5701:                             ;   in Loop: Header=BB4_5289 Depth=2
	v_cmp_eq_u16_sdwa s41, v80, v101 src0_sel:BYTE_0 src1_sel:DWORD
	s_mov_b32 s12, -1
	s_and_saveexec_b32 s40, s41
; %bb.5702:                             ;   in Loop: Header=BB4_5289 Depth=2
	s_xor_b32 s12, exec_lo, -1
; %bb.5703:                             ;   in Loop: Header=BB4_5289 Depth=2
	s_or_b32 exec_lo, exec_lo, s40
	s_and_b32 s12, s12, exec_lo
	s_or_saveexec_b32 s29, s29
	v_mov_b32_e32 v114, 0x7f800001
	s_xor_b32 exec_lo, exec_lo, s29
	s_cbranch_execnz .LBB4_5956
.LBB4_5704:                             ;   in Loop: Header=BB4_5289 Depth=2
	s_or_b32 exec_lo, exec_lo, s29
	s_and_saveexec_b32 s29, s12
	s_cbranch_execz .LBB4_5706
.LBB4_5705:                             ;   in Loop: Header=BB4_5289 Depth=2
	v_and_b32_e32 v114, 3, v80
	v_lshrrev_b16 v40, 2, v80
	v_ffbh_u32_e32 v117, v114
	v_and_b32_e32 v40, 31, v40
	v_min_u32_e32 v117, 32, v117
	v_cmp_eq_u32_e32 vcc_lo, 0, v40
	v_subrev_nc_u32_e32 v42, 29, v117
	v_sub_nc_u32_e32 v117, 30, v117
	v_lshlrev_b32_e32 v42, v42, v80
	v_lshlrev_b32_e32 v80, 24, v80
	v_cndmask_b32_e32 v117, v40, v117, vcc_lo
	v_and_b32_e32 v42, 3, v42
	v_and_b32_e32 v80, 0x80000000, v80
	v_lshl_add_u32 v117, v117, 23, 0x37800000
	v_cndmask_b32_e32 v114, v114, v42, vcc_lo
	v_lshlrev_b32_e32 v114, 21, v114
	v_or3_b32 v114, v80, v117, v114
.LBB4_5706:                             ;   in Loop: Header=BB4_5289 Depth=2
	s_or_b32 exec_lo, exec_lo, s29
	s_waitcnt vmcnt(4) lgkmcnt(4)
	v_cmp_gt_i16_sdwa s29, v71, v100 src0_sel:BYTE_0 src1_sel:DWORD
	s_mov_b32 s12, 0
	s_and_saveexec_b32 s40, s29
	s_xor_b32 s29, exec_lo, s40
	s_cbranch_execz .LBB4_5957
; %bb.5707:                             ;   in Loop: Header=BB4_5289 Depth=2
	v_cmp_eq_u16_sdwa s41, v71, v101 src0_sel:BYTE_0 src1_sel:DWORD
	s_mov_b32 s12, -1
	s_and_saveexec_b32 s40, s41
; %bb.5708:                             ;   in Loop: Header=BB4_5289 Depth=2
	s_xor_b32 s12, exec_lo, -1
; %bb.5709:                             ;   in Loop: Header=BB4_5289 Depth=2
	s_or_b32 exec_lo, exec_lo, s40
	s_and_b32 s12, s12, exec_lo
	s_or_saveexec_b32 s29, s29
	v_mov_b32_e32 v80, 0x7f800001
	s_xor_b32 exec_lo, exec_lo, s29
	s_cbranch_execnz .LBB4_5958
.LBB4_5710:                             ;   in Loop: Header=BB4_5289 Depth=2
	s_or_b32 exec_lo, exec_lo, s29
	s_and_saveexec_b32 s29, s12
	s_cbranch_execz .LBB4_5712
.LBB4_5711:                             ;   in Loop: Header=BB4_5289 Depth=2
	v_and_b32_e32 v80, 3, v71
	v_lshrrev_b16 v40, 2, v71
	v_ffbh_u32_e32 v117, v80
	v_and_b32_e32 v40, 31, v40
	v_min_u32_e32 v117, 32, v117
	v_cmp_eq_u32_e32 vcc_lo, 0, v40
	v_subrev_nc_u32_e32 v42, 29, v117
	v_sub_nc_u32_e32 v117, 30, v117
	v_lshlrev_b32_e32 v42, v42, v71
	v_lshlrev_b32_e32 v71, 24, v71
	v_cndmask_b32_e32 v117, v40, v117, vcc_lo
	v_and_b32_e32 v42, 3, v42
	v_and_b32_e32 v71, 0x80000000, v71
	v_lshl_add_u32 v117, v117, 23, 0x37800000
	v_cndmask_b32_e32 v80, v80, v42, vcc_lo
	v_lshlrev_b32_e32 v80, 21, v80
	v_or3_b32 v80, v71, v117, v80
.LBB4_5712:                             ;   in Loop: Header=BB4_5289 Depth=2
	s_or_b32 exec_lo, exec_lo, s29
	v_max_f32_e32 v71, v80, v80
	v_max_f32_e32 v80, v114, v114
	v_min_f32_e32 v114, v80, v71
.LBB4_5713:                             ;   in Loop: Header=BB4_5289 Depth=2
	s_waitcnt vmcnt(4) lgkmcnt(4)
	v_and_b32_e32 v71, 0x7f800000, v114
	v_cmp_ne_u32_e32 vcc_lo, 0x7f800000, v71
	v_mov_b32_e32 v71, 0x80
	s_and_saveexec_b32 s29, vcc_lo
	s_cbranch_execz .LBB4_5721
; %bb.5714:                             ;   in Loop: Header=BB4_5289 Depth=2
	v_mov_b32_e32 v71, 0
	s_mov_b32 s40, exec_lo
	v_cmpx_ne_u32_e32 0, v114
	s_cbranch_execz .LBB4_5720
; %bb.5715:                             ;   in Loop: Header=BB4_5289 Depth=2
	v_bfe_u32 v71, v114, 23, 8
	v_and_b32_e32 v80, 0x7fffff, v114
	v_sub_nc_u32_e32 v117, 0x70, v71
	v_cmp_gt_u32_e32 vcc_lo, 0x71, v71
	v_or_b32_e32 v40, 0x800000, v80
	v_cndmask_b32_e32 v117, 0, v117, vcc_lo
	v_cmp_eq_u32_e32 vcc_lo, 0, v71
	v_add_nc_u32_e32 v71, 0xffffff91, v71
	v_cndmask_b32_e64 v117, v117, 0x6f, vcc_lo
	v_cndmask_b32_e32 v80, v40, v80, vcc_lo
	v_cndmask_b32_e64 v71, v71, 0xffffff92, vcc_lo
	v_lshl_add_u32 v40, 0x200000, v117, -1
	v_lshrrev_b32_e32 v42, v117, v80
	v_lshlrev_b32_e64 v44, v117, 0x100000
	v_add_nc_u32_e32 v117, v117, v71
	v_and_b32_e32 v80, v40, v80
	v_bfe_u32 v43, v42, 21, 1
	v_cmp_eq_u32_e64 s12, v80, v44
	v_add_nc_u32_e32 v40, -1, v43
	v_cndmask_b32_e64 v80, 0, v40, s12
	v_lshrrev_b32_e32 v40, 23, v42
	s_mov_b32 s12, exec_lo
	v_add_nc_u32_e32 v80, v80, v42
	v_xor_b32_e32 v40, 1, v40
	v_and_b32_e32 v71, 0x1fffff, v80
	v_add_nc_u32_e32 v80, v71, v42
                                        ; implicit-def: $vgpr71
	v_cmpx_ne_u32_e64 v117, v40
	s_xor_b32 s12, exec_lo, s12
; %bb.5716:                             ;   in Loop: Header=BB4_5289 Depth=2
	v_cmp_lt_u32_e32 vcc_lo, 0xffffff, v80
	v_sub_nc_u32_e32 v71, v117, v40
	v_cndmask_b32_e64 v117, 0, 1, vcc_lo
	v_add_co_ci_u32_e64 v71, null, 0, v71, vcc_lo
	v_lshrrev_b32_e32 v80, v117, v80
; %bb.5717:                             ;   in Loop: Header=BB4_5289 Depth=2
	s_andn2_saveexec_b32 s12, s12
; %bb.5718:                             ;   in Loop: Header=BB4_5289 Depth=2
	v_bfe_u32 v71, v80, 23, 1
; %bb.5719:                             ;   in Loop: Header=BB4_5289 Depth=2
	s_or_b32 exec_lo, exec_lo, s12
	v_lshrrev_b32_e32 v80, 21, v80
	v_cmp_gt_i32_e32 vcc_lo, 32, v71
	v_min_i32_e32 v117, 31, v71
	v_and_b32_sdwa v114, v114, v101 dst_sel:DWORD dst_unused:UNUSED_PAD src0_sel:BYTE_3 src1_sel:DWORD
	v_cndmask_b32_e32 v80, 3, v80, vcc_lo
	v_lshlrev_b32_e32 v117, 2, v117
	v_and_b32_e32 v40, 3, v80
	v_or_b32_e32 v71, v71, v80
	v_or3_b32 v80, v117, v114, v40
	v_cmp_ne_u32_e32 vcc_lo, 0, v71
	v_cndmask_b32_e32 v71, 0, v80, vcc_lo
.LBB4_5720:                             ;   in Loop: Header=BB4_5289 Depth=2
	s_or_b32 exec_lo, exec_lo, s40
.LBB4_5721:                             ;   in Loop: Header=BB4_5289 Depth=2
	s_or_b32 exec_lo, exec_lo, s29
	v_cmp_gt_i16_sdwa s29, v69, v100 src0_sel:BYTE_0 src1_sel:DWORD
	s_andn2_b32 vcc_lo, exec_lo, s27
	s_mov_b32 s12, -1
                                        ; implicit-def: $vgpr80
	s_cbranch_vccnz .LBB4_5735
; %bb.5722:                             ;   in Loop: Header=BB4_5289 Depth=2
	s_mov_b32 s12, 0
	s_and_saveexec_b32 s40, s29
	s_xor_b32 s29, exec_lo, s40
	s_cbranch_execz .LBB4_5959
; %bb.5723:                             ;   in Loop: Header=BB4_5289 Depth=2
	v_cmp_eq_u16_sdwa s41, v69, v101 src0_sel:BYTE_0 src1_sel:DWORD
	s_mov_b32 s12, -1
	s_and_saveexec_b32 s40, s41
; %bb.5724:                             ;   in Loop: Header=BB4_5289 Depth=2
	s_xor_b32 s12, exec_lo, -1
; %bb.5725:                             ;   in Loop: Header=BB4_5289 Depth=2
	s_or_b32 exec_lo, exec_lo, s40
	s_and_b32 s12, s12, exec_lo
	s_or_saveexec_b32 s29, s29
	v_mov_b32_e32 v80, 0x7f800001
	s_xor_b32 exec_lo, exec_lo, s29
	s_cbranch_execnz .LBB4_5960
.LBB4_5726:                             ;   in Loop: Header=BB4_5289 Depth=2
	s_or_b32 exec_lo, exec_lo, s29
	s_and_saveexec_b32 s29, s12
	s_cbranch_execz .LBB4_5728
.LBB4_5727:                             ;   in Loop: Header=BB4_5289 Depth=2
	v_and_b32_e32 v80, 3, v69
	v_lshrrev_b16 v117, 2, v69
	v_lshlrev_b32_e32 v42, 24, v69
	v_ffbh_u32_e32 v114, v80
	v_and_b32_e32 v117, 31, v117
	v_min_u32_e32 v114, 32, v114
	v_cmp_eq_u32_e32 vcc_lo, 0, v117
	v_subrev_nc_u32_e32 v40, 29, v114
	v_sub_nc_u32_e32 v114, 30, v114
	v_lshlrev_b32_e32 v40, v40, v69
	v_cndmask_b32_e32 v114, v117, v114, vcc_lo
	v_and_b32_e32 v117, 0x80000000, v42
	v_and_b32_e32 v40, 3, v40
	v_lshl_add_u32 v114, v114, 23, 0x37800000
	v_cndmask_b32_e32 v80, v80, v40, vcc_lo
	v_lshlrev_b32_e32 v80, 21, v80
	v_or3_b32 v80, v117, v114, v80
.LBB4_5728:                             ;   in Loop: Header=BB4_5289 Depth=2
	s_or_b32 exec_lo, exec_lo, s29
	s_waitcnt vmcnt(3) lgkmcnt(3)
	v_cmp_gt_i16_sdwa s29, v68, v100 src0_sel:BYTE_0 src1_sel:DWORD
	s_mov_b32 s12, 0
	s_and_saveexec_b32 s40, s29
	s_xor_b32 s29, exec_lo, s40
	s_cbranch_execz .LBB4_5961
; %bb.5729:                             ;   in Loop: Header=BB4_5289 Depth=2
	v_cmp_eq_u16_sdwa s41, v68, v101 src0_sel:BYTE_0 src1_sel:DWORD
	s_mov_b32 s12, -1
	s_and_saveexec_b32 s40, s41
; %bb.5730:                             ;   in Loop: Header=BB4_5289 Depth=2
	s_xor_b32 s12, exec_lo, -1
; %bb.5731:                             ;   in Loop: Header=BB4_5289 Depth=2
	s_or_b32 exec_lo, exec_lo, s40
	s_and_b32 s12, s12, exec_lo
	s_or_saveexec_b32 s29, s29
	v_mov_b32_e32 v114, 0x7f800001
	s_xor_b32 exec_lo, exec_lo, s29
	s_cbranch_execnz .LBB4_5962
.LBB4_5732:                             ;   in Loop: Header=BB4_5289 Depth=2
	s_or_b32 exec_lo, exec_lo, s29
	s_and_saveexec_b32 s29, s12
	s_cbranch_execz .LBB4_5734
.LBB4_5733:                             ;   in Loop: Header=BB4_5289 Depth=2
	v_and_b32_e32 v114, 3, v68
	v_lshrrev_b16 v40, 2, v68
	v_lshlrev_b32_e32 v43, 24, v68
	v_ffbh_u32_e32 v117, v114
	v_and_b32_e32 v40, 31, v40
	v_min_u32_e32 v117, 32, v117
	v_cmp_eq_u32_e32 vcc_lo, 0, v40
	v_subrev_nc_u32_e32 v42, 29, v117
	v_sub_nc_u32_e32 v117, 30, v117
	v_lshlrev_b32_e32 v42, v42, v68
	v_cndmask_b32_e32 v117, v40, v117, vcc_lo
	v_and_b32_e32 v40, 0x80000000, v43
	v_and_b32_e32 v42, 3, v42
	v_lshl_add_u32 v117, v117, 23, 0x37800000
	v_cndmask_b32_e32 v114, v114, v42, vcc_lo
	v_lshlrev_b32_e32 v114, 21, v114
	v_or3_b32 v114, v40, v117, v114
.LBB4_5734:                             ;   in Loop: Header=BB4_5289 Depth=2
	s_or_b32 exec_lo, exec_lo, s29
	v_max_f32_e32 v114, v114, v114
	v_max_f32_e32 v80, v80, v80
	s_mov_b32 s12, 0
	v_max_f32_e32 v80, v80, v114
.LBB4_5735:                             ;   in Loop: Header=BB4_5289 Depth=2
	s_and_b32 vcc_lo, exec_lo, s12
	s_cbranch_vccz .LBB4_5749
; %bb.5736:                             ;   in Loop: Header=BB4_5289 Depth=2
	v_cmp_gt_i16_sdwa s29, v69, v100 src0_sel:BYTE_0 src1_sel:DWORD
	s_mov_b32 s12, 0
	s_and_saveexec_b32 s40, s29
	s_xor_b32 s29, exec_lo, s40
	s_cbranch_execz .LBB4_5963
; %bb.5737:                             ;   in Loop: Header=BB4_5289 Depth=2
	v_cmp_eq_u16_sdwa s41, v69, v101 src0_sel:BYTE_0 src1_sel:DWORD
	s_mov_b32 s12, -1
	s_and_saveexec_b32 s40, s41
; %bb.5738:                             ;   in Loop: Header=BB4_5289 Depth=2
	s_xor_b32 s12, exec_lo, -1
; %bb.5739:                             ;   in Loop: Header=BB4_5289 Depth=2
	s_or_b32 exec_lo, exec_lo, s40
	s_and_b32 s12, s12, exec_lo
	s_or_saveexec_b32 s29, s29
	v_mov_b32_e32 v80, 0x7f800001
	s_xor_b32 exec_lo, exec_lo, s29
	s_cbranch_execnz .LBB4_5964
.LBB4_5740:                             ;   in Loop: Header=BB4_5289 Depth=2
	s_or_b32 exec_lo, exec_lo, s29
	s_and_saveexec_b32 s29, s12
	s_cbranch_execz .LBB4_5742
.LBB4_5741:                             ;   in Loop: Header=BB4_5289 Depth=2
	v_and_b32_e32 v80, 3, v69
	v_lshrrev_b16 v117, 2, v69
	v_ffbh_u32_e32 v114, v80
	v_and_b32_e32 v117, 31, v117
	v_min_u32_e32 v114, 32, v114
	v_cmp_eq_u32_e32 vcc_lo, 0, v117
	v_subrev_nc_u32_e32 v40, 29, v114
	v_sub_nc_u32_e32 v114, 30, v114
	v_lshlrev_b32_e32 v40, v40, v69
	v_lshlrev_b32_e32 v69, 24, v69
	v_cndmask_b32_e32 v114, v117, v114, vcc_lo
	v_and_b32_e32 v40, 3, v40
	v_and_b32_e32 v69, 0x80000000, v69
	v_lshl_add_u32 v114, v114, 23, 0x37800000
	v_cndmask_b32_e32 v80, v80, v40, vcc_lo
	v_lshlrev_b32_e32 v80, 21, v80
	v_or3_b32 v80, v69, v114, v80
.LBB4_5742:                             ;   in Loop: Header=BB4_5289 Depth=2
	s_or_b32 exec_lo, exec_lo, s29
	s_waitcnt vmcnt(3) lgkmcnt(3)
	v_cmp_gt_i16_sdwa s29, v68, v100 src0_sel:BYTE_0 src1_sel:DWORD
	s_mov_b32 s12, 0
	s_and_saveexec_b32 s40, s29
	s_xor_b32 s29, exec_lo, s40
	s_cbranch_execz .LBB4_5965
; %bb.5743:                             ;   in Loop: Header=BB4_5289 Depth=2
	v_cmp_eq_u16_sdwa s41, v68, v101 src0_sel:BYTE_0 src1_sel:DWORD
	s_mov_b32 s12, -1
	s_and_saveexec_b32 s40, s41
; %bb.5744:                             ;   in Loop: Header=BB4_5289 Depth=2
	s_xor_b32 s12, exec_lo, -1
; %bb.5745:                             ;   in Loop: Header=BB4_5289 Depth=2
	s_or_b32 exec_lo, exec_lo, s40
	s_and_b32 s12, s12, exec_lo
	s_or_saveexec_b32 s29, s29
	v_mov_b32_e32 v69, 0x7f800001
	s_xor_b32 exec_lo, exec_lo, s29
	s_cbranch_execnz .LBB4_5966
.LBB4_5746:                             ;   in Loop: Header=BB4_5289 Depth=2
	s_or_b32 exec_lo, exec_lo, s29
	s_and_saveexec_b32 s29, s12
	s_cbranch_execz .LBB4_5748
.LBB4_5747:                             ;   in Loop: Header=BB4_5289 Depth=2
	v_and_b32_e32 v69, 3, v68
	v_lshrrev_b16 v117, 2, v68
	v_ffbh_u32_e32 v114, v69
	v_and_b32_e32 v117, 31, v117
	v_min_u32_e32 v114, 32, v114
	v_cmp_eq_u32_e32 vcc_lo, 0, v117
	v_subrev_nc_u32_e32 v40, 29, v114
	v_sub_nc_u32_e32 v114, 30, v114
	v_lshlrev_b32_e32 v40, v40, v68
	v_lshlrev_b32_e32 v68, 24, v68
	v_cndmask_b32_e32 v114, v117, v114, vcc_lo
	v_and_b32_e32 v40, 3, v40
	v_and_b32_e32 v68, 0x80000000, v68
	v_lshl_add_u32 v114, v114, 23, 0x37800000
	v_cndmask_b32_e32 v69, v69, v40, vcc_lo
	v_lshlrev_b32_e32 v69, 21, v69
	v_or3_b32 v69, v68, v114, v69
.LBB4_5748:                             ;   in Loop: Header=BB4_5289 Depth=2
	s_or_b32 exec_lo, exec_lo, s29
	v_max_f32_e32 v68, v69, v69
	v_max_f32_e32 v69, v80, v80
	v_min_f32_e32 v80, v69, v68
.LBB4_5749:                             ;   in Loop: Header=BB4_5289 Depth=2
	s_waitcnt vmcnt(3) lgkmcnt(3)
	v_and_b32_e32 v68, 0x7f800000, v80
	v_cmp_ne_u32_e32 vcc_lo, 0x7f800000, v68
	v_mov_b32_e32 v68, 0x80
	s_and_saveexec_b32 s29, vcc_lo
	s_cbranch_execz .LBB4_5757
; %bb.5750:                             ;   in Loop: Header=BB4_5289 Depth=2
	v_mov_b32_e32 v68, 0
	s_mov_b32 s40, exec_lo
	v_cmpx_ne_u32_e32 0, v80
	s_cbranch_execz .LBB4_5756
; %bb.5751:                             ;   in Loop: Header=BB4_5289 Depth=2
	v_bfe_u32 v68, v80, 23, 8
	v_and_b32_e32 v69, 0x7fffff, v80
	v_sub_nc_u32_e32 v114, 0x70, v68
	v_cmp_gt_u32_e32 vcc_lo, 0x71, v68
	v_or_b32_e32 v117, 0x800000, v69
	v_cndmask_b32_e32 v114, 0, v114, vcc_lo
	v_cmp_eq_u32_e32 vcc_lo, 0, v68
	v_add_nc_u32_e32 v68, 0xffffff91, v68
	v_cndmask_b32_e64 v114, v114, 0x6f, vcc_lo
	v_cndmask_b32_e32 v69, v117, v69, vcc_lo
	v_cndmask_b32_e64 v68, v68, 0xffffff92, vcc_lo
	v_lshl_add_u32 v117, 0x200000, v114, -1
	v_lshrrev_b32_e32 v40, v114, v69
	v_lshlrev_b32_e64 v43, v114, 0x100000
	v_add_nc_u32_e32 v114, v114, v68
	v_and_b32_e32 v69, v117, v69
	v_bfe_u32 v42, v40, 21, 1
	v_cmp_eq_u32_e64 s12, v69, v43
	v_add_nc_u32_e32 v117, -1, v42
	v_cndmask_b32_e64 v69, 0, v117, s12
	v_lshrrev_b32_e32 v117, 23, v40
	s_mov_b32 s12, exec_lo
	v_add_nc_u32_e32 v69, v69, v40
	v_xor_b32_e32 v117, 1, v117
	v_and_b32_e32 v68, 0x1fffff, v69
	v_add_nc_u32_e32 v69, v68, v40
                                        ; implicit-def: $vgpr68
	v_cmpx_ne_u32_e64 v114, v117
	s_xor_b32 s12, exec_lo, s12
; %bb.5752:                             ;   in Loop: Header=BB4_5289 Depth=2
	v_cmp_lt_u32_e32 vcc_lo, 0xffffff, v69
	v_sub_nc_u32_e32 v68, v114, v117
	v_cndmask_b32_e64 v114, 0, 1, vcc_lo
	v_add_co_ci_u32_e64 v68, null, 0, v68, vcc_lo
	v_lshrrev_b32_e32 v69, v114, v69
; %bb.5753:                             ;   in Loop: Header=BB4_5289 Depth=2
	s_andn2_saveexec_b32 s12, s12
; %bb.5754:                             ;   in Loop: Header=BB4_5289 Depth=2
	v_bfe_u32 v68, v69, 23, 1
; %bb.5755:                             ;   in Loop: Header=BB4_5289 Depth=2
	s_or_b32 exec_lo, exec_lo, s12
	v_lshrrev_b32_e32 v69, 21, v69
	v_cmp_gt_i32_e32 vcc_lo, 32, v68
	v_min_i32_e32 v114, 31, v68
	v_and_b32_sdwa v80, v80, v101 dst_sel:DWORD dst_unused:UNUSED_PAD src0_sel:BYTE_3 src1_sel:DWORD
	v_cndmask_b32_e32 v69, 3, v69, vcc_lo
	v_lshlrev_b32_e32 v114, 2, v114
	v_and_b32_e32 v117, 3, v69
	v_or_b32_e32 v68, v68, v69
	v_or3_b32 v69, v114, v80, v117
	v_cmp_ne_u32_e32 vcc_lo, 0, v68
	v_cndmask_b32_e32 v68, 0, v69, vcc_lo
.LBB4_5756:                             ;   in Loop: Header=BB4_5289 Depth=2
	s_or_b32 exec_lo, exec_lo, s40
.LBB4_5757:                             ;   in Loop: Header=BB4_5289 Depth=2
	s_or_b32 exec_lo, exec_lo, s29
	v_cmp_gt_i16_sdwa s29, v66, v100 src0_sel:BYTE_0 src1_sel:DWORD
	s_andn2_b32 vcc_lo, exec_lo, s27
	s_mov_b32 s12, -1
                                        ; implicit-def: $vgpr69
	s_cbranch_vccnz .LBB4_5771
; %bb.5758:                             ;   in Loop: Header=BB4_5289 Depth=2
	s_mov_b32 s12, 0
	s_and_saveexec_b32 s40, s29
	s_xor_b32 s29, exec_lo, s40
	s_cbranch_execz .LBB4_5967
; %bb.5759:                             ;   in Loop: Header=BB4_5289 Depth=2
	v_cmp_eq_u16_sdwa s41, v66, v101 src0_sel:BYTE_0 src1_sel:DWORD
	s_mov_b32 s12, -1
	s_and_saveexec_b32 s40, s41
; %bb.5760:                             ;   in Loop: Header=BB4_5289 Depth=2
	s_xor_b32 s12, exec_lo, -1
; %bb.5761:                             ;   in Loop: Header=BB4_5289 Depth=2
	s_or_b32 exec_lo, exec_lo, s40
	s_and_b32 s12, s12, exec_lo
	s_or_saveexec_b32 s29, s29
	v_mov_b32_e32 v69, 0x7f800001
	s_xor_b32 exec_lo, exec_lo, s29
	s_cbranch_execnz .LBB4_5968
.LBB4_5762:                             ;   in Loop: Header=BB4_5289 Depth=2
	s_or_b32 exec_lo, exec_lo, s29
	s_and_saveexec_b32 s29, s12
	s_cbranch_execz .LBB4_5764
.LBB4_5763:                             ;   in Loop: Header=BB4_5289 Depth=2
	v_and_b32_e32 v69, 3, v66
	v_lshrrev_b16 v114, 2, v66
	v_lshlrev_b32_e32 v40, 24, v66
	v_ffbh_u32_e32 v80, v69
	v_and_b32_e32 v114, 31, v114
	v_min_u32_e32 v80, 32, v80
	v_cmp_eq_u32_e32 vcc_lo, 0, v114
	v_subrev_nc_u32_e32 v117, 29, v80
	v_sub_nc_u32_e32 v80, 30, v80
	v_lshlrev_b32_e32 v117, v117, v66
	v_cndmask_b32_e32 v80, v114, v80, vcc_lo
	v_and_b32_e32 v114, 0x80000000, v40
	v_and_b32_e32 v117, 3, v117
	v_lshl_add_u32 v80, v80, 23, 0x37800000
	v_cndmask_b32_e32 v69, v69, v117, vcc_lo
	v_lshlrev_b32_e32 v69, 21, v69
	v_or3_b32 v69, v114, v80, v69
.LBB4_5764:                             ;   in Loop: Header=BB4_5289 Depth=2
	s_or_b32 exec_lo, exec_lo, s29
	s_waitcnt vmcnt(2) lgkmcnt(2)
	v_cmp_gt_i16_sdwa s29, v65, v100 src0_sel:BYTE_0 src1_sel:DWORD
	s_mov_b32 s12, 0
	s_and_saveexec_b32 s40, s29
	s_xor_b32 s29, exec_lo, s40
	s_cbranch_execz .LBB4_5969
; %bb.5765:                             ;   in Loop: Header=BB4_5289 Depth=2
	v_cmp_eq_u16_sdwa s41, v65, v101 src0_sel:BYTE_0 src1_sel:DWORD
	s_mov_b32 s12, -1
	s_and_saveexec_b32 s40, s41
; %bb.5766:                             ;   in Loop: Header=BB4_5289 Depth=2
	s_xor_b32 s12, exec_lo, -1
; %bb.5767:                             ;   in Loop: Header=BB4_5289 Depth=2
	s_or_b32 exec_lo, exec_lo, s40
	s_and_b32 s12, s12, exec_lo
	s_or_saveexec_b32 s29, s29
	v_mov_b32_e32 v80, 0x7f800001
	s_xor_b32 exec_lo, exec_lo, s29
	s_cbranch_execnz .LBB4_5970
.LBB4_5768:                             ;   in Loop: Header=BB4_5289 Depth=2
	s_or_b32 exec_lo, exec_lo, s29
	s_and_saveexec_b32 s29, s12
	s_cbranch_execz .LBB4_5770
.LBB4_5769:                             ;   in Loop: Header=BB4_5289 Depth=2
	v_and_b32_e32 v80, 3, v65
	v_lshrrev_b16 v117, 2, v65
	v_lshlrev_b32_e32 v42, 24, v65
	v_ffbh_u32_e32 v114, v80
	v_and_b32_e32 v117, 31, v117
	v_min_u32_e32 v114, 32, v114
	v_cmp_eq_u32_e32 vcc_lo, 0, v117
	v_subrev_nc_u32_e32 v40, 29, v114
	v_sub_nc_u32_e32 v114, 30, v114
	v_lshlrev_b32_e32 v40, v40, v65
	v_cndmask_b32_e32 v114, v117, v114, vcc_lo
	v_and_b32_e32 v117, 0x80000000, v42
	v_and_b32_e32 v40, 3, v40
	v_lshl_add_u32 v114, v114, 23, 0x37800000
	v_cndmask_b32_e32 v80, v80, v40, vcc_lo
	v_lshlrev_b32_e32 v80, 21, v80
	v_or3_b32 v80, v117, v114, v80
.LBB4_5770:                             ;   in Loop: Header=BB4_5289 Depth=2
	s_or_b32 exec_lo, exec_lo, s29
	v_max_f32_e32 v80, v80, v80
	v_max_f32_e32 v69, v69, v69
	s_mov_b32 s12, 0
	v_max_f32_e32 v69, v69, v80
.LBB4_5771:                             ;   in Loop: Header=BB4_5289 Depth=2
	s_and_b32 vcc_lo, exec_lo, s12
	s_cbranch_vccz .LBB4_5785
; %bb.5772:                             ;   in Loop: Header=BB4_5289 Depth=2
	v_cmp_gt_i16_sdwa s29, v66, v100 src0_sel:BYTE_0 src1_sel:DWORD
	s_mov_b32 s12, 0
	s_and_saveexec_b32 s40, s29
	s_xor_b32 s29, exec_lo, s40
	s_cbranch_execz .LBB4_5971
; %bb.5773:                             ;   in Loop: Header=BB4_5289 Depth=2
	v_cmp_eq_u16_sdwa s41, v66, v101 src0_sel:BYTE_0 src1_sel:DWORD
	s_mov_b32 s12, -1
	s_and_saveexec_b32 s40, s41
; %bb.5774:                             ;   in Loop: Header=BB4_5289 Depth=2
	s_xor_b32 s12, exec_lo, -1
; %bb.5775:                             ;   in Loop: Header=BB4_5289 Depth=2
	s_or_b32 exec_lo, exec_lo, s40
	s_and_b32 s12, s12, exec_lo
	s_or_saveexec_b32 s29, s29
	v_mov_b32_e32 v69, 0x7f800001
	s_xor_b32 exec_lo, exec_lo, s29
	s_cbranch_execnz .LBB4_5972
.LBB4_5776:                             ;   in Loop: Header=BB4_5289 Depth=2
	s_or_b32 exec_lo, exec_lo, s29
	s_and_saveexec_b32 s29, s12
	s_cbranch_execz .LBB4_5778
.LBB4_5777:                             ;   in Loop: Header=BB4_5289 Depth=2
	v_and_b32_e32 v69, 3, v66
	v_lshrrev_b16 v114, 2, v66
	v_ffbh_u32_e32 v80, v69
	v_and_b32_e32 v114, 31, v114
	v_min_u32_e32 v80, 32, v80
	v_cmp_eq_u32_e32 vcc_lo, 0, v114
	v_subrev_nc_u32_e32 v117, 29, v80
	v_sub_nc_u32_e32 v80, 30, v80
	v_lshlrev_b32_e32 v117, v117, v66
	v_lshlrev_b32_e32 v66, 24, v66
	v_cndmask_b32_e32 v80, v114, v80, vcc_lo
	v_and_b32_e32 v117, 3, v117
	v_and_b32_e32 v66, 0x80000000, v66
	v_lshl_add_u32 v80, v80, 23, 0x37800000
	v_cndmask_b32_e32 v69, v69, v117, vcc_lo
	v_lshlrev_b32_e32 v69, 21, v69
	v_or3_b32 v69, v66, v80, v69
.LBB4_5778:                             ;   in Loop: Header=BB4_5289 Depth=2
	s_or_b32 exec_lo, exec_lo, s29
	s_waitcnt vmcnt(2) lgkmcnt(2)
	v_cmp_gt_i16_sdwa s29, v65, v100 src0_sel:BYTE_0 src1_sel:DWORD
	s_mov_b32 s12, 0
	s_and_saveexec_b32 s40, s29
	s_xor_b32 s29, exec_lo, s40
	s_cbranch_execz .LBB4_5973
; %bb.5779:                             ;   in Loop: Header=BB4_5289 Depth=2
	v_cmp_eq_u16_sdwa s41, v65, v101 src0_sel:BYTE_0 src1_sel:DWORD
	s_mov_b32 s12, -1
	s_and_saveexec_b32 s40, s41
; %bb.5780:                             ;   in Loop: Header=BB4_5289 Depth=2
	s_xor_b32 s12, exec_lo, -1
; %bb.5781:                             ;   in Loop: Header=BB4_5289 Depth=2
	s_or_b32 exec_lo, exec_lo, s40
	s_and_b32 s12, s12, exec_lo
	s_or_saveexec_b32 s29, s29
	v_mov_b32_e32 v66, 0x7f800001
	s_xor_b32 exec_lo, exec_lo, s29
	s_cbranch_execnz .LBB4_5974
.LBB4_5782:                             ;   in Loop: Header=BB4_5289 Depth=2
	s_or_b32 exec_lo, exec_lo, s29
	s_and_saveexec_b32 s29, s12
	s_cbranch_execz .LBB4_5784
.LBB4_5783:                             ;   in Loop: Header=BB4_5289 Depth=2
	v_and_b32_e32 v66, 3, v65
	v_lshrrev_b16 v114, 2, v65
	v_ffbh_u32_e32 v80, v66
	v_and_b32_e32 v114, 31, v114
	v_min_u32_e32 v80, 32, v80
	v_cmp_eq_u32_e32 vcc_lo, 0, v114
	v_subrev_nc_u32_e32 v117, 29, v80
	v_sub_nc_u32_e32 v80, 30, v80
	v_lshlrev_b32_e32 v117, v117, v65
	v_lshlrev_b32_e32 v65, 24, v65
	v_cndmask_b32_e32 v80, v114, v80, vcc_lo
	v_and_b32_e32 v117, 3, v117
	v_and_b32_e32 v65, 0x80000000, v65
	v_lshl_add_u32 v80, v80, 23, 0x37800000
	v_cndmask_b32_e32 v66, v66, v117, vcc_lo
	v_lshlrev_b32_e32 v66, 21, v66
	v_or3_b32 v66, v65, v80, v66
.LBB4_5784:                             ;   in Loop: Header=BB4_5289 Depth=2
	s_or_b32 exec_lo, exec_lo, s29
	v_max_f32_e32 v65, v66, v66
	v_max_f32_e32 v66, v69, v69
	v_min_f32_e32 v69, v66, v65
.LBB4_5785:                             ;   in Loop: Header=BB4_5289 Depth=2
	s_waitcnt vmcnt(2) lgkmcnt(2)
	v_and_b32_e32 v65, 0x7f800000, v69
	v_cmp_ne_u32_e32 vcc_lo, 0x7f800000, v65
	v_mov_b32_e32 v65, 0x80
	s_and_saveexec_b32 s29, vcc_lo
	s_cbranch_execz .LBB4_5793
; %bb.5786:                             ;   in Loop: Header=BB4_5289 Depth=2
	v_mov_b32_e32 v65, 0
	s_mov_b32 s40, exec_lo
	v_cmpx_ne_u32_e32 0, v69
	s_cbranch_execz .LBB4_5792
; %bb.5787:                             ;   in Loop: Header=BB4_5289 Depth=2
	v_bfe_u32 v65, v69, 23, 8
	v_and_b32_e32 v66, 0x7fffff, v69
	v_sub_nc_u32_e32 v80, 0x70, v65
	v_cmp_gt_u32_e32 vcc_lo, 0x71, v65
	v_or_b32_e32 v114, 0x800000, v66
	v_cndmask_b32_e32 v80, 0, v80, vcc_lo
	v_cmp_eq_u32_e32 vcc_lo, 0, v65
	v_add_nc_u32_e32 v65, 0xffffff91, v65
	v_cndmask_b32_e64 v80, v80, 0x6f, vcc_lo
	v_cndmask_b32_e32 v66, v114, v66, vcc_lo
	v_cndmask_b32_e64 v65, v65, 0xffffff92, vcc_lo
	v_lshl_add_u32 v114, 0x200000, v80, -1
	v_lshrrev_b32_e32 v117, v80, v66
	v_lshlrev_b32_e64 v42, v80, 0x100000
	v_add_nc_u32_e32 v80, v80, v65
	v_and_b32_e32 v66, v114, v66
	v_bfe_u32 v40, v117, 21, 1
	v_cmp_eq_u32_e64 s12, v66, v42
	v_add_nc_u32_e32 v114, -1, v40
	v_cndmask_b32_e64 v66, 0, v114, s12
	v_lshrrev_b32_e32 v114, 23, v117
	s_mov_b32 s12, exec_lo
	v_add_nc_u32_e32 v66, v66, v117
	v_xor_b32_e32 v114, 1, v114
	v_and_b32_e32 v65, 0x1fffff, v66
	v_add_nc_u32_e32 v66, v65, v117
                                        ; implicit-def: $vgpr65
	v_cmpx_ne_u32_e64 v80, v114
	s_xor_b32 s12, exec_lo, s12
; %bb.5788:                             ;   in Loop: Header=BB4_5289 Depth=2
	v_cmp_lt_u32_e32 vcc_lo, 0xffffff, v66
	v_sub_nc_u32_e32 v65, v80, v114
	v_cndmask_b32_e64 v80, 0, 1, vcc_lo
	v_add_co_ci_u32_e64 v65, null, 0, v65, vcc_lo
	v_lshrrev_b32_e32 v66, v80, v66
; %bb.5789:                             ;   in Loop: Header=BB4_5289 Depth=2
	s_andn2_saveexec_b32 s12, s12
; %bb.5790:                             ;   in Loop: Header=BB4_5289 Depth=2
	v_bfe_u32 v65, v66, 23, 1
; %bb.5791:                             ;   in Loop: Header=BB4_5289 Depth=2
	s_or_b32 exec_lo, exec_lo, s12
	v_lshrrev_b32_e32 v66, 21, v66
	v_cmp_gt_i32_e32 vcc_lo, 32, v65
	v_min_i32_e32 v80, 31, v65
	v_and_b32_sdwa v69, v69, v101 dst_sel:DWORD dst_unused:UNUSED_PAD src0_sel:BYTE_3 src1_sel:DWORD
	v_cndmask_b32_e32 v66, 3, v66, vcc_lo
	v_lshlrev_b32_e32 v80, 2, v80
	v_and_b32_e32 v114, 3, v66
	v_or_b32_e32 v65, v65, v66
	v_or3_b32 v66, v80, v69, v114
	v_cmp_ne_u32_e32 vcc_lo, 0, v65
	v_cndmask_b32_e32 v65, 0, v66, vcc_lo
.LBB4_5792:                             ;   in Loop: Header=BB4_5289 Depth=2
	s_or_b32 exec_lo, exec_lo, s40
.LBB4_5793:                             ;   in Loop: Header=BB4_5289 Depth=2
	s_or_b32 exec_lo, exec_lo, s29
	v_cmp_gt_i16_sdwa s29, v25, v100 src0_sel:BYTE_0 src1_sel:DWORD
	s_andn2_b32 vcc_lo, exec_lo, s27
	s_mov_b32 s12, -1
                                        ; implicit-def: $vgpr66
	s_cbranch_vccnz .LBB4_5807
; %bb.5794:                             ;   in Loop: Header=BB4_5289 Depth=2
	s_mov_b32 s12, 0
	s_and_saveexec_b32 s40, s29
	s_xor_b32 s29, exec_lo, s40
	s_cbranch_execz .LBB4_5975
; %bb.5795:                             ;   in Loop: Header=BB4_5289 Depth=2
	v_cmp_eq_u16_sdwa s41, v25, v101 src0_sel:BYTE_0 src1_sel:DWORD
	s_mov_b32 s12, -1
	s_and_saveexec_b32 s40, s41
; %bb.5796:                             ;   in Loop: Header=BB4_5289 Depth=2
	s_xor_b32 s12, exec_lo, -1
; %bb.5797:                             ;   in Loop: Header=BB4_5289 Depth=2
	s_or_b32 exec_lo, exec_lo, s40
	s_and_b32 s12, s12, exec_lo
	s_or_saveexec_b32 s29, s29
	v_mov_b32_e32 v66, 0x7f800001
	s_xor_b32 exec_lo, exec_lo, s29
	s_cbranch_execnz .LBB4_5976
.LBB4_5798:                             ;   in Loop: Header=BB4_5289 Depth=2
	s_or_b32 exec_lo, exec_lo, s29
	s_and_saveexec_b32 s29, s12
	s_cbranch_execz .LBB4_5800
.LBB4_5799:                             ;   in Loop: Header=BB4_5289 Depth=2
	v_and_b32_e32 v66, 3, v25
	v_lshrrev_b16 v80, 2, v25
	v_lshlrev_b32_e32 v117, 24, v25
	v_ffbh_u32_e32 v69, v66
	v_and_b32_e32 v80, 31, v80
	v_min_u32_e32 v69, 32, v69
	v_cmp_eq_u32_e32 vcc_lo, 0, v80
	v_subrev_nc_u32_e32 v114, 29, v69
	v_sub_nc_u32_e32 v69, 30, v69
	v_lshlrev_b32_e32 v114, v114, v25
	v_cndmask_b32_e32 v69, v80, v69, vcc_lo
	v_and_b32_e32 v80, 0x80000000, v117
	v_and_b32_e32 v114, 3, v114
	v_lshl_add_u32 v69, v69, 23, 0x37800000
	v_cndmask_b32_e32 v66, v66, v114, vcc_lo
	v_lshlrev_b32_e32 v66, 21, v66
	v_or3_b32 v66, v80, v69, v66
.LBB4_5800:                             ;   in Loop: Header=BB4_5289 Depth=2
	s_or_b32 exec_lo, exec_lo, s29
	s_waitcnt vmcnt(1) lgkmcnt(1)
	v_cmp_gt_i16_sdwa s29, v24, v100 src0_sel:BYTE_0 src1_sel:DWORD
	s_mov_b32 s12, 0
	s_and_saveexec_b32 s40, s29
	s_xor_b32 s29, exec_lo, s40
	s_cbranch_execz .LBB4_5977
; %bb.5801:                             ;   in Loop: Header=BB4_5289 Depth=2
	v_cmp_eq_u16_sdwa s41, v24, v101 src0_sel:BYTE_0 src1_sel:DWORD
	s_mov_b32 s12, -1
	s_and_saveexec_b32 s40, s41
; %bb.5802:                             ;   in Loop: Header=BB4_5289 Depth=2
	s_xor_b32 s12, exec_lo, -1
; %bb.5803:                             ;   in Loop: Header=BB4_5289 Depth=2
	s_or_b32 exec_lo, exec_lo, s40
	s_and_b32 s12, s12, exec_lo
	s_or_saveexec_b32 s29, s29
	v_mov_b32_e32 v69, 0x7f800001
	s_xor_b32 exec_lo, exec_lo, s29
	s_cbranch_execnz .LBB4_5978
.LBB4_5804:                             ;   in Loop: Header=BB4_5289 Depth=2
	s_or_b32 exec_lo, exec_lo, s29
	s_and_saveexec_b32 s29, s12
	s_cbranch_execz .LBB4_5806
.LBB4_5805:                             ;   in Loop: Header=BB4_5289 Depth=2
	v_and_b32_e32 v69, 3, v24
	v_lshrrev_b16 v114, 2, v24
	v_lshlrev_b32_e32 v40, 24, v24
	v_ffbh_u32_e32 v80, v69
	v_and_b32_e32 v114, 31, v114
	v_min_u32_e32 v80, 32, v80
	v_cmp_eq_u32_e32 vcc_lo, 0, v114
	v_subrev_nc_u32_e32 v117, 29, v80
	v_sub_nc_u32_e32 v80, 30, v80
	v_lshlrev_b32_e32 v117, v117, v24
	v_cndmask_b32_e32 v80, v114, v80, vcc_lo
	v_and_b32_e32 v114, 0x80000000, v40
	v_and_b32_e32 v117, 3, v117
	v_lshl_add_u32 v80, v80, 23, 0x37800000
	v_cndmask_b32_e32 v69, v69, v117, vcc_lo
	v_lshlrev_b32_e32 v69, 21, v69
	v_or3_b32 v69, v114, v80, v69
.LBB4_5806:                             ;   in Loop: Header=BB4_5289 Depth=2
	s_or_b32 exec_lo, exec_lo, s29
	v_max_f32_e32 v69, v69, v69
	v_max_f32_e32 v66, v66, v66
	s_mov_b32 s12, 0
	v_max_f32_e32 v66, v66, v69
.LBB4_5807:                             ;   in Loop: Header=BB4_5289 Depth=2
	s_and_b32 vcc_lo, exec_lo, s12
	s_cbranch_vccz .LBB4_5821
; %bb.5808:                             ;   in Loop: Header=BB4_5289 Depth=2
	v_cmp_gt_i16_sdwa s29, v25, v100 src0_sel:BYTE_0 src1_sel:DWORD
	s_mov_b32 s12, 0
	s_and_saveexec_b32 s40, s29
	s_xor_b32 s29, exec_lo, s40
	s_cbranch_execz .LBB4_5979
; %bb.5809:                             ;   in Loop: Header=BB4_5289 Depth=2
	v_cmp_eq_u16_sdwa s41, v25, v101 src0_sel:BYTE_0 src1_sel:DWORD
	s_mov_b32 s12, -1
	s_and_saveexec_b32 s40, s41
; %bb.5810:                             ;   in Loop: Header=BB4_5289 Depth=2
	s_xor_b32 s12, exec_lo, -1
; %bb.5811:                             ;   in Loop: Header=BB4_5289 Depth=2
	s_or_b32 exec_lo, exec_lo, s40
	s_and_b32 s12, s12, exec_lo
	s_or_saveexec_b32 s29, s29
	v_mov_b32_e32 v66, 0x7f800001
	s_xor_b32 exec_lo, exec_lo, s29
	s_cbranch_execnz .LBB4_5980
.LBB4_5812:                             ;   in Loop: Header=BB4_5289 Depth=2
	s_or_b32 exec_lo, exec_lo, s29
	s_and_saveexec_b32 s29, s12
	s_cbranch_execz .LBB4_5814
.LBB4_5813:                             ;   in Loop: Header=BB4_5289 Depth=2
	v_and_b32_e32 v66, 3, v25
	v_lshrrev_b16 v80, 2, v25
	v_ffbh_u32_e32 v69, v66
	v_and_b32_e32 v80, 31, v80
	v_min_u32_e32 v69, 32, v69
	v_cmp_eq_u32_e32 vcc_lo, 0, v80
	v_subrev_nc_u32_e32 v114, 29, v69
	v_sub_nc_u32_e32 v69, 30, v69
	v_lshlrev_b32_e32 v114, v114, v25
	v_lshlrev_b32_e32 v25, 24, v25
	v_cndmask_b32_e32 v69, v80, v69, vcc_lo
	v_and_b32_e32 v114, 3, v114
	v_and_b32_e32 v25, 0x80000000, v25
	v_lshl_add_u32 v69, v69, 23, 0x37800000
	v_cndmask_b32_e32 v66, v66, v114, vcc_lo
	v_lshlrev_b32_e32 v66, 21, v66
	v_or3_b32 v66, v25, v69, v66
.LBB4_5814:                             ;   in Loop: Header=BB4_5289 Depth=2
	s_or_b32 exec_lo, exec_lo, s29
	s_waitcnt vmcnt(1) lgkmcnt(1)
	v_cmp_gt_i16_sdwa s29, v24, v100 src0_sel:BYTE_0 src1_sel:DWORD
	s_mov_b32 s12, 0
	s_and_saveexec_b32 s40, s29
	s_xor_b32 s29, exec_lo, s40
	s_cbranch_execz .LBB4_5981
; %bb.5815:                             ;   in Loop: Header=BB4_5289 Depth=2
	v_cmp_eq_u16_sdwa s41, v24, v101 src0_sel:BYTE_0 src1_sel:DWORD
	s_mov_b32 s12, -1
	s_and_saveexec_b32 s40, s41
; %bb.5816:                             ;   in Loop: Header=BB4_5289 Depth=2
	s_xor_b32 s12, exec_lo, -1
; %bb.5817:                             ;   in Loop: Header=BB4_5289 Depth=2
	s_or_b32 exec_lo, exec_lo, s40
	s_and_b32 s12, s12, exec_lo
	s_or_saveexec_b32 s29, s29
	v_mov_b32_e32 v25, 0x7f800001
	s_xor_b32 exec_lo, exec_lo, s29
	s_cbranch_execnz .LBB4_5982
.LBB4_5818:                             ;   in Loop: Header=BB4_5289 Depth=2
	s_or_b32 exec_lo, exec_lo, s29
	s_and_saveexec_b32 s29, s12
	s_cbranch_execz .LBB4_5820
.LBB4_5819:                             ;   in Loop: Header=BB4_5289 Depth=2
	v_and_b32_e32 v25, 3, v24
	v_lshrrev_b16 v80, 2, v24
	v_ffbh_u32_e32 v69, v25
	v_and_b32_e32 v80, 31, v80
	v_min_u32_e32 v69, 32, v69
	v_cmp_eq_u32_e32 vcc_lo, 0, v80
	v_subrev_nc_u32_e32 v114, 29, v69
	v_sub_nc_u32_e32 v69, 30, v69
	v_lshlrev_b32_e32 v114, v114, v24
	v_lshlrev_b32_e32 v24, 24, v24
	v_cndmask_b32_e32 v69, v80, v69, vcc_lo
	v_and_b32_e32 v114, 3, v114
	v_and_b32_e32 v24, 0x80000000, v24
	v_lshl_add_u32 v69, v69, 23, 0x37800000
	v_cndmask_b32_e32 v25, v25, v114, vcc_lo
	v_lshlrev_b32_e32 v25, 21, v25
	v_or3_b32 v25, v24, v69, v25
.LBB4_5820:                             ;   in Loop: Header=BB4_5289 Depth=2
	s_or_b32 exec_lo, exec_lo, s29
	v_max_f32_e32 v24, v25, v25
	v_max_f32_e32 v25, v66, v66
	v_min_f32_e32 v66, v25, v24
.LBB4_5821:                             ;   in Loop: Header=BB4_5289 Depth=2
	s_waitcnt vmcnt(1) lgkmcnt(1)
	v_and_b32_e32 v24, 0x7f800000, v66
	v_cmp_ne_u32_e32 vcc_lo, 0x7f800000, v24
	v_mov_b32_e32 v24, 0x80
	s_and_saveexec_b32 s29, vcc_lo
	s_cbranch_execz .LBB4_5829
; %bb.5822:                             ;   in Loop: Header=BB4_5289 Depth=2
	v_mov_b32_e32 v24, 0
	s_mov_b32 s40, exec_lo
	v_cmpx_ne_u32_e32 0, v66
	s_cbranch_execz .LBB4_5828
; %bb.5823:                             ;   in Loop: Header=BB4_5289 Depth=2
	v_bfe_u32 v24, v66, 23, 8
	v_and_b32_e32 v25, 0x7fffff, v66
	v_sub_nc_u32_e32 v69, 0x70, v24
	v_cmp_gt_u32_e32 vcc_lo, 0x71, v24
	v_or_b32_e32 v80, 0x800000, v25
	v_cndmask_b32_e32 v69, 0, v69, vcc_lo
	v_cmp_eq_u32_e32 vcc_lo, 0, v24
	v_add_nc_u32_e32 v24, 0xffffff91, v24
	v_cndmask_b32_e64 v69, v69, 0x6f, vcc_lo
	v_cndmask_b32_e32 v25, v80, v25, vcc_lo
	v_cndmask_b32_e64 v24, v24, 0xffffff92, vcc_lo
	v_lshl_add_u32 v80, 0x200000, v69, -1
	v_lshrrev_b32_e32 v114, v69, v25
	v_lshlrev_b32_e64 v40, v69, 0x100000
	v_add_nc_u32_e32 v69, v69, v24
	v_and_b32_e32 v25, v80, v25
	v_bfe_u32 v117, v114, 21, 1
	v_cmp_eq_u32_e64 s12, v25, v40
	v_add_nc_u32_e32 v80, -1, v117
	v_cndmask_b32_e64 v25, 0, v80, s12
	v_lshrrev_b32_e32 v80, 23, v114
	s_mov_b32 s12, exec_lo
	v_add_nc_u32_e32 v25, v25, v114
	v_xor_b32_e32 v80, 1, v80
	v_and_b32_e32 v24, 0x1fffff, v25
	v_add_nc_u32_e32 v25, v24, v114
                                        ; implicit-def: $vgpr24
	v_cmpx_ne_u32_e64 v69, v80
	s_xor_b32 s12, exec_lo, s12
; %bb.5824:                             ;   in Loop: Header=BB4_5289 Depth=2
	v_cmp_lt_u32_e32 vcc_lo, 0xffffff, v25
	v_sub_nc_u32_e32 v24, v69, v80
	v_cndmask_b32_e64 v69, 0, 1, vcc_lo
	v_add_co_ci_u32_e64 v24, null, 0, v24, vcc_lo
	v_lshrrev_b32_e32 v25, v69, v25
; %bb.5825:                             ;   in Loop: Header=BB4_5289 Depth=2
	s_andn2_saveexec_b32 s12, s12
; %bb.5826:                             ;   in Loop: Header=BB4_5289 Depth=2
	v_bfe_u32 v24, v25, 23, 1
; %bb.5827:                             ;   in Loop: Header=BB4_5289 Depth=2
	s_or_b32 exec_lo, exec_lo, s12
	v_lshrrev_b32_e32 v25, 21, v25
	v_cmp_gt_i32_e32 vcc_lo, 32, v24
	v_min_i32_e32 v69, 31, v24
	v_and_b32_sdwa v66, v66, v101 dst_sel:DWORD dst_unused:UNUSED_PAD src0_sel:BYTE_3 src1_sel:DWORD
	v_cndmask_b32_e32 v25, 3, v25, vcc_lo
	v_lshlrev_b32_e32 v69, 2, v69
	v_and_b32_e32 v80, 3, v25
	v_or_b32_e32 v24, v24, v25
	v_or3_b32 v25, v69, v66, v80
	v_cmp_ne_u32_e32 vcc_lo, 0, v24
	v_cndmask_b32_e32 v24, 0, v25, vcc_lo
.LBB4_5828:                             ;   in Loop: Header=BB4_5289 Depth=2
	s_or_b32 exec_lo, exec_lo, s40
.LBB4_5829:                             ;   in Loop: Header=BB4_5289 Depth=2
	s_or_b32 exec_lo, exec_lo, s29
	v_cmp_gt_i16_sdwa s29, v22, v100 src0_sel:BYTE_0 src1_sel:DWORD
	s_andn2_b32 vcc_lo, exec_lo, s27
	s_mov_b32 s12, -1
                                        ; implicit-def: $vgpr25
	s_cbranch_vccnz .LBB4_5843
; %bb.5830:                             ;   in Loop: Header=BB4_5289 Depth=2
	s_mov_b32 s12, 0
	s_and_saveexec_b32 s40, s29
	s_xor_b32 s29, exec_lo, s40
	s_cbranch_execz .LBB4_5983
; %bb.5831:                             ;   in Loop: Header=BB4_5289 Depth=2
	v_cmp_eq_u16_sdwa s41, v22, v101 src0_sel:BYTE_0 src1_sel:DWORD
	s_mov_b32 s12, -1
	s_and_saveexec_b32 s40, s41
; %bb.5832:                             ;   in Loop: Header=BB4_5289 Depth=2
	s_xor_b32 s12, exec_lo, -1
; %bb.5833:                             ;   in Loop: Header=BB4_5289 Depth=2
	s_or_b32 exec_lo, exec_lo, s40
	s_and_b32 s12, s12, exec_lo
	s_or_saveexec_b32 s29, s29
	v_mov_b32_e32 v25, 0x7f800001
	s_xor_b32 exec_lo, exec_lo, s29
	s_cbranch_execnz .LBB4_5984
.LBB4_5834:                             ;   in Loop: Header=BB4_5289 Depth=2
	s_or_b32 exec_lo, exec_lo, s29
	s_and_saveexec_b32 s29, s12
	s_cbranch_execz .LBB4_5836
.LBB4_5835:                             ;   in Loop: Header=BB4_5289 Depth=2
	v_and_b32_e32 v25, 3, v22
	v_lshrrev_b16 v69, 2, v22
	v_lshlrev_b32_e32 v114, 24, v22
	v_ffbh_u32_e32 v66, v25
	v_and_b32_e32 v69, 31, v69
	v_min_u32_e32 v66, 32, v66
	v_cmp_eq_u32_e32 vcc_lo, 0, v69
	v_subrev_nc_u32_e32 v80, 29, v66
	v_sub_nc_u32_e32 v66, 30, v66
	v_lshlrev_b32_e32 v80, v80, v22
	v_cndmask_b32_e32 v66, v69, v66, vcc_lo
	v_and_b32_e32 v69, 0x80000000, v114
	v_and_b32_e32 v80, 3, v80
	v_lshl_add_u32 v66, v66, 23, 0x37800000
	v_cndmask_b32_e32 v25, v25, v80, vcc_lo
	v_lshlrev_b32_e32 v25, 21, v25
	v_or3_b32 v25, v69, v66, v25
.LBB4_5836:                             ;   in Loop: Header=BB4_5289 Depth=2
	s_or_b32 exec_lo, exec_lo, s29
	s_waitcnt vmcnt(0) lgkmcnt(0)
	v_cmp_gt_i16_sdwa s29, v21, v100 src0_sel:BYTE_0 src1_sel:DWORD
	s_mov_b32 s12, 0
	s_and_saveexec_b32 s40, s29
	s_xor_b32 s29, exec_lo, s40
	s_cbranch_execz .LBB4_5985
; %bb.5837:                             ;   in Loop: Header=BB4_5289 Depth=2
	v_cmp_eq_u16_sdwa s41, v21, v101 src0_sel:BYTE_0 src1_sel:DWORD
	s_mov_b32 s12, -1
	s_and_saveexec_b32 s40, s41
; %bb.5838:                             ;   in Loop: Header=BB4_5289 Depth=2
	s_xor_b32 s12, exec_lo, -1
; %bb.5839:                             ;   in Loop: Header=BB4_5289 Depth=2
	s_or_b32 exec_lo, exec_lo, s40
	s_and_b32 s12, s12, exec_lo
	s_or_saveexec_b32 s29, s29
	v_mov_b32_e32 v66, 0x7f800001
	s_xor_b32 exec_lo, exec_lo, s29
	s_cbranch_execnz .LBB4_5986
.LBB4_5840:                             ;   in Loop: Header=BB4_5289 Depth=2
	s_or_b32 exec_lo, exec_lo, s29
	s_and_saveexec_b32 s29, s12
	s_cbranch_execz .LBB4_5842
.LBB4_5841:                             ;   in Loop: Header=BB4_5289 Depth=2
	v_and_b32_e32 v66, 3, v21
	v_lshrrev_b16 v80, 2, v21
	v_lshlrev_b32_e32 v117, 24, v21
	v_ffbh_u32_e32 v69, v66
	v_and_b32_e32 v80, 31, v80
	v_min_u32_e32 v69, 32, v69
	v_cmp_eq_u32_e32 vcc_lo, 0, v80
	v_subrev_nc_u32_e32 v114, 29, v69
	v_sub_nc_u32_e32 v69, 30, v69
	v_lshlrev_b32_e32 v114, v114, v21
	v_cndmask_b32_e32 v69, v80, v69, vcc_lo
	v_and_b32_e32 v80, 0x80000000, v117
	v_and_b32_e32 v114, 3, v114
	v_lshl_add_u32 v69, v69, 23, 0x37800000
	v_cndmask_b32_e32 v66, v66, v114, vcc_lo
	v_lshlrev_b32_e32 v66, 21, v66
	v_or3_b32 v66, v80, v69, v66
.LBB4_5842:                             ;   in Loop: Header=BB4_5289 Depth=2
	s_or_b32 exec_lo, exec_lo, s29
	v_max_f32_e32 v66, v66, v66
	v_max_f32_e32 v25, v25, v25
	s_mov_b32 s12, 0
	v_max_f32_e32 v25, v25, v66
.LBB4_5843:                             ;   in Loop: Header=BB4_5289 Depth=2
	s_and_b32 vcc_lo, exec_lo, s12
	s_cbranch_vccz .LBB4_5857
; %bb.5844:                             ;   in Loop: Header=BB4_5289 Depth=2
	v_cmp_gt_i16_sdwa s29, v22, v100 src0_sel:BYTE_0 src1_sel:DWORD
	s_mov_b32 s12, 0
	s_and_saveexec_b32 s40, s29
	s_xor_b32 s29, exec_lo, s40
	s_cbranch_execz .LBB4_5987
; %bb.5845:                             ;   in Loop: Header=BB4_5289 Depth=2
	v_cmp_eq_u16_sdwa s41, v22, v101 src0_sel:BYTE_0 src1_sel:DWORD
	s_mov_b32 s12, -1
	s_and_saveexec_b32 s40, s41
; %bb.5846:                             ;   in Loop: Header=BB4_5289 Depth=2
	s_xor_b32 s12, exec_lo, -1
; %bb.5847:                             ;   in Loop: Header=BB4_5289 Depth=2
	s_or_b32 exec_lo, exec_lo, s40
	s_and_b32 s12, s12, exec_lo
	s_or_saveexec_b32 s29, s29
	v_mov_b32_e32 v25, 0x7f800001
	s_xor_b32 exec_lo, exec_lo, s29
	s_cbranch_execnz .LBB4_5988
.LBB4_5848:                             ;   in Loop: Header=BB4_5289 Depth=2
	s_or_b32 exec_lo, exec_lo, s29
	s_and_saveexec_b32 s29, s12
	s_cbranch_execz .LBB4_5850
.LBB4_5849:                             ;   in Loop: Header=BB4_5289 Depth=2
	v_and_b32_e32 v25, 3, v22
	v_lshrrev_b16 v69, 2, v22
	v_ffbh_u32_e32 v66, v25
	v_and_b32_e32 v69, 31, v69
	v_min_u32_e32 v66, 32, v66
	v_cmp_eq_u32_e32 vcc_lo, 0, v69
	v_subrev_nc_u32_e32 v80, 29, v66
	v_sub_nc_u32_e32 v66, 30, v66
	v_lshlrev_b32_e32 v80, v80, v22
	v_lshlrev_b32_e32 v22, 24, v22
	v_cndmask_b32_e32 v66, v69, v66, vcc_lo
	v_and_b32_e32 v80, 3, v80
	v_and_b32_e32 v22, 0x80000000, v22
	v_lshl_add_u32 v66, v66, 23, 0x37800000
	v_cndmask_b32_e32 v25, v25, v80, vcc_lo
	v_lshlrev_b32_e32 v25, 21, v25
	v_or3_b32 v25, v22, v66, v25
.LBB4_5850:                             ;   in Loop: Header=BB4_5289 Depth=2
	s_or_b32 exec_lo, exec_lo, s29
	s_waitcnt vmcnt(0) lgkmcnt(0)
	v_cmp_gt_i16_sdwa s29, v21, v100 src0_sel:BYTE_0 src1_sel:DWORD
	s_mov_b32 s12, 0
	s_and_saveexec_b32 s40, s29
	s_xor_b32 s29, exec_lo, s40
	s_cbranch_execz .LBB4_5989
; %bb.5851:                             ;   in Loop: Header=BB4_5289 Depth=2
	v_cmp_eq_u16_sdwa s41, v21, v101 src0_sel:BYTE_0 src1_sel:DWORD
	s_mov_b32 s12, -1
	s_and_saveexec_b32 s40, s41
; %bb.5852:                             ;   in Loop: Header=BB4_5289 Depth=2
	s_xor_b32 s12, exec_lo, -1
; %bb.5853:                             ;   in Loop: Header=BB4_5289 Depth=2
	s_or_b32 exec_lo, exec_lo, s40
	s_and_b32 s12, s12, exec_lo
	s_or_saveexec_b32 s29, s29
	v_mov_b32_e32 v22, 0x7f800001
	s_xor_b32 exec_lo, exec_lo, s29
	s_cbranch_execnz .LBB4_5990
.LBB4_5854:                             ;   in Loop: Header=BB4_5289 Depth=2
	s_or_b32 exec_lo, exec_lo, s29
	s_and_saveexec_b32 s29, s12
	s_cbranch_execz .LBB4_5856
.LBB4_5855:                             ;   in Loop: Header=BB4_5289 Depth=2
	v_and_b32_e32 v22, 3, v21
	v_lshrrev_b16 v69, 2, v21
	v_ffbh_u32_e32 v66, v22
	v_and_b32_e32 v69, 31, v69
	v_min_u32_e32 v66, 32, v66
	v_cmp_eq_u32_e32 vcc_lo, 0, v69
	v_subrev_nc_u32_e32 v80, 29, v66
	v_sub_nc_u32_e32 v66, 30, v66
	v_lshlrev_b32_e32 v80, v80, v21
	v_lshlrev_b32_e32 v21, 24, v21
	v_cndmask_b32_e32 v66, v69, v66, vcc_lo
	v_and_b32_e32 v80, 3, v80
	v_and_b32_e32 v21, 0x80000000, v21
	v_lshl_add_u32 v66, v66, 23, 0x37800000
	v_cndmask_b32_e32 v22, v22, v80, vcc_lo
	v_lshlrev_b32_e32 v22, 21, v22
	v_or3_b32 v22, v21, v66, v22
.LBB4_5856:                             ;   in Loop: Header=BB4_5289 Depth=2
	s_or_b32 exec_lo, exec_lo, s29
	v_max_f32_e32 v21, v22, v22
	v_max_f32_e32 v22, v25, v25
	v_min_f32_e32 v25, v22, v21
.LBB4_5857:                             ;   in Loop: Header=BB4_5289 Depth=2
	s_waitcnt vmcnt(0) lgkmcnt(0)
	v_and_b32_e32 v21, 0x7f800000, v25
	v_cmp_ne_u32_e32 vcc_lo, 0x7f800000, v21
	v_mov_b32_e32 v21, 0x80
	s_and_saveexec_b32 s29, vcc_lo
	s_cbranch_execz .LBB4_5288
; %bb.5858:                             ;   in Loop: Header=BB4_5289 Depth=2
	v_mov_b32_e32 v21, 0
	s_mov_b32 s40, exec_lo
	v_cmpx_ne_u32_e32 0, v25
	s_cbranch_execz .LBB4_5287
; %bb.5859:                             ;   in Loop: Header=BB4_5289 Depth=2
	v_bfe_u32 v21, v25, 23, 8
	v_and_b32_e32 v22, 0x7fffff, v25
	v_sub_nc_u32_e32 v66, 0x70, v21
	v_cmp_gt_u32_e32 vcc_lo, 0x71, v21
	v_or_b32_e32 v69, 0x800000, v22
	v_cndmask_b32_e32 v66, 0, v66, vcc_lo
	v_cmp_eq_u32_e32 vcc_lo, 0, v21
	v_add_nc_u32_e32 v21, 0xffffff91, v21
	v_cndmask_b32_e64 v66, v66, 0x6f, vcc_lo
	v_cndmask_b32_e32 v22, v69, v22, vcc_lo
	v_cndmask_b32_e64 v21, v21, 0xffffff92, vcc_lo
	v_lshl_add_u32 v69, 0x200000, v66, -1
	v_lshrrev_b32_e32 v80, v66, v22
	v_lshlrev_b32_e64 v117, v66, 0x100000
	v_add_nc_u32_e32 v66, v66, v21
	v_and_b32_e32 v22, v69, v22
	v_bfe_u32 v114, v80, 21, 1
	v_cmp_eq_u32_e64 s12, v22, v117
	v_add_nc_u32_e32 v69, -1, v114
	v_cndmask_b32_e64 v22, 0, v69, s12
	v_lshrrev_b32_e32 v69, 23, v80
	s_mov_b32 s12, exec_lo
	v_add_nc_u32_e32 v22, v22, v80
	v_xor_b32_e32 v69, 1, v69
	v_and_b32_e32 v21, 0x1fffff, v22
	v_add_nc_u32_e32 v22, v21, v80
                                        ; implicit-def: $vgpr21
	v_cmpx_ne_u32_e64 v66, v69
	s_xor_b32 s12, exec_lo, s12
; %bb.5860:                             ;   in Loop: Header=BB4_5289 Depth=2
	v_cmp_lt_u32_e32 vcc_lo, 0xffffff, v22
	v_sub_nc_u32_e32 v21, v66, v69
	v_cndmask_b32_e64 v66, 0, 1, vcc_lo
	v_add_co_ci_u32_e64 v21, null, 0, v21, vcc_lo
	v_lshrrev_b32_e32 v22, v66, v22
; %bb.5861:                             ;   in Loop: Header=BB4_5289 Depth=2
	s_andn2_saveexec_b32 s12, s12
	s_cbranch_execz .LBB4_5286
; %bb.5862:                             ;   in Loop: Header=BB4_5289 Depth=2
	v_bfe_u32 v21, v22, 23, 1
	s_branch .LBB4_5286
.LBB4_5863:                             ;   in Loop: Header=BB4_5289 Depth=2
	s_or_saveexec_b32 s29, s29
	v_mov_b32_e32 v58, 0x7f800001
	s_xor_b32 exec_lo, exec_lo, s29
	s_cbranch_execz .LBB4_5294
.LBB4_5864:                             ;   in Loop: Header=BB4_5289 Depth=2
	v_cmp_ne_u16_sdwa s40, v57, v51 src0_sel:BYTE_0 src1_sel:DWORD
	v_mov_b32_e32 v58, 0
	s_andn2_b32 s12, s12, exec_lo
	s_and_b32 s40, s40, exec_lo
	s_or_b32 s12, s12, s40
	s_or_b32 exec_lo, exec_lo, s29
	s_and_saveexec_b32 s29, s12
	s_cbranch_execnz .LBB4_5295
	s_branch .LBB4_5296
.LBB4_5865:                             ;   in Loop: Header=BB4_5289 Depth=2
	s_or_saveexec_b32 s29, s29
	v_mov_b32_e32 v59, 0x7f800001
	s_xor_b32 exec_lo, exec_lo, s29
	s_cbranch_execz .LBB4_5300
.LBB4_5866:                             ;   in Loop: Header=BB4_5289 Depth=2
	v_cmp_ne_u16_sdwa s40, v23, v51 src0_sel:BYTE_0 src1_sel:DWORD
	v_mov_b32_e32 v59, 0
	s_andn2_b32 s12, s12, exec_lo
	s_and_b32 s40, s40, exec_lo
	s_or_b32 s12, s12, s40
	s_or_b32 exec_lo, exec_lo, s29
	s_and_saveexec_b32 s29, s12
	s_cbranch_execnz .LBB4_5301
	s_branch .LBB4_5302
.LBB4_5867:                             ;   in Loop: Header=BB4_5289 Depth=2
	s_or_saveexec_b32 s29, s29
	v_mov_b32_e32 v58, 0x7f800001
	s_xor_b32 exec_lo, exec_lo, s29
	s_cbranch_execz .LBB4_5308
.LBB4_5868:                             ;   in Loop: Header=BB4_5289 Depth=2
	v_cmp_ne_u16_sdwa s40, v57, v51 src0_sel:BYTE_0 src1_sel:DWORD
	v_mov_b32_e32 v58, 0
	s_andn2_b32 s12, s12, exec_lo
	s_and_b32 s40, s40, exec_lo
	s_or_b32 s12, s12, s40
	s_or_b32 exec_lo, exec_lo, s29
	s_and_saveexec_b32 s29, s12
	s_cbranch_execnz .LBB4_5309
	s_branch .LBB4_5310
.LBB4_5869:                             ;   in Loop: Header=BB4_5289 Depth=2
	s_or_saveexec_b32 s29, s29
	v_mov_b32_e32 v57, 0x7f800001
	s_xor_b32 exec_lo, exec_lo, s29
	s_cbranch_execz .LBB4_5314
.LBB4_5870:                             ;   in Loop: Header=BB4_5289 Depth=2
	v_cmp_ne_u16_sdwa s40, v23, v51 src0_sel:BYTE_0 src1_sel:DWORD
	v_mov_b32_e32 v57, 0
	s_andn2_b32 s12, s12, exec_lo
	s_and_b32 s40, s40, exec_lo
	s_or_b32 s12, s12, s40
	s_or_b32 exec_lo, exec_lo, s29
	s_and_saveexec_b32 s29, s12
	s_cbranch_execnz .LBB4_5315
	s_branch .LBB4_5316
.LBB4_5871:                             ;   in Loop: Header=BB4_5289 Depth=2
	s_or_saveexec_b32 s29, s29
	v_mov_b32_e32 v57, 0x7f800001
	s_xor_b32 exec_lo, exec_lo, s29
	s_cbranch_execz .LBB4_5330
.LBB4_5872:                             ;   in Loop: Header=BB4_5289 Depth=2
	v_cmp_ne_u16_sdwa s40, v56, v51 src0_sel:BYTE_0 src1_sel:DWORD
	v_mov_b32_e32 v57, 0
	s_andn2_b32 s12, s12, exec_lo
	s_and_b32 s40, s40, exec_lo
	s_or_b32 s12, s12, s40
	s_or_b32 exec_lo, exec_lo, s29
	s_and_saveexec_b32 s29, s12
	s_cbranch_execnz .LBB4_5331
	s_branch .LBB4_5332
.LBB4_5873:                             ;   in Loop: Header=BB4_5289 Depth=2
	s_or_saveexec_b32 s29, s29
	v_mov_b32_e32 v58, 0x7f800001
	s_xor_b32 exec_lo, exec_lo, s29
	s_cbranch_execz .LBB4_5336
.LBB4_5874:                             ;   in Loop: Header=BB4_5289 Depth=2
	v_cmp_ne_u16_sdwa s40, v64, v51 src0_sel:BYTE_0 src1_sel:DWORD
	v_mov_b32_e32 v58, 0
	s_andn2_b32 s12, s12, exec_lo
	s_and_b32 s40, s40, exec_lo
	s_or_b32 s12, s12, s40
	s_or_b32 exec_lo, exec_lo, s29
	s_and_saveexec_b32 s29, s12
	s_cbranch_execnz .LBB4_5337
	s_branch .LBB4_5338
.LBB4_5875:                             ;   in Loop: Header=BB4_5289 Depth=2
	s_or_saveexec_b32 s29, s29
	v_mov_b32_e32 v57, 0x7f800001
	s_xor_b32 exec_lo, exec_lo, s29
	s_cbranch_execz .LBB4_5344
.LBB4_5876:                             ;   in Loop: Header=BB4_5289 Depth=2
	v_cmp_ne_u16_sdwa s40, v56, v51 src0_sel:BYTE_0 src1_sel:DWORD
	v_mov_b32_e32 v57, 0
	s_andn2_b32 s12, s12, exec_lo
	s_and_b32 s40, s40, exec_lo
	s_or_b32 s12, s12, s40
	s_or_b32 exec_lo, exec_lo, s29
	s_and_saveexec_b32 s29, s12
	s_cbranch_execnz .LBB4_5345
	s_branch .LBB4_5346
.LBB4_5877:                             ;   in Loop: Header=BB4_5289 Depth=2
	s_or_saveexec_b32 s29, s29
	v_mov_b32_e32 v56, 0x7f800001
	s_xor_b32 exec_lo, exec_lo, s29
	s_cbranch_execz .LBB4_5350
.LBB4_5878:                             ;   in Loop: Header=BB4_5289 Depth=2
	v_cmp_ne_u16_sdwa s40, v64, v51 src0_sel:BYTE_0 src1_sel:DWORD
	v_mov_b32_e32 v56, 0
	s_andn2_b32 s12, s12, exec_lo
	s_and_b32 s40, s40, exec_lo
	s_or_b32 s12, s12, s40
	s_or_b32 exec_lo, exec_lo, s29
	s_and_saveexec_b32 s29, s12
	s_cbranch_execnz .LBB4_5351
	s_branch .LBB4_5352
.LBB4_5879:                             ;   in Loop: Header=BB4_5289 Depth=2
	s_or_saveexec_b32 s29, s29
	v_mov_b32_e32 v56, 0x7f800001
	s_xor_b32 exec_lo, exec_lo, s29
	s_cbranch_execz .LBB4_5366
.LBB4_5880:                             ;   in Loop: Header=BB4_5289 Depth=2
	v_cmp_ne_u16_sdwa s40, v47, v51 src0_sel:BYTE_0 src1_sel:DWORD
	v_mov_b32_e32 v56, 0
	s_andn2_b32 s12, s12, exec_lo
	s_and_b32 s40, s40, exec_lo
	s_or_b32 s12, s12, s40
	s_or_b32 exec_lo, exec_lo, s29
	s_and_saveexec_b32 s29, s12
	s_cbranch_execnz .LBB4_5367
	s_branch .LBB4_5368
.LBB4_5881:                             ;   in Loop: Header=BB4_5289 Depth=2
	s_or_saveexec_b32 s29, s29
	v_mov_b32_e32 v57, 0x7f800001
	s_xor_b32 exec_lo, exec_lo, s29
	s_cbranch_execz .LBB4_5372
.LBB4_5882:                             ;   in Loop: Header=BB4_5289 Depth=2
	v_cmp_ne_u16_sdwa s40, v67, v51 src0_sel:BYTE_0 src1_sel:DWORD
	v_mov_b32_e32 v57, 0
	s_andn2_b32 s12, s12, exec_lo
	s_and_b32 s40, s40, exec_lo
	s_or_b32 s12, s12, s40
	s_or_b32 exec_lo, exec_lo, s29
	s_and_saveexec_b32 s29, s12
	s_cbranch_execnz .LBB4_5373
	s_branch .LBB4_5374
.LBB4_5883:                             ;   in Loop: Header=BB4_5289 Depth=2
	s_or_saveexec_b32 s29, s29
	v_mov_b32_e32 v56, 0x7f800001
	s_xor_b32 exec_lo, exec_lo, s29
	s_cbranch_execz .LBB4_5380
.LBB4_5884:                             ;   in Loop: Header=BB4_5289 Depth=2
	v_cmp_ne_u16_sdwa s40, v47, v51 src0_sel:BYTE_0 src1_sel:DWORD
	v_mov_b32_e32 v56, 0
	s_andn2_b32 s12, s12, exec_lo
	s_and_b32 s40, s40, exec_lo
	s_or_b32 s12, s12, s40
	s_or_b32 exec_lo, exec_lo, s29
	s_and_saveexec_b32 s29, s12
	s_cbranch_execnz .LBB4_5381
	s_branch .LBB4_5382
.LBB4_5885:                             ;   in Loop: Header=BB4_5289 Depth=2
	s_or_saveexec_b32 s29, s29
	v_mov_b32_e32 v47, 0x7f800001
	s_xor_b32 exec_lo, exec_lo, s29
	s_cbranch_execz .LBB4_5386
.LBB4_5886:                             ;   in Loop: Header=BB4_5289 Depth=2
	v_cmp_ne_u16_sdwa s40, v67, v51 src0_sel:BYTE_0 src1_sel:DWORD
	v_mov_b32_e32 v47, 0
	s_andn2_b32 s12, s12, exec_lo
	s_and_b32 s40, s40, exec_lo
	s_or_b32 s12, s12, s40
	s_or_b32 exec_lo, exec_lo, s29
	s_and_saveexec_b32 s29, s12
	s_cbranch_execnz .LBB4_5387
	s_branch .LBB4_5388
.LBB4_5887:                             ;   in Loop: Header=BB4_5289 Depth=2
	s_or_saveexec_b32 s29, s29
	v_mov_b32_e32 v47, 0x7f800001
	s_xor_b32 exec_lo, exec_lo, s29
	s_cbranch_execz .LBB4_5402
.LBB4_5888:                             ;   in Loop: Header=BB4_5289 Depth=2
	v_cmp_ne_u16_sdwa s40, v46, v51 src0_sel:BYTE_0 src1_sel:DWORD
	v_mov_b32_e32 v47, 0
	s_andn2_b32 s12, s12, exec_lo
	s_and_b32 s40, s40, exec_lo
	s_or_b32 s12, s12, s40
	s_or_b32 exec_lo, exec_lo, s29
	s_and_saveexec_b32 s29, s12
	s_cbranch_execnz .LBB4_5403
	s_branch .LBB4_5404
.LBB4_5889:                             ;   in Loop: Header=BB4_5289 Depth=2
	s_or_saveexec_b32 s29, s29
	v_mov_b32_e32 v56, 0x7f800001
	s_xor_b32 exec_lo, exec_lo, s29
	s_cbranch_execz .LBB4_5408
.LBB4_5890:                             ;   in Loop: Header=BB4_5289 Depth=2
	v_cmp_ne_u16_sdwa s40, v70, v51 src0_sel:BYTE_0 src1_sel:DWORD
	v_mov_b32_e32 v56, 0
	s_andn2_b32 s12, s12, exec_lo
	s_and_b32 s40, s40, exec_lo
	s_or_b32 s12, s12, s40
	s_or_b32 exec_lo, exec_lo, s29
	s_and_saveexec_b32 s29, s12
	s_cbranch_execnz .LBB4_5409
	s_branch .LBB4_5410
.LBB4_5891:                             ;   in Loop: Header=BB4_5289 Depth=2
	s_or_saveexec_b32 s29, s29
	v_mov_b32_e32 v47, 0x7f800001
	s_xor_b32 exec_lo, exec_lo, s29
	s_cbranch_execz .LBB4_5416
.LBB4_5892:                             ;   in Loop: Header=BB4_5289 Depth=2
	v_cmp_ne_u16_sdwa s40, v46, v51 src0_sel:BYTE_0 src1_sel:DWORD
	v_mov_b32_e32 v47, 0
	s_andn2_b32 s12, s12, exec_lo
	s_and_b32 s40, s40, exec_lo
	s_or_b32 s12, s12, s40
	s_or_b32 exec_lo, exec_lo, s29
	s_and_saveexec_b32 s29, s12
	s_cbranch_execnz .LBB4_5417
	s_branch .LBB4_5418
.LBB4_5893:                             ;   in Loop: Header=BB4_5289 Depth=2
	s_or_saveexec_b32 s29, s29
	v_mov_b32_e32 v46, 0x7f800001
	s_xor_b32 exec_lo, exec_lo, s29
	s_cbranch_execz .LBB4_5422
.LBB4_5894:                             ;   in Loop: Header=BB4_5289 Depth=2
	v_cmp_ne_u16_sdwa s40, v70, v51 src0_sel:BYTE_0 src1_sel:DWORD
	v_mov_b32_e32 v46, 0
	s_andn2_b32 s12, s12, exec_lo
	s_and_b32 s40, s40, exec_lo
	s_or_b32 s12, s12, s40
	s_or_b32 exec_lo, exec_lo, s29
	s_and_saveexec_b32 s29, s12
	s_cbranch_execnz .LBB4_5423
	s_branch .LBB4_5424
.LBB4_5895:                             ;   in Loop: Header=BB4_5289 Depth=2
	s_or_saveexec_b32 s29, s29
	v_mov_b32_e32 v46, 0x7f800001
	s_xor_b32 exec_lo, exec_lo, s29
	s_cbranch_execz .LBB4_5438
.LBB4_5896:                             ;   in Loop: Header=BB4_5289 Depth=2
	v_cmp_ne_u16_sdwa s40, v45, v51 src0_sel:BYTE_0 src1_sel:DWORD
	v_mov_b32_e32 v46, 0
	s_andn2_b32 s12, s12, exec_lo
	s_and_b32 s40, s40, exec_lo
	s_or_b32 s12, s12, s40
	s_or_b32 exec_lo, exec_lo, s29
	s_and_saveexec_b32 s29, s12
	s_cbranch_execnz .LBB4_5439
	s_branch .LBB4_5440
.LBB4_5897:                             ;   in Loop: Header=BB4_5289 Depth=2
	s_or_saveexec_b32 s29, s29
	v_mov_b32_e32 v47, 0x7f800001
	s_xor_b32 exec_lo, exec_lo, s29
	s_cbranch_execz .LBB4_5444
.LBB4_5898:                             ;   in Loop: Header=BB4_5289 Depth=2
	v_cmp_ne_u16_sdwa s40, v81, v51 src0_sel:BYTE_0 src1_sel:DWORD
	v_mov_b32_e32 v47, 0
	s_andn2_b32 s12, s12, exec_lo
	s_and_b32 s40, s40, exec_lo
	s_or_b32 s12, s12, s40
	s_or_b32 exec_lo, exec_lo, s29
	s_and_saveexec_b32 s29, s12
	s_cbranch_execnz .LBB4_5445
	s_branch .LBB4_5446
.LBB4_5899:                             ;   in Loop: Header=BB4_5289 Depth=2
	s_or_saveexec_b32 s29, s29
	v_mov_b32_e32 v46, 0x7f800001
	s_xor_b32 exec_lo, exec_lo, s29
	s_cbranch_execz .LBB4_5452
.LBB4_5900:                             ;   in Loop: Header=BB4_5289 Depth=2
	v_cmp_ne_u16_sdwa s40, v45, v51 src0_sel:BYTE_0 src1_sel:DWORD
	v_mov_b32_e32 v46, 0
	s_andn2_b32 s12, s12, exec_lo
	s_and_b32 s40, s40, exec_lo
	s_or_b32 s12, s12, s40
	s_or_b32 exec_lo, exec_lo, s29
	s_and_saveexec_b32 s29, s12
	s_cbranch_execnz .LBB4_5453
	s_branch .LBB4_5454
.LBB4_5901:                             ;   in Loop: Header=BB4_5289 Depth=2
	s_or_saveexec_b32 s29, s29
	v_mov_b32_e32 v45, 0x7f800001
	s_xor_b32 exec_lo, exec_lo, s29
	s_cbranch_execz .LBB4_5458
.LBB4_5902:                             ;   in Loop: Header=BB4_5289 Depth=2
	v_cmp_ne_u16_sdwa s40, v81, v51 src0_sel:BYTE_0 src1_sel:DWORD
	v_mov_b32_e32 v45, 0
	s_andn2_b32 s12, s12, exec_lo
	s_and_b32 s40, s40, exec_lo
	s_or_b32 s12, s12, s40
	s_or_b32 exec_lo, exec_lo, s29
	s_and_saveexec_b32 s29, s12
	s_cbranch_execnz .LBB4_5459
	s_branch .LBB4_5460
.LBB4_5903:                             ;   in Loop: Header=BB4_5289 Depth=2
	s_or_saveexec_b32 s29, s29
	v_mov_b32_e32 v45, 0x7f800001
	s_xor_b32 exec_lo, exec_lo, s29
	s_cbranch_execz .LBB4_5474
.LBB4_5904:                             ;   in Loop: Header=BB4_5289 Depth=2
	v_cmp_ne_u16_sdwa s40, v44, v51 src0_sel:BYTE_0 src1_sel:DWORD
	v_mov_b32_e32 v45, 0
	s_andn2_b32 s12, s12, exec_lo
	s_and_b32 s40, s40, exec_lo
	s_or_b32 s12, s12, s40
	s_or_b32 exec_lo, exec_lo, s29
	s_and_saveexec_b32 s29, s12
	s_cbranch_execnz .LBB4_5475
	s_branch .LBB4_5476
.LBB4_5905:                             ;   in Loop: Header=BB4_5289 Depth=2
	s_or_saveexec_b32 s29, s29
	v_mov_b32_e32 v46, 0x7f800001
	s_xor_b32 exec_lo, exec_lo, s29
	s_cbranch_execz .LBB4_5480
.LBB4_5906:                             ;   in Loop: Header=BB4_5289 Depth=2
	v_cmp_ne_u16_sdwa s40, v115, v51 src0_sel:BYTE_0 src1_sel:DWORD
	v_mov_b32_e32 v46, 0
	s_andn2_b32 s12, s12, exec_lo
	s_and_b32 s40, s40, exec_lo
	s_or_b32 s12, s12, s40
	s_or_b32 exec_lo, exec_lo, s29
	s_and_saveexec_b32 s29, s12
	s_cbranch_execnz .LBB4_5481
	s_branch .LBB4_5482
.LBB4_5907:                             ;   in Loop: Header=BB4_5289 Depth=2
	s_or_saveexec_b32 s29, s29
	v_mov_b32_e32 v45, 0x7f800001
	s_xor_b32 exec_lo, exec_lo, s29
	s_cbranch_execz .LBB4_5488
.LBB4_5908:                             ;   in Loop: Header=BB4_5289 Depth=2
	v_cmp_ne_u16_sdwa s40, v44, v51 src0_sel:BYTE_0 src1_sel:DWORD
	v_mov_b32_e32 v45, 0
	s_andn2_b32 s12, s12, exec_lo
	s_and_b32 s40, s40, exec_lo
	s_or_b32 s12, s12, s40
	s_or_b32 exec_lo, exec_lo, s29
	s_and_saveexec_b32 s29, s12
	s_cbranch_execnz .LBB4_5489
	s_branch .LBB4_5490
.LBB4_5909:                             ;   in Loop: Header=BB4_5289 Depth=2
	s_or_saveexec_b32 s29, s29
	v_mov_b32_e32 v44, 0x7f800001
	s_xor_b32 exec_lo, exec_lo, s29
	s_cbranch_execz .LBB4_5494
.LBB4_5910:                             ;   in Loop: Header=BB4_5289 Depth=2
	v_cmp_ne_u16_sdwa s40, v115, v51 src0_sel:BYTE_0 src1_sel:DWORD
	v_mov_b32_e32 v44, 0
	s_andn2_b32 s12, s12, exec_lo
	s_and_b32 s40, s40, exec_lo
	s_or_b32 s12, s12, s40
	s_or_b32 exec_lo, exec_lo, s29
	s_and_saveexec_b32 s29, s12
	s_cbranch_execnz .LBB4_5495
	s_branch .LBB4_5496
.LBB4_5911:                             ;   in Loop: Header=BB4_5289 Depth=2
	s_or_saveexec_b32 s29, s29
	v_mov_b32_e32 v44, 0x7f800001
	s_xor_b32 exec_lo, exec_lo, s29
	s_cbranch_execz .LBB4_5510
.LBB4_5912:                             ;   in Loop: Header=BB4_5289 Depth=2
	v_cmp_ne_u16_sdwa s40, v43, v51 src0_sel:BYTE_0 src1_sel:DWORD
	v_mov_b32_e32 v44, 0
	s_andn2_b32 s12, s12, exec_lo
	s_and_b32 s40, s40, exec_lo
	s_or_b32 s12, s12, s40
	s_or_b32 exec_lo, exec_lo, s29
	s_and_saveexec_b32 s29, s12
	s_cbranch_execnz .LBB4_5511
	s_branch .LBB4_5512
.LBB4_5913:                             ;   in Loop: Header=BB4_5289 Depth=2
	s_or_saveexec_b32 s29, s29
	v_mov_b32_e32 v45, 0x7f800001
	s_xor_b32 exec_lo, exec_lo, s29
	s_cbranch_execz .LBB4_5516
.LBB4_5914:                             ;   in Loop: Header=BB4_5289 Depth=2
	v_cmp_ne_u16_sdwa s40, v118, v51 src0_sel:BYTE_0 src1_sel:DWORD
	v_mov_b32_e32 v45, 0
	s_andn2_b32 s12, s12, exec_lo
	s_and_b32 s40, s40, exec_lo
	s_or_b32 s12, s12, s40
	s_or_b32 exec_lo, exec_lo, s29
	s_and_saveexec_b32 s29, s12
	s_cbranch_execnz .LBB4_5517
	s_branch .LBB4_5518
.LBB4_5915:                             ;   in Loop: Header=BB4_5289 Depth=2
	s_or_saveexec_b32 s29, s29
	v_mov_b32_e32 v44, 0x7f800001
	s_xor_b32 exec_lo, exec_lo, s29
	s_cbranch_execz .LBB4_5524
.LBB4_5916:                             ;   in Loop: Header=BB4_5289 Depth=2
	v_cmp_ne_u16_sdwa s40, v43, v51 src0_sel:BYTE_0 src1_sel:DWORD
	v_mov_b32_e32 v44, 0
	s_andn2_b32 s12, s12, exec_lo
	s_and_b32 s40, s40, exec_lo
	s_or_b32 s12, s12, s40
	s_or_b32 exec_lo, exec_lo, s29
	s_and_saveexec_b32 s29, s12
	s_cbranch_execnz .LBB4_5525
	s_branch .LBB4_5526
.LBB4_5917:                             ;   in Loop: Header=BB4_5289 Depth=2
	s_or_saveexec_b32 s29, s29
	v_mov_b32_e32 v43, 0x7f800001
	s_xor_b32 exec_lo, exec_lo, s29
	s_cbranch_execz .LBB4_5530
.LBB4_5918:                             ;   in Loop: Header=BB4_5289 Depth=2
	v_cmp_ne_u16_sdwa s40, v118, v51 src0_sel:BYTE_0 src1_sel:DWORD
	v_mov_b32_e32 v43, 0
	s_andn2_b32 s12, s12, exec_lo
	s_and_b32 s40, s40, exec_lo
	s_or_b32 s12, s12, s40
	s_or_b32 exec_lo, exec_lo, s29
	s_and_saveexec_b32 s29, s12
	s_cbranch_execnz .LBB4_5531
	s_branch .LBB4_5532
.LBB4_5919:                             ;   in Loop: Header=BB4_5289 Depth=2
	s_or_saveexec_b32 s29, s29
	v_mov_b32_e32 v43, 0x7f800001
	s_xor_b32 exec_lo, exec_lo, s29
	s_cbranch_execz .LBB4_5546
.LBB4_5920:                             ;   in Loop: Header=BB4_5289 Depth=2
	v_cmp_ne_u16_sdwa s40, v42, v51 src0_sel:BYTE_0 src1_sel:DWORD
	v_mov_b32_e32 v43, 0
	s_andn2_b32 s12, s12, exec_lo
	s_and_b32 s40, s40, exec_lo
	s_or_b32 s12, s12, s40
	s_or_b32 exec_lo, exec_lo, s29
	s_and_saveexec_b32 s29, s12
	s_cbranch_execnz .LBB4_5547
	s_branch .LBB4_5548
.LBB4_5921:                             ;   in Loop: Header=BB4_5289 Depth=2
	s_or_saveexec_b32 s29, s29
	v_mov_b32_e32 v44, 0x7f800001
	s_xor_b32 exec_lo, exec_lo, s29
	s_cbranch_execz .LBB4_5552
.LBB4_5922:                             ;   in Loop: Header=BB4_5289 Depth=2
	v_cmp_ne_u16_sdwa s40, v41, v51 src0_sel:BYTE_0 src1_sel:DWORD
	v_mov_b32_e32 v44, 0
	s_andn2_b32 s12, s12, exec_lo
	s_and_b32 s40, s40, exec_lo
	s_or_b32 s12, s12, s40
	s_or_b32 exec_lo, exec_lo, s29
	s_and_saveexec_b32 s29, s12
	s_cbranch_execnz .LBB4_5553
	s_branch .LBB4_5554
.LBB4_5923:                             ;   in Loop: Header=BB4_5289 Depth=2
	s_or_saveexec_b32 s29, s29
	v_mov_b32_e32 v43, 0x7f800001
	s_xor_b32 exec_lo, exec_lo, s29
	s_cbranch_execz .LBB4_5560
.LBB4_5924:                             ;   in Loop: Header=BB4_5289 Depth=2
	v_cmp_ne_u16_sdwa s40, v42, v51 src0_sel:BYTE_0 src1_sel:DWORD
	v_mov_b32_e32 v43, 0
	s_andn2_b32 s12, s12, exec_lo
	s_and_b32 s40, s40, exec_lo
	s_or_b32 s12, s12, s40
	s_or_b32 exec_lo, exec_lo, s29
	s_and_saveexec_b32 s29, s12
	s_cbranch_execnz .LBB4_5561
	s_branch .LBB4_5562
.LBB4_5925:                             ;   in Loop: Header=BB4_5289 Depth=2
	s_or_saveexec_b32 s29, s29
	v_mov_b32_e32 v42, 0x7f800001
	s_xor_b32 exec_lo, exec_lo, s29
	s_cbranch_execz .LBB4_5566
.LBB4_5926:                             ;   in Loop: Header=BB4_5289 Depth=2
	v_cmp_ne_u16_sdwa s40, v41, v51 src0_sel:BYTE_0 src1_sel:DWORD
	v_mov_b32_e32 v42, 0
	s_andn2_b32 s12, s12, exec_lo
	s_and_b32 s40, s40, exec_lo
	s_or_b32 s12, s12, s40
	s_or_b32 exec_lo, exec_lo, s29
	s_and_saveexec_b32 s29, s12
	s_cbranch_execnz .LBB4_5567
	s_branch .LBB4_5568
.LBB4_5927:                             ;   in Loop: Header=BB4_5289 Depth=2
	s_or_saveexec_b32 s29, s29
	v_mov_b32_e32 v42, 0x7f800001
	s_xor_b32 exec_lo, exec_lo, s29
	s_cbranch_execz .LBB4_5582
.LBB4_5928:                             ;   in Loop: Header=BB4_5289 Depth=2
	v_cmp_ne_u16_sdwa s40, v40, v51 src0_sel:BYTE_0 src1_sel:DWORD
	v_mov_b32_e32 v42, 0
	s_andn2_b32 s12, s12, exec_lo
	s_and_b32 s40, s40, exec_lo
	s_or_b32 s12, s12, s40
	s_or_b32 exec_lo, exec_lo, s29
	s_and_saveexec_b32 s29, s12
	s_cbranch_execnz .LBB4_5583
	s_branch .LBB4_5584
.LBB4_5929:                             ;   in Loop: Header=BB4_5289 Depth=2
	s_or_saveexec_b32 s29, s29
	v_mov_b32_e32 v43, 0x7f800001
	s_xor_b32 exec_lo, exec_lo, s29
	s_cbranch_execz .LBB4_5588
.LBB4_5930:                             ;   in Loop: Header=BB4_5289 Depth=2
	v_cmp_ne_u16_sdwa s40, v119, v51 src0_sel:BYTE_0 src1_sel:DWORD
	v_mov_b32_e32 v43, 0
	s_andn2_b32 s12, s12, exec_lo
	s_and_b32 s40, s40, exec_lo
	s_or_b32 s12, s12, s40
	s_or_b32 exec_lo, exec_lo, s29
	s_and_saveexec_b32 s29, s12
	s_cbranch_execnz .LBB4_5589
	s_branch .LBB4_5590
.LBB4_5931:                             ;   in Loop: Header=BB4_5289 Depth=2
	s_or_saveexec_b32 s29, s29
	v_mov_b32_e32 v42, 0x7f800001
	s_xor_b32 exec_lo, exec_lo, s29
	s_cbranch_execz .LBB4_5596
.LBB4_5932:                             ;   in Loop: Header=BB4_5289 Depth=2
	v_cmp_ne_u16_sdwa s40, v40, v51 src0_sel:BYTE_0 src1_sel:DWORD
	v_mov_b32_e32 v42, 0
	s_andn2_b32 s12, s12, exec_lo
	s_and_b32 s40, s40, exec_lo
	s_or_b32 s12, s12, s40
	s_or_b32 exec_lo, exec_lo, s29
	s_and_saveexec_b32 s29, s12
	s_cbranch_execnz .LBB4_5597
	s_branch .LBB4_5598
.LBB4_5933:                             ;   in Loop: Header=BB4_5289 Depth=2
	s_or_saveexec_b32 s29, s29
	v_mov_b32_e32 v40, 0x7f800001
	s_xor_b32 exec_lo, exec_lo, s29
	s_cbranch_execz .LBB4_5602
.LBB4_5934:                             ;   in Loop: Header=BB4_5289 Depth=2
	v_cmp_ne_u16_sdwa s40, v119, v51 src0_sel:BYTE_0 src1_sel:DWORD
	v_mov_b32_e32 v40, 0
	s_andn2_b32 s12, s12, exec_lo
	s_and_b32 s40, s40, exec_lo
	s_or_b32 s12, s12, s40
	s_or_b32 exec_lo, exec_lo, s29
	s_and_saveexec_b32 s29, s12
	s_cbranch_execnz .LBB4_5603
	s_branch .LBB4_5604
.LBB4_5935:                             ;   in Loop: Header=BB4_5289 Depth=2
	s_or_saveexec_b32 s29, s29
	v_mov_b32_e32 v40, 0x7f800001
	s_xor_b32 exec_lo, exec_lo, s29
	s_cbranch_execz .LBB4_5618
.LBB4_5936:                             ;   in Loop: Header=BB4_5289 Depth=2
	v_cmp_ne_u16_sdwa s40, v117, v51 src0_sel:BYTE_0 src1_sel:DWORD
	v_mov_b32_e32 v40, 0
	s_andn2_b32 s12, s12, exec_lo
	s_and_b32 s40, s40, exec_lo
	s_or_b32 s12, s12, s40
	s_or_b32 exec_lo, exec_lo, s29
	s_and_saveexec_b32 s29, s12
	s_cbranch_execnz .LBB4_5619
	s_branch .LBB4_5620
.LBB4_5937:                             ;   in Loop: Header=BB4_5289 Depth=2
	s_or_saveexec_b32 s29, s29
	v_mov_b32_e32 v42, 0x7f800001
	s_xor_b32 exec_lo, exec_lo, s29
	s_cbranch_execz .LBB4_5624
.LBB4_5938:                             ;   in Loop: Header=BB4_5289 Depth=2
	v_cmp_ne_u16_sdwa s40, v116, v51 src0_sel:BYTE_0 src1_sel:DWORD
	v_mov_b32_e32 v42, 0
	s_andn2_b32 s12, s12, exec_lo
	s_and_b32 s40, s40, exec_lo
	s_or_b32 s12, s12, s40
	s_or_b32 exec_lo, exec_lo, s29
	s_and_saveexec_b32 s29, s12
	s_cbranch_execnz .LBB4_5625
	s_branch .LBB4_5626
.LBB4_5939:                             ;   in Loop: Header=BB4_5289 Depth=2
	s_or_saveexec_b32 s29, s29
	v_mov_b32_e32 v40, 0x7f800001
	s_xor_b32 exec_lo, exec_lo, s29
	s_cbranch_execz .LBB4_5632
.LBB4_5940:                             ;   in Loop: Header=BB4_5289 Depth=2
	v_cmp_ne_u16_sdwa s40, v117, v51 src0_sel:BYTE_0 src1_sel:DWORD
	v_mov_b32_e32 v40, 0
	s_andn2_b32 s12, s12, exec_lo
	s_and_b32 s40, s40, exec_lo
	s_or_b32 s12, s12, s40
	s_or_b32 exec_lo, exec_lo, s29
	s_and_saveexec_b32 s29, s12
	s_cbranch_execnz .LBB4_5633
	s_branch .LBB4_5634
.LBB4_5941:                             ;   in Loop: Header=BB4_5289 Depth=2
	s_or_saveexec_b32 s29, s29
	v_mov_b32_e32 v117, 0x7f800001
	s_xor_b32 exec_lo, exec_lo, s29
	s_cbranch_execz .LBB4_5638
.LBB4_5942:                             ;   in Loop: Header=BB4_5289 Depth=2
	v_cmp_ne_u16_sdwa s40, v116, v51 src0_sel:BYTE_0 src1_sel:DWORD
	v_mov_b32_e32 v117, 0
	s_andn2_b32 s12, s12, exec_lo
	s_and_b32 s40, s40, exec_lo
	s_or_b32 s12, s12, s40
	s_or_b32 exec_lo, exec_lo, s29
	s_and_saveexec_b32 s29, s12
	s_cbranch_execnz .LBB4_5639
	s_branch .LBB4_5640
.LBB4_5943:                             ;   in Loop: Header=BB4_5289 Depth=2
	s_or_saveexec_b32 s29, s29
	v_mov_b32_e32 v117, 0x7f800001
	s_xor_b32 exec_lo, exec_lo, s29
	s_cbranch_execz .LBB4_5654
.LBB4_5944:                             ;   in Loop: Header=BB4_5289 Depth=2
	v_cmp_ne_u16_sdwa s40, v114, v51 src0_sel:BYTE_0 src1_sel:DWORD
	v_mov_b32_e32 v117, 0
	s_andn2_b32 s12, s12, exec_lo
	s_and_b32 s40, s40, exec_lo
	s_or_b32 s12, s12, s40
	s_or_b32 exec_lo, exec_lo, s29
	s_and_saveexec_b32 s29, s12
	s_cbranch_execnz .LBB4_5655
	s_branch .LBB4_5656
.LBB4_5945:                             ;   in Loop: Header=BB4_5289 Depth=2
	s_or_saveexec_b32 s29, s29
	v_mov_b32_e32 v40, 0x7f800001
	s_xor_b32 exec_lo, exec_lo, s29
	s_cbranch_execz .LBB4_5660
.LBB4_5946:                             ;   in Loop: Header=BB4_5289 Depth=2
	v_cmp_ne_u16_sdwa s40, v113, v51 src0_sel:BYTE_0 src1_sel:DWORD
	v_mov_b32_e32 v40, 0
	s_andn2_b32 s12, s12, exec_lo
	s_and_b32 s40, s40, exec_lo
	s_or_b32 s12, s12, s40
	s_or_b32 exec_lo, exec_lo, s29
	s_and_saveexec_b32 s29, s12
	s_cbranch_execnz .LBB4_5661
	s_branch .LBB4_5662
.LBB4_5947:                             ;   in Loop: Header=BB4_5289 Depth=2
	s_or_saveexec_b32 s29, s29
	v_mov_b32_e32 v117, 0x7f800001
	s_xor_b32 exec_lo, exec_lo, s29
	s_cbranch_execz .LBB4_5668
.LBB4_5948:                             ;   in Loop: Header=BB4_5289 Depth=2
	v_cmp_ne_u16_sdwa s40, v114, v51 src0_sel:BYTE_0 src1_sel:DWORD
	v_mov_b32_e32 v117, 0
	s_andn2_b32 s12, s12, exec_lo
	s_and_b32 s40, s40, exec_lo
	s_or_b32 s12, s12, s40
	s_or_b32 exec_lo, exec_lo, s29
	s_and_saveexec_b32 s29, s12
	s_cbranch_execnz .LBB4_5669
	s_branch .LBB4_5670
.LBB4_5949:                             ;   in Loop: Header=BB4_5289 Depth=2
	s_or_saveexec_b32 s29, s29
	v_mov_b32_e32 v114, 0x7f800001
	s_xor_b32 exec_lo, exec_lo, s29
	s_cbranch_execz .LBB4_5674
.LBB4_5950:                             ;   in Loop: Header=BB4_5289 Depth=2
	v_cmp_ne_u16_sdwa s40, v113, v51 src0_sel:BYTE_0 src1_sel:DWORD
	v_mov_b32_e32 v114, 0
	s_andn2_b32 s12, s12, exec_lo
	s_and_b32 s40, s40, exec_lo
	s_or_b32 s12, s12, s40
	s_or_b32 exec_lo, exec_lo, s29
	s_and_saveexec_b32 s29, s12
	s_cbranch_execnz .LBB4_5675
	s_branch .LBB4_5676
.LBB4_5951:                             ;   in Loop: Header=BB4_5289 Depth=2
	s_or_saveexec_b32 s29, s29
	v_mov_b32_e32 v114, 0x7f800001
	s_xor_b32 exec_lo, exec_lo, s29
	s_cbranch_execz .LBB4_5690
.LBB4_5952:                             ;   in Loop: Header=BB4_5289 Depth=2
	v_cmp_ne_u16_sdwa s40, v80, v51 src0_sel:BYTE_0 src1_sel:DWORD
	v_mov_b32_e32 v114, 0
	s_andn2_b32 s12, s12, exec_lo
	s_and_b32 s40, s40, exec_lo
	s_or_b32 s12, s12, s40
	s_or_b32 exec_lo, exec_lo, s29
	s_and_saveexec_b32 s29, s12
	s_cbranch_execnz .LBB4_5691
	s_branch .LBB4_5692
.LBB4_5953:                             ;   in Loop: Header=BB4_5289 Depth=2
	s_or_saveexec_b32 s29, s29
	v_mov_b32_e32 v117, 0x7f800001
	s_xor_b32 exec_lo, exec_lo, s29
	s_cbranch_execz .LBB4_5696
.LBB4_5954:                             ;   in Loop: Header=BB4_5289 Depth=2
	v_cmp_ne_u16_sdwa s40, v71, v51 src0_sel:BYTE_0 src1_sel:DWORD
	v_mov_b32_e32 v117, 0
	s_andn2_b32 s12, s12, exec_lo
	s_and_b32 s40, s40, exec_lo
	s_or_b32 s12, s12, s40
	s_or_b32 exec_lo, exec_lo, s29
	s_and_saveexec_b32 s29, s12
	s_cbranch_execnz .LBB4_5697
	s_branch .LBB4_5698
.LBB4_5955:                             ;   in Loop: Header=BB4_5289 Depth=2
	s_or_saveexec_b32 s29, s29
	v_mov_b32_e32 v114, 0x7f800001
	s_xor_b32 exec_lo, exec_lo, s29
	s_cbranch_execz .LBB4_5704
.LBB4_5956:                             ;   in Loop: Header=BB4_5289 Depth=2
	v_cmp_ne_u16_sdwa s40, v80, v51 src0_sel:BYTE_0 src1_sel:DWORD
	v_mov_b32_e32 v114, 0
	s_andn2_b32 s12, s12, exec_lo
	s_and_b32 s40, s40, exec_lo
	s_or_b32 s12, s12, s40
	s_or_b32 exec_lo, exec_lo, s29
	s_and_saveexec_b32 s29, s12
	s_cbranch_execnz .LBB4_5705
	s_branch .LBB4_5706
.LBB4_5957:                             ;   in Loop: Header=BB4_5289 Depth=2
	s_or_saveexec_b32 s29, s29
	v_mov_b32_e32 v80, 0x7f800001
	s_xor_b32 exec_lo, exec_lo, s29
	s_cbranch_execz .LBB4_5710
.LBB4_5958:                             ;   in Loop: Header=BB4_5289 Depth=2
	v_cmp_ne_u16_sdwa s40, v71, v51 src0_sel:BYTE_0 src1_sel:DWORD
	v_mov_b32_e32 v80, 0
	s_andn2_b32 s12, s12, exec_lo
	s_and_b32 s40, s40, exec_lo
	s_or_b32 s12, s12, s40
	s_or_b32 exec_lo, exec_lo, s29
	s_and_saveexec_b32 s29, s12
	s_cbranch_execnz .LBB4_5711
	s_branch .LBB4_5712
.LBB4_5959:                             ;   in Loop: Header=BB4_5289 Depth=2
	s_or_saveexec_b32 s29, s29
	v_mov_b32_e32 v80, 0x7f800001
	s_xor_b32 exec_lo, exec_lo, s29
	s_cbranch_execz .LBB4_5726
.LBB4_5960:                             ;   in Loop: Header=BB4_5289 Depth=2
	v_cmp_ne_u16_sdwa s40, v69, v51 src0_sel:BYTE_0 src1_sel:DWORD
	v_mov_b32_e32 v80, 0
	s_andn2_b32 s12, s12, exec_lo
	s_and_b32 s40, s40, exec_lo
	s_or_b32 s12, s12, s40
	s_or_b32 exec_lo, exec_lo, s29
	s_and_saveexec_b32 s29, s12
	s_cbranch_execnz .LBB4_5727
	s_branch .LBB4_5728
.LBB4_5961:                             ;   in Loop: Header=BB4_5289 Depth=2
	s_or_saveexec_b32 s29, s29
	v_mov_b32_e32 v114, 0x7f800001
	s_xor_b32 exec_lo, exec_lo, s29
	s_cbranch_execz .LBB4_5732
.LBB4_5962:                             ;   in Loop: Header=BB4_5289 Depth=2
	v_cmp_ne_u16_sdwa s40, v68, v51 src0_sel:BYTE_0 src1_sel:DWORD
	v_mov_b32_e32 v114, 0
	s_andn2_b32 s12, s12, exec_lo
	s_and_b32 s40, s40, exec_lo
	s_or_b32 s12, s12, s40
	s_or_b32 exec_lo, exec_lo, s29
	s_and_saveexec_b32 s29, s12
	s_cbranch_execnz .LBB4_5733
	s_branch .LBB4_5734
.LBB4_5963:                             ;   in Loop: Header=BB4_5289 Depth=2
	s_or_saveexec_b32 s29, s29
	v_mov_b32_e32 v80, 0x7f800001
	s_xor_b32 exec_lo, exec_lo, s29
	s_cbranch_execz .LBB4_5740
.LBB4_5964:                             ;   in Loop: Header=BB4_5289 Depth=2
	v_cmp_ne_u16_sdwa s40, v69, v51 src0_sel:BYTE_0 src1_sel:DWORD
	v_mov_b32_e32 v80, 0
	s_andn2_b32 s12, s12, exec_lo
	s_and_b32 s40, s40, exec_lo
	s_or_b32 s12, s12, s40
	s_or_b32 exec_lo, exec_lo, s29
	s_and_saveexec_b32 s29, s12
	s_cbranch_execnz .LBB4_5741
	s_branch .LBB4_5742
.LBB4_5965:                             ;   in Loop: Header=BB4_5289 Depth=2
	s_or_saveexec_b32 s29, s29
	v_mov_b32_e32 v69, 0x7f800001
	s_xor_b32 exec_lo, exec_lo, s29
	s_cbranch_execz .LBB4_5746
.LBB4_5966:                             ;   in Loop: Header=BB4_5289 Depth=2
	v_cmp_ne_u16_sdwa s40, v68, v51 src0_sel:BYTE_0 src1_sel:DWORD
	v_mov_b32_e32 v69, 0
	s_andn2_b32 s12, s12, exec_lo
	s_and_b32 s40, s40, exec_lo
	s_or_b32 s12, s12, s40
	s_or_b32 exec_lo, exec_lo, s29
	s_and_saveexec_b32 s29, s12
	s_cbranch_execnz .LBB4_5747
	s_branch .LBB4_5748
.LBB4_5967:                             ;   in Loop: Header=BB4_5289 Depth=2
	s_or_saveexec_b32 s29, s29
	v_mov_b32_e32 v69, 0x7f800001
	s_xor_b32 exec_lo, exec_lo, s29
	s_cbranch_execz .LBB4_5762
.LBB4_5968:                             ;   in Loop: Header=BB4_5289 Depth=2
	v_cmp_ne_u16_sdwa s40, v66, v51 src0_sel:BYTE_0 src1_sel:DWORD
	v_mov_b32_e32 v69, 0
	s_andn2_b32 s12, s12, exec_lo
	s_and_b32 s40, s40, exec_lo
	s_or_b32 s12, s12, s40
	s_or_b32 exec_lo, exec_lo, s29
	s_and_saveexec_b32 s29, s12
	s_cbranch_execnz .LBB4_5763
	s_branch .LBB4_5764
.LBB4_5969:                             ;   in Loop: Header=BB4_5289 Depth=2
	s_or_saveexec_b32 s29, s29
	v_mov_b32_e32 v80, 0x7f800001
	s_xor_b32 exec_lo, exec_lo, s29
	s_cbranch_execz .LBB4_5768
.LBB4_5970:                             ;   in Loop: Header=BB4_5289 Depth=2
	v_cmp_ne_u16_sdwa s40, v65, v51 src0_sel:BYTE_0 src1_sel:DWORD
	v_mov_b32_e32 v80, 0
	s_andn2_b32 s12, s12, exec_lo
	s_and_b32 s40, s40, exec_lo
	s_or_b32 s12, s12, s40
	s_or_b32 exec_lo, exec_lo, s29
	s_and_saveexec_b32 s29, s12
	s_cbranch_execnz .LBB4_5769
	s_branch .LBB4_5770
.LBB4_5971:                             ;   in Loop: Header=BB4_5289 Depth=2
	s_or_saveexec_b32 s29, s29
	v_mov_b32_e32 v69, 0x7f800001
	s_xor_b32 exec_lo, exec_lo, s29
	s_cbranch_execz .LBB4_5776
.LBB4_5972:                             ;   in Loop: Header=BB4_5289 Depth=2
	v_cmp_ne_u16_sdwa s40, v66, v51 src0_sel:BYTE_0 src1_sel:DWORD
	v_mov_b32_e32 v69, 0
	s_andn2_b32 s12, s12, exec_lo
	s_and_b32 s40, s40, exec_lo
	s_or_b32 s12, s12, s40
	s_or_b32 exec_lo, exec_lo, s29
	s_and_saveexec_b32 s29, s12
	s_cbranch_execnz .LBB4_5777
	s_branch .LBB4_5778
.LBB4_5973:                             ;   in Loop: Header=BB4_5289 Depth=2
	s_or_saveexec_b32 s29, s29
	v_mov_b32_e32 v66, 0x7f800001
	s_xor_b32 exec_lo, exec_lo, s29
	s_cbranch_execz .LBB4_5782
.LBB4_5974:                             ;   in Loop: Header=BB4_5289 Depth=2
	v_cmp_ne_u16_sdwa s40, v65, v51 src0_sel:BYTE_0 src1_sel:DWORD
	v_mov_b32_e32 v66, 0
	s_andn2_b32 s12, s12, exec_lo
	s_and_b32 s40, s40, exec_lo
	s_or_b32 s12, s12, s40
	s_or_b32 exec_lo, exec_lo, s29
	s_and_saveexec_b32 s29, s12
	s_cbranch_execnz .LBB4_5783
	s_branch .LBB4_5784
.LBB4_5975:                             ;   in Loop: Header=BB4_5289 Depth=2
	s_or_saveexec_b32 s29, s29
	v_mov_b32_e32 v66, 0x7f800001
	s_xor_b32 exec_lo, exec_lo, s29
	s_cbranch_execz .LBB4_5798
.LBB4_5976:                             ;   in Loop: Header=BB4_5289 Depth=2
	v_cmp_ne_u16_sdwa s40, v25, v51 src0_sel:BYTE_0 src1_sel:DWORD
	v_mov_b32_e32 v66, 0
	s_andn2_b32 s12, s12, exec_lo
	s_and_b32 s40, s40, exec_lo
	s_or_b32 s12, s12, s40
	s_or_b32 exec_lo, exec_lo, s29
	s_and_saveexec_b32 s29, s12
	s_cbranch_execnz .LBB4_5799
	s_branch .LBB4_5800
.LBB4_5977:                             ;   in Loop: Header=BB4_5289 Depth=2
	s_or_saveexec_b32 s29, s29
	v_mov_b32_e32 v69, 0x7f800001
	s_xor_b32 exec_lo, exec_lo, s29
	s_cbranch_execz .LBB4_5804
.LBB4_5978:                             ;   in Loop: Header=BB4_5289 Depth=2
	v_cmp_ne_u16_sdwa s40, v24, v51 src0_sel:BYTE_0 src1_sel:DWORD
	v_mov_b32_e32 v69, 0
	s_andn2_b32 s12, s12, exec_lo
	s_and_b32 s40, s40, exec_lo
	s_or_b32 s12, s12, s40
	s_or_b32 exec_lo, exec_lo, s29
	s_and_saveexec_b32 s29, s12
	s_cbranch_execnz .LBB4_5805
	s_branch .LBB4_5806
.LBB4_5979:                             ;   in Loop: Header=BB4_5289 Depth=2
	s_or_saveexec_b32 s29, s29
	v_mov_b32_e32 v66, 0x7f800001
	s_xor_b32 exec_lo, exec_lo, s29
	s_cbranch_execz .LBB4_5812
.LBB4_5980:                             ;   in Loop: Header=BB4_5289 Depth=2
	v_cmp_ne_u16_sdwa s40, v25, v51 src0_sel:BYTE_0 src1_sel:DWORD
	v_mov_b32_e32 v66, 0
	s_andn2_b32 s12, s12, exec_lo
	s_and_b32 s40, s40, exec_lo
	s_or_b32 s12, s12, s40
	s_or_b32 exec_lo, exec_lo, s29
	s_and_saveexec_b32 s29, s12
	s_cbranch_execnz .LBB4_5813
	s_branch .LBB4_5814
.LBB4_5981:                             ;   in Loop: Header=BB4_5289 Depth=2
	s_or_saveexec_b32 s29, s29
	v_mov_b32_e32 v25, 0x7f800001
	s_xor_b32 exec_lo, exec_lo, s29
	s_cbranch_execz .LBB4_5818
.LBB4_5982:                             ;   in Loop: Header=BB4_5289 Depth=2
	v_cmp_ne_u16_sdwa s40, v24, v51 src0_sel:BYTE_0 src1_sel:DWORD
	v_mov_b32_e32 v25, 0
	s_andn2_b32 s12, s12, exec_lo
	s_and_b32 s40, s40, exec_lo
	s_or_b32 s12, s12, s40
	s_or_b32 exec_lo, exec_lo, s29
	s_and_saveexec_b32 s29, s12
	s_cbranch_execnz .LBB4_5819
	s_branch .LBB4_5820
.LBB4_5983:                             ;   in Loop: Header=BB4_5289 Depth=2
	s_or_saveexec_b32 s29, s29
	v_mov_b32_e32 v25, 0x7f800001
	s_xor_b32 exec_lo, exec_lo, s29
	s_cbranch_execz .LBB4_5834
.LBB4_5984:                             ;   in Loop: Header=BB4_5289 Depth=2
	v_cmp_ne_u16_sdwa s40, v22, v51 src0_sel:BYTE_0 src1_sel:DWORD
	v_mov_b32_e32 v25, 0
	s_andn2_b32 s12, s12, exec_lo
	s_and_b32 s40, s40, exec_lo
	s_or_b32 s12, s12, s40
	s_or_b32 exec_lo, exec_lo, s29
	s_and_saveexec_b32 s29, s12
	s_cbranch_execnz .LBB4_5835
	s_branch .LBB4_5836
.LBB4_5985:                             ;   in Loop: Header=BB4_5289 Depth=2
	s_or_saveexec_b32 s29, s29
	v_mov_b32_e32 v66, 0x7f800001
	s_xor_b32 exec_lo, exec_lo, s29
	s_cbranch_execz .LBB4_5840
.LBB4_5986:                             ;   in Loop: Header=BB4_5289 Depth=2
	v_cmp_ne_u16_sdwa s40, v21, v51 src0_sel:BYTE_0 src1_sel:DWORD
	v_mov_b32_e32 v66, 0
	s_andn2_b32 s12, s12, exec_lo
	s_and_b32 s40, s40, exec_lo
	s_or_b32 s12, s12, s40
	s_or_b32 exec_lo, exec_lo, s29
	s_and_saveexec_b32 s29, s12
	s_cbranch_execnz .LBB4_5841
	s_branch .LBB4_5842
.LBB4_5987:                             ;   in Loop: Header=BB4_5289 Depth=2
	s_or_saveexec_b32 s29, s29
	v_mov_b32_e32 v25, 0x7f800001
	s_xor_b32 exec_lo, exec_lo, s29
	s_cbranch_execz .LBB4_5848
.LBB4_5988:                             ;   in Loop: Header=BB4_5289 Depth=2
	v_cmp_ne_u16_sdwa s40, v22, v51 src0_sel:BYTE_0 src1_sel:DWORD
	v_mov_b32_e32 v25, 0
	s_andn2_b32 s12, s12, exec_lo
	s_and_b32 s40, s40, exec_lo
	s_or_b32 s12, s12, s40
	s_or_b32 exec_lo, exec_lo, s29
	s_and_saveexec_b32 s29, s12
	s_cbranch_execnz .LBB4_5849
	s_branch .LBB4_5850
.LBB4_5989:                             ;   in Loop: Header=BB4_5289 Depth=2
	s_or_saveexec_b32 s29, s29
	v_mov_b32_e32 v22, 0x7f800001
	s_xor_b32 exec_lo, exec_lo, s29
	s_cbranch_execz .LBB4_5854
.LBB4_5990:                             ;   in Loop: Header=BB4_5289 Depth=2
	v_cmp_ne_u16_sdwa s40, v21, v51 src0_sel:BYTE_0 src1_sel:DWORD
	v_mov_b32_e32 v22, 0
	s_andn2_b32 s12, s12, exec_lo
	s_and_b32 s40, s40, exec_lo
	s_or_b32 s12, s12, s40
	s_or_b32 exec_lo, exec_lo, s29
	s_and_saveexec_b32 s29, s12
	s_cbranch_execnz .LBB4_5855
	s_branch .LBB4_5856
.LBB4_5991:                             ;   in Loop: Header=BB4_3089 Depth=1
	s_or_b32 exec_lo, exec_lo, s28
.LBB4_5992:                             ;   in Loop: Header=BB4_3089 Depth=1
	s_or_b32 exec_lo, exec_lo, s26
	v_and_b32_e32 v10, 0xfffffe00, v17
	v_cmp_ne_u32_e32 vcc_lo, v17, v10
	s_and_b32 exec_lo, exec_lo, vcc_lo
	s_cbranch_execz .LBB4_6040
; %bb.5993:                             ;   in Loop: Header=BB4_3089 Depth=1
	v_lshlrev_b32_e32 v11, 5, v19
	v_lshlrev_b32_e32 v12, 5, v20
	v_sub_nc_u32_e32 v11, v18, v11
	v_sub_nc_u32_e32 v11, v11, v12
	v_and_b32_e32 v12, 0x1ff, v17
	v_sub_nc_u32_e32 v17, v12, v11
	v_cmp_lt_i32_e32 vcc_lo, 0, v17
	s_and_b32 exec_lo, exec_lo, vcc_lo
	s_cbranch_execz .LBB4_6040
; %bb.5994:                             ;   in Loop: Header=BB4_3089 Depth=1
	s_trap 2
	ds_read_b128 v[12:15], v0
	ds_read_b64 v[18:19], v0
	v_add3_u32 v16, v10, v16, v11
	s_bitcmp1_b32 s25, 0
	s_mov_b32 s25, 0
	s_cselect_b32 s26, -1, 0
	v_ashrrev_i32_e32 v20, 31, v16
	s_waitcnt lgkmcnt(1)
	v_add_co_u32 v10, vcc_lo, v12, v16
	v_add_co_ci_u32_e64 v11, null, v13, v20, vcc_lo
	v_add_co_u32 v12, vcc_lo, v14, v16
	v_add_co_ci_u32_e64 v13, null, v15, v20, vcc_lo
	s_waitcnt lgkmcnt(0)
	v_add_co_u32 v14, vcc_lo, v18, v16
	v_add_co_ci_u32_e64 v15, null, v19, v20, vcc_lo
	s_branch .LBB4_5998
.LBB4_5995:                             ;   in Loop: Header=BB4_5998 Depth=2
	s_or_b32 exec_lo, exec_lo, s12
	v_lshrrev_b32_e32 v18, 21, v18
	v_cmp_gt_i32_e32 vcc_lo, 32, v16
	v_min_i32_e32 v19, 31, v16
	v_and_b32_sdwa v20, v20, v101 dst_sel:DWORD dst_unused:UNUSED_PAD src0_sel:BYTE_3 src1_sel:DWORD
	v_cndmask_b32_e32 v18, 3, v18, vcc_lo
	v_lshlrev_b32_e32 v19, 2, v19
	v_and_b32_e32 v21, 3, v18
	v_or_b32_e32 v16, v16, v18
	v_or3_b32 v18, v19, v20, v21
	v_cmp_ne_u32_e32 vcc_lo, 0, v16
	v_cndmask_b32_e32 v16, 0, v18, vcc_lo
.LBB4_5996:                             ;   in Loop: Header=BB4_5998 Depth=2
	s_or_b32 exec_lo, exec_lo, s28
.LBB4_5997:                             ;   in Loop: Header=BB4_5998 Depth=2
	s_or_b32 exec_lo, exec_lo, s27
	v_sub_nc_u32_e32 v17, v17, v98
	v_add_co_u32 v10, vcc_lo, v10, v98
	v_add_co_ci_u32_e64 v11, null, 0, v11, vcc_lo
	v_add_co_u32 v12, vcc_lo, v12, v98
	flat_store_byte v[14:15], v16 glc slc
	v_add_co_ci_u32_e64 v13, null, 0, v13, vcc_lo
	v_cmp_gt_i32_e32 vcc_lo, 1, v17
	v_add_co_u32 v14, s12, v14, v98
	v_add_co_ci_u32_e64 v15, null, 0, v15, s12
	s_or_b32 s25, vcc_lo, s25
	s_andn2_b32 exec_lo, exec_lo, s25
	s_cbranch_execz .LBB4_6040
.LBB4_5998:                             ;   Parent Loop BB4_3089 Depth=1
                                        ; =>  This Inner Loop Header: Depth=2
	flat_load_ubyte v18, v[12:13] slc
	flat_load_ubyte v19, v[10:11] slc
	s_mov_b32 s12, -1
	s_waitcnt vmcnt(1) lgkmcnt(1)
	v_and_b32_e32 v16, 3, v18
	v_bfe_u32 v22, v18, 2, 5
	v_lshlrev_b32_e32 v23, 24, v18
	s_waitcnt vmcnt(0) lgkmcnt(0)
	v_cmp_gt_i16_sdwa s27, v19, v100 src0_sel:BYTE_0 src1_sel:DWORD
	v_ffbh_u32_e32 v20, v16
	v_cmp_eq_u32_e32 vcc_lo, 0, v22
	v_min_u32_e32 v20, 32, v20
	v_subrev_nc_u32_e32 v21, 29, v20
	v_sub_nc_u32_e32 v20, 30, v20
	v_lshlrev_b32_e32 v21, v21, v18
	v_cndmask_b32_e32 v20, v22, v20, vcc_lo
	v_and_b32_e32 v21, 3, v21
	v_lshl_add_u32 v20, v20, 23, 0x37800000
	v_cndmask_b32_e32 v16, v16, v21, vcc_lo
	v_and_b32_e32 v21, 0x80000000, v23
	s_and_b32 vcc_lo, exec_lo, s26
	v_lshlrev_b32_e32 v16, 21, v16
	v_or3_b32 v16, v21, v20, v16
                                        ; implicit-def: $vgpr20
	s_cbranch_vccz .LBB4_6012
; %bb.5999:                             ;   in Loop: Header=BB4_5998 Depth=2
	s_mov_b32 s12, 0
	s_and_saveexec_b32 s28, s27
	s_xor_b32 s27, exec_lo, s28
	s_cbranch_execz .LBB4_6032
; %bb.6000:                             ;   in Loop: Header=BB4_5998 Depth=2
	v_cmp_eq_u16_sdwa s29, v19, v101 src0_sel:BYTE_0 src1_sel:DWORD
	s_mov_b32 s12, -1
	s_and_saveexec_b32 s28, s29
; %bb.6001:                             ;   in Loop: Header=BB4_5998 Depth=2
	s_xor_b32 s12, exec_lo, -1
; %bb.6002:                             ;   in Loop: Header=BB4_5998 Depth=2
	s_or_b32 exec_lo, exec_lo, s28
	s_and_b32 s12, s12, exec_lo
	s_or_saveexec_b32 s27, s27
	v_mov_b32_e32 v20, 0x7f800001
	s_xor_b32 exec_lo, exec_lo, s27
	s_cbranch_execnz .LBB4_6033
.LBB4_6003:                             ;   in Loop: Header=BB4_5998 Depth=2
	s_or_b32 exec_lo, exec_lo, s27
	s_and_saveexec_b32 s27, s12
	s_cbranch_execz .LBB4_6005
.LBB4_6004:                             ;   in Loop: Header=BB4_5998 Depth=2
	v_and_b32_e32 v20, 3, v19
	v_lshrrev_b16 v22, 2, v19
	v_lshlrev_b32_e32 v24, 24, v19
	v_ffbh_u32_e32 v21, v20
	v_and_b32_e32 v22, 31, v22
	v_min_u32_e32 v21, 32, v21
	v_cmp_eq_u32_e32 vcc_lo, 0, v22
	v_subrev_nc_u32_e32 v23, 29, v21
	v_sub_nc_u32_e32 v21, 30, v21
	v_lshlrev_b32_e32 v23, v23, v19
	v_cndmask_b32_e32 v21, v22, v21, vcc_lo
	v_and_b32_e32 v22, 0x80000000, v24
	v_and_b32_e32 v23, 3, v23
	v_lshl_add_u32 v21, v21, 23, 0x37800000
	v_cndmask_b32_e32 v20, v20, v23, vcc_lo
	v_lshlrev_b32_e32 v20, 21, v20
	v_or3_b32 v20, v22, v21, v20
.LBB4_6005:                             ;   in Loop: Header=BB4_5998 Depth=2
	s_or_b32 exec_lo, exec_lo, s27
	v_cmp_gt_i16_sdwa s27, v18, v100 src0_sel:BYTE_0 src1_sel:DWORD
	s_mov_b32 s12, 0
	s_and_saveexec_b32 s28, s27
	s_xor_b32 s27, exec_lo, s28
	s_cbranch_execz .LBB4_6034
; %bb.6006:                             ;   in Loop: Header=BB4_5998 Depth=2
	v_cmp_eq_u16_sdwa s29, v18, v101 src0_sel:BYTE_0 src1_sel:DWORD
	s_mov_b32 s12, -1
	s_and_saveexec_b32 s28, s29
; %bb.6007:                             ;   in Loop: Header=BB4_5998 Depth=2
	s_xor_b32 s12, exec_lo, -1
; %bb.6008:                             ;   in Loop: Header=BB4_5998 Depth=2
	s_or_b32 exec_lo, exec_lo, s28
	s_and_b32 s12, s12, exec_lo
	s_or_saveexec_b32 s27, s27
	v_mov_b32_e32 v21, 0x7f800001
	s_xor_b32 exec_lo, exec_lo, s27
	s_cbranch_execnz .LBB4_6035
.LBB4_6009:                             ;   in Loop: Header=BB4_5998 Depth=2
	s_or_b32 exec_lo, exec_lo, s27
	s_and_saveexec_b32 s27, s12
.LBB4_6010:                             ;   in Loop: Header=BB4_5998 Depth=2
	v_mov_b32_e32 v21, v16
.LBB4_6011:                             ;   in Loop: Header=BB4_5998 Depth=2
	s_or_b32 exec_lo, exec_lo, s27
	v_max_f32_e32 v21, v21, v21
	v_max_f32_e32 v20, v20, v20
	s_mov_b32 s12, 0
	v_max_f32_e32 v20, v20, v21
.LBB4_6012:                             ;   in Loop: Header=BB4_5998 Depth=2
	s_and_b32 vcc_lo, exec_lo, s12
	s_cbranch_vccz .LBB4_6026
; %bb.6013:                             ;   in Loop: Header=BB4_5998 Depth=2
	v_cmp_gt_i16_sdwa s27, v19, v100 src0_sel:BYTE_0 src1_sel:DWORD
	s_mov_b32 s12, 0
	s_and_saveexec_b32 s28, s27
	s_xor_b32 s27, exec_lo, s28
	s_cbranch_execz .LBB4_6036
; %bb.6014:                             ;   in Loop: Header=BB4_5998 Depth=2
	v_cmp_eq_u16_sdwa s29, v19, v101 src0_sel:BYTE_0 src1_sel:DWORD
	s_mov_b32 s12, -1
	s_and_saveexec_b32 s28, s29
; %bb.6015:                             ;   in Loop: Header=BB4_5998 Depth=2
	s_xor_b32 s12, exec_lo, -1
; %bb.6016:                             ;   in Loop: Header=BB4_5998 Depth=2
	s_or_b32 exec_lo, exec_lo, s28
	s_and_b32 s12, s12, exec_lo
	s_or_saveexec_b32 s27, s27
	v_mov_b32_e32 v20, 0x7f800001
	s_xor_b32 exec_lo, exec_lo, s27
	s_cbranch_execnz .LBB4_6037
.LBB4_6017:                             ;   in Loop: Header=BB4_5998 Depth=2
	s_or_b32 exec_lo, exec_lo, s27
	s_and_saveexec_b32 s27, s12
	s_cbranch_execz .LBB4_6019
.LBB4_6018:                             ;   in Loop: Header=BB4_5998 Depth=2
	v_and_b32_e32 v20, 3, v19
	v_lshrrev_b16 v22, 2, v19
	v_ffbh_u32_e32 v21, v20
	v_and_b32_e32 v22, 31, v22
	v_min_u32_e32 v21, 32, v21
	v_cmp_eq_u32_e32 vcc_lo, 0, v22
	v_subrev_nc_u32_e32 v23, 29, v21
	v_sub_nc_u32_e32 v21, 30, v21
	v_lshlrev_b32_e32 v23, v23, v19
	v_lshlrev_b32_e32 v19, 24, v19
	v_cndmask_b32_e32 v21, v22, v21, vcc_lo
	v_and_b32_e32 v23, 3, v23
	v_and_b32_e32 v19, 0x80000000, v19
	v_lshl_add_u32 v21, v21, 23, 0x37800000
	v_cndmask_b32_e32 v20, v20, v23, vcc_lo
	v_lshlrev_b32_e32 v20, 21, v20
	v_or3_b32 v20, v19, v21, v20
.LBB4_6019:                             ;   in Loop: Header=BB4_5998 Depth=2
	s_or_b32 exec_lo, exec_lo, s27
	v_cmp_gt_i16_sdwa s27, v18, v100 src0_sel:BYTE_0 src1_sel:DWORD
	s_mov_b32 s12, 0
	s_and_saveexec_b32 s28, s27
	s_xor_b32 s27, exec_lo, s28
	s_cbranch_execz .LBB4_6038
; %bb.6020:                             ;   in Loop: Header=BB4_5998 Depth=2
	v_cmp_eq_u16_sdwa s29, v18, v101 src0_sel:BYTE_0 src1_sel:DWORD
	s_mov_b32 s12, -1
	s_and_saveexec_b32 s28, s29
; %bb.6021:                             ;   in Loop: Header=BB4_5998 Depth=2
	s_xor_b32 s12, exec_lo, -1
; %bb.6022:                             ;   in Loop: Header=BB4_5998 Depth=2
	s_or_b32 exec_lo, exec_lo, s28
	s_and_b32 s12, s12, exec_lo
                                        ; implicit-def: $vgpr18
	s_or_saveexec_b32 s27, s27
	v_mov_b32_e32 v19, 0x7f800001
	s_xor_b32 exec_lo, exec_lo, s27
	s_cbranch_execnz .LBB4_6039
.LBB4_6023:                             ;   in Loop: Header=BB4_5998 Depth=2
	s_or_b32 exec_lo, exec_lo, s27
	s_and_saveexec_b32 s27, s12
.LBB4_6024:                             ;   in Loop: Header=BB4_5998 Depth=2
	v_mov_b32_e32 v19, v16
.LBB4_6025:                             ;   in Loop: Header=BB4_5998 Depth=2
	s_or_b32 exec_lo, exec_lo, s27
	v_max_f32_e32 v16, v19, v19
	v_max_f32_e32 v18, v20, v20
	v_min_f32_e32 v20, v18, v16
.LBB4_6026:                             ;   in Loop: Header=BB4_5998 Depth=2
	v_and_b32_e32 v16, 0x7f800000, v20
	v_cmp_ne_u32_e32 vcc_lo, 0x7f800000, v16
	v_mov_b32_e32 v16, 0x80
	s_and_saveexec_b32 s27, vcc_lo
	s_cbranch_execz .LBB4_5997
; %bb.6027:                             ;   in Loop: Header=BB4_5998 Depth=2
	v_mov_b32_e32 v16, 0
	s_mov_b32 s28, exec_lo
	v_cmpx_ne_u32_e32 0, v20
	s_cbranch_execz .LBB4_5996
; %bb.6028:                             ;   in Loop: Header=BB4_5998 Depth=2
	v_bfe_u32 v16, v20, 23, 8
	v_and_b32_e32 v18, 0x7fffff, v20
	v_sub_nc_u32_e32 v19, 0x70, v16
	v_cmp_gt_u32_e32 vcc_lo, 0x71, v16
	v_or_b32_e32 v21, 0x800000, v18
	v_cndmask_b32_e32 v19, 0, v19, vcc_lo
	v_cmp_eq_u32_e32 vcc_lo, 0, v16
	v_add_nc_u32_e32 v16, 0xffffff91, v16
	v_cndmask_b32_e64 v19, v19, 0x6f, vcc_lo
	v_cndmask_b32_e32 v18, v21, v18, vcc_lo
	v_cndmask_b32_e64 v16, v16, 0xffffff92, vcc_lo
	v_lshl_add_u32 v21, 0x200000, v19, -1
	v_lshrrev_b32_e32 v22, v19, v18
	v_lshlrev_b32_e64 v24, v19, 0x100000
	v_add_nc_u32_e32 v19, v19, v16
	v_and_b32_e32 v18, v21, v18
	v_bfe_u32 v23, v22, 21, 1
	v_cmp_eq_u32_e64 s12, v18, v24
	v_add_nc_u32_e32 v21, -1, v23
	v_cndmask_b32_e64 v18, 0, v21, s12
	v_lshrrev_b32_e32 v21, 23, v22
	s_mov_b32 s12, exec_lo
	v_add_nc_u32_e32 v18, v18, v22
	v_xor_b32_e32 v21, 1, v21
	v_and_b32_e32 v16, 0x1fffff, v18
	v_add_nc_u32_e32 v18, v16, v22
                                        ; implicit-def: $vgpr16
	v_cmpx_ne_u32_e64 v19, v21
	s_xor_b32 s12, exec_lo, s12
; %bb.6029:                             ;   in Loop: Header=BB4_5998 Depth=2
	v_cmp_lt_u32_e32 vcc_lo, 0xffffff, v18
	v_sub_nc_u32_e32 v16, v19, v21
	v_cndmask_b32_e64 v19, 0, 1, vcc_lo
	v_add_co_ci_u32_e64 v16, null, 0, v16, vcc_lo
	v_lshrrev_b32_e32 v18, v19, v18
; %bb.6030:                             ;   in Loop: Header=BB4_5998 Depth=2
	s_andn2_saveexec_b32 s12, s12
	s_cbranch_execz .LBB4_5995
; %bb.6031:                             ;   in Loop: Header=BB4_5998 Depth=2
	v_bfe_u32 v16, v18, 23, 1
	s_branch .LBB4_5995
.LBB4_6032:                             ;   in Loop: Header=BB4_5998 Depth=2
	s_or_saveexec_b32 s27, s27
	v_mov_b32_e32 v20, 0x7f800001
	s_xor_b32 exec_lo, exec_lo, s27
	s_cbranch_execz .LBB4_6003
.LBB4_6033:                             ;   in Loop: Header=BB4_5998 Depth=2
	v_cmp_ne_u16_sdwa s28, v19, v51 src0_sel:BYTE_0 src1_sel:DWORD
	v_mov_b32_e32 v20, 0
	s_andn2_b32 s12, s12, exec_lo
	s_and_b32 s28, s28, exec_lo
	s_or_b32 s12, s12, s28
	s_or_b32 exec_lo, exec_lo, s27
	s_and_saveexec_b32 s27, s12
	s_cbranch_execnz .LBB4_6004
	s_branch .LBB4_6005
.LBB4_6034:                             ;   in Loop: Header=BB4_5998 Depth=2
	s_or_saveexec_b32 s27, s27
	v_mov_b32_e32 v21, 0x7f800001
	s_xor_b32 exec_lo, exec_lo, s27
	s_cbranch_execz .LBB4_6009
.LBB4_6035:                             ;   in Loop: Header=BB4_5998 Depth=2
	v_cmp_ne_u16_sdwa s28, v18, v51 src0_sel:BYTE_0 src1_sel:DWORD
	v_mov_b32_e32 v21, 0
	s_andn2_b32 s12, s12, exec_lo
	s_and_b32 s28, s28, exec_lo
	s_or_b32 s12, s12, s28
	s_or_b32 exec_lo, exec_lo, s27
	s_and_saveexec_b32 s27, s12
	s_cbranch_execnz .LBB4_6010
	s_branch .LBB4_6011
.LBB4_6036:                             ;   in Loop: Header=BB4_5998 Depth=2
	s_or_saveexec_b32 s27, s27
	v_mov_b32_e32 v20, 0x7f800001
	s_xor_b32 exec_lo, exec_lo, s27
	s_cbranch_execz .LBB4_6017
.LBB4_6037:                             ;   in Loop: Header=BB4_5998 Depth=2
	v_cmp_ne_u16_sdwa s28, v19, v51 src0_sel:BYTE_0 src1_sel:DWORD
	v_mov_b32_e32 v20, 0
	s_andn2_b32 s12, s12, exec_lo
	s_and_b32 s28, s28, exec_lo
	s_or_b32 s12, s12, s28
	s_or_b32 exec_lo, exec_lo, s27
	s_and_saveexec_b32 s27, s12
	s_cbranch_execnz .LBB4_6018
	s_branch .LBB4_6019
.LBB4_6038:                             ;   in Loop: Header=BB4_5998 Depth=2
	s_or_saveexec_b32 s27, s27
	v_mov_b32_e32 v19, 0x7f800001
	s_xor_b32 exec_lo, exec_lo, s27
	s_cbranch_execz .LBB4_6023
.LBB4_6039:                             ;   in Loop: Header=BB4_5998 Depth=2
	v_cmp_ne_u16_sdwa s28, v18, v51 src0_sel:BYTE_0 src1_sel:DWORD
	v_mov_b32_e32 v19, 0
	s_andn2_b32 s12, s12, exec_lo
	s_and_b32 s28, s28, exec_lo
	s_or_b32 s12, s12, s28
	s_or_b32 exec_lo, exec_lo, s27
	s_and_saveexec_b32 s27, s12
	s_cbranch_execnz .LBB4_6024
	s_branch .LBB4_6025
.LBB4_6040:                             ;   in Loop: Header=BB4_3089 Depth=1
	s_or_b32 exec_lo, exec_lo, s13
	v_cmp_ne_u32_e64 s12, 0, v50
	s_and_saveexec_b32 s13, s6
	s_cbranch_execz .LBB4_6059
.LBB4_6041:                             ;   in Loop: Header=BB4_3089 Depth=1
	s_and_saveexec_b32 s25, s19
	s_xor_b32 s25, exec_lo, s25
	s_cbranch_execz .LBB4_6056
; %bb.6042:                             ;   in Loop: Header=BB4_3089 Depth=1
	s_and_saveexec_b32 s26, s7
	s_cbranch_execz .LBB4_6055
; %bb.6043:                             ;   in Loop: Header=BB4_3089 Depth=1
	s_mov_b32 s28, exec_lo
	s_mov_b32 s27, exec_lo
	v_mbcnt_lo_u32_b32 v10, s28, 0
	s_waitcnt vmcnt(0) lgkmcnt(0)
	s_waitcnt_vscnt null, 0x0
	buffer_gl1_inv
	buffer_gl0_inv
	v_cmpx_eq_u32_e32 0, v10
	s_cbranch_execz .LBB4_6045
; %bb.6044:                             ;   in Loop: Header=BB4_3089 Depth=1
	s_bcnt1_i32_b32 s28, s28
	v_mov_b32_e32 v50, s28
	ds_add_u64 v0, v[50:51]
	s_trap 2
.LBB4_6045:                             ;   in Loop: Header=BB4_3089 Depth=1
	s_or_b32 exec_lo, exec_lo, s27
	s_trap 2
	ds_read_b64 v[10:11], v0
	s_waitcnt lgkmcnt(0)
	buffer_gl0_inv
	v_add_co_u32 v36, vcc_lo, v36, v86
	v_add_co_ci_u32_e64 v37, null, 0, v37, vcc_lo
	s_mov_b32 s27, exec_lo
	v_cmpx_lt_u64_e64 v[10:11], v[36:37]
	s_cbranch_execz .LBB4_6054
; %bb.6046:                             ;   in Loop: Header=BB4_3089 Depth=1
	s_mov_b32 s28, 0
	s_mov_b32 s41, 0
                                        ; implicit-def: $sgpr29
                                        ; implicit-def: $sgpr40
	s_inst_prefetch 0x1
	s_branch .LBB4_6048
	.p2align	6
.LBB4_6047:                             ;   in Loop: Header=BB4_6048 Depth=2
	s_or_b32 exec_lo, exec_lo, s43
	s_and_b32 s42, exec_lo, s44
	s_or_b32 s28, s42, s28
	s_andn2_b32 s29, s29, exec_lo
	s_and_b32 s42, s40, exec_lo
	s_or_b32 s29, s29, s42
	s_andn2_b32 exec_lo, exec_lo, s28
	s_cbranch_execz .LBB4_6052
.LBB4_6048:                             ;   Parent Loop BB4_3089 Depth=1
                                        ; =>  This Inner Loop Header: Depth=2
	s_add_i32 s41, s41, 1
	s_cmpk_lg_i32 s41, 0x2710
	s_cselect_b32 s42, -1, 0
	s_and_b32 vcc_lo, exec_lo, s42
	s_cbranch_vccz .LBB4_6050
; %bb.6049:                             ;   in Loop: Header=BB4_6048 Depth=2
	s_mov_b32 s44, -1
	s_or_b32 s40, s40, exec_lo
	s_and_saveexec_b32 s43, s42
	s_cbranch_execz .LBB4_6047
	s_branch .LBB4_6051
	.p2align	6
.LBB4_6050:                             ;   in Loop: Header=BB4_6048 Depth=2
	s_trap 2
	ds_read_b64 v[10:11], v0
	s_andn2_b32 s42, s42, exec_lo
	s_mov_b32 s41, 0
	s_waitcnt lgkmcnt(0)
	flat_load_dword v10, v[10:11] glc dlc
	s_waitcnt vmcnt(0) lgkmcnt(0)
	buffer_gl1_inv
	buffer_gl0_inv
	v_cmp_eq_u32_e32 vcc_lo, 0, v10
	s_and_b32 s43, vcc_lo, exec_lo
	s_or_b32 s42, s42, s43
	s_mov_b32 s44, -1
	s_or_b32 s40, s40, exec_lo
	s_and_saveexec_b32 s43, s42
	s_cbranch_execz .LBB4_6047
.LBB4_6051:                             ;   in Loop: Header=BB4_6048 Depth=2
	s_sleep 1
	s_trap 2
	ds_read_b64 v[10:11], v0
	s_waitcnt lgkmcnt(0)
	buffer_gl0_inv
	s_andn2_b32 s40, s40, exec_lo
	v_cmp_ge_u64_e32 vcc_lo, v[10:11], v[36:37]
	s_orn2_b32 s44, vcc_lo, exec_lo
	s_branch .LBB4_6047
.LBB4_6052:                             ;   in Loop: Header=BB4_3089 Depth=1
	s_inst_prefetch 0x2
	s_or_b32 exec_lo, exec_lo, s28
	s_and_saveexec_b32 s28, s29
	s_xor_b32 s28, exec_lo, s28
	s_cbranch_execz .LBB4_6054
; %bb.6053:                             ;   in Loop: Header=BB4_3089 Depth=1
	ds_write_b32 v0, v99
	s_trap 2
.LBB4_6054:                             ;   in Loop: Header=BB4_3089 Depth=1
	s_or_b32 exec_lo, exec_lo, s27
	;;#ASMSTART
	s_wakeup
	;;#ASMEND
.LBB4_6055:                             ;   in Loop: Header=BB4_3089 Depth=1
	s_or_b32 exec_lo, exec_lo, s26
.LBB4_6056:                             ;   in Loop: Header=BB4_3089 Depth=1
	s_andn2_saveexec_b32 s25, s25
	s_cbranch_execz .LBB4_6058
; %bb.6057:                             ;   in Loop: Header=BB4_3089 Depth=1
	s_waitcnt vmcnt(0) lgkmcnt(0)
	s_waitcnt_vscnt null, 0x0
	buffer_gl1_inv
	buffer_gl0_inv
	s_barrier
.LBB4_6058:                             ;   in Loop: Header=BB4_3089 Depth=1
	s_or_b32 exec_lo, exec_lo, s25
.LBB4_6059:                             ;   in Loop: Header=BB4_3089 Depth=1
	s_or_b32 exec_lo, exec_lo, s13
	v_and_b32_e32 v10, 16, v84
	v_cmp_ne_u32_e32 vcc_lo, 0, v10
	s_and_b32 s13, vcc_lo, s12
	s_and_saveexec_b32 s12, s13
	s_cbranch_execz .LBB4_6061
; %bb.6060:                             ;   in Loop: Header=BB4_3089 Depth=1
	s_waitcnt vmcnt(0) lgkmcnt(0)
	s_waitcnt_vscnt null, 0x0
	buffer_gl1_inv
	buffer_gl0_inv
.LBB4_6061:                             ;   in Loop: Header=BB4_3089 Depth=1
	s_or_b32 exec_lo, exec_lo, s12
	v_and_b32_e32 v10, 32, v84
	s_mov_b32 s12, exec_lo
	v_cmpx_ne_u32_e32 0, v10
	s_cbranch_execz .LBB4_6063
; %bb.6062:                             ;   in Loop: Header=BB4_3089 Depth=1
	v_add_co_u32 v8, vcc_lo, v8, 1
	v_add_co_ci_u32_e64 v9, null, 0, v9, vcc_lo
	s_waitcnt vmcnt(0) lgkmcnt(0)
	s_waitcnt_vscnt null, 0x0
	flat_store_dwordx2 v[32:33], v[8:9]
.LBB4_6063:                             ;   in Loop: Header=BB4_3089 Depth=1
	s_or_b32 exec_lo, exec_lo, s12
	v_mov_b32_e32 v14, v55
.LBB4_6064:                             ;   in Loop: Header=BB4_3089 Depth=1
	s_or_b32 exec_lo, exec_lo, s24
	s_and_saveexec_b32 s13, s23
	s_cbranch_execz .LBB4_3088
; %bb.6065:                             ;   in Loop: Header=BB4_3089 Depth=1
	v_and_b32_e32 v10, 4, v84
	s_mov_b32 s23, exec_lo
	v_cmpx_ne_u32_e32 0, v10
	s_cbranch_execz .LBB4_6087
; %bb.6066:                             ;   in Loop: Header=BB4_3089 Depth=1
	s_waitcnt lgkmcnt(0)
	v_add_co_u32 v10, vcc_lo, v8, 1
	v_add_co_ci_u32_e64 v11, null, 0, v9, vcc_lo
	s_mov_b32 s24, exec_lo
	s_waitcnt vmcnt(0)
	v_cmpx_lt_u64_e64 v[38:39], v[10:11]
	s_cbranch_execz .LBB4_6078
; %bb.6067:                             ;   in Loop: Header=BB4_3089 Depth=1
	v_and_b32_e32 v9, 64, v84
	s_mov_b32 s25, 0
	s_mov_b32 s29, 0
                                        ; implicit-def: $sgpr26
                                        ; implicit-def: $sgpr27
                                        ; implicit-def: $sgpr28
	v_cmp_eq_u32_e32 vcc_lo, 0, v9
	s_branch .LBB4_6071
.LBB4_6068:                             ;   in Loop: Header=BB4_6071 Depth=2
	s_waitcnt vmcnt(0) lgkmcnt(0)
	v_cmp_ge_u64_e64 s12, v[38:39], v[10:11]
	s_or_b32 s42, s42, exec_lo
	s_orn2_b32 s41, s12, exec_lo
.LBB4_6069:                             ;   in Loop: Header=BB4_6071 Depth=2
	s_or_b32 exec_lo, exec_lo, s44
	s_andn2_b32 s12, s28, exec_lo
	s_and_b32 s28, s42, exec_lo
	s_andn2_b32 s27, s27, exec_lo
	s_and_b32 s41, s41, exec_lo
	s_or_b32 s28, s12, s28
	s_or_b32 s27, s27, s41
.LBB4_6070:                             ;   in Loop: Header=BB4_6071 Depth=2
	s_or_b32 exec_lo, exec_lo, s40
	s_and_b32 s12, exec_lo, s27
	s_or_b32 s25, s12, s25
	s_andn2_b32 s12, s26, exec_lo
	s_and_b32 s26, s28, exec_lo
	s_or_b32 s26, s12, s26
	s_andn2_b32 exec_lo, exec_lo, s25
	s_cbranch_execz .LBB4_6075
.LBB4_6071:                             ;   Parent Loop BB4_3089 Depth=1
                                        ; =>  This Inner Loop Header: Depth=2
	s_sleep 1
	s_waitcnt vmcnt(0) lgkmcnt(0)
	flat_load_dwordx2 v[38:39], v[32:33] glc dlc
	s_or_b32 s28, s28, exec_lo
	s_or_b32 s27, s27, exec_lo
                                        ; implicit-def: $vgpr9
	s_and_saveexec_b32 s40, vcc_lo
	s_cbranch_execz .LBB4_6070
; %bb.6072:                             ;   in Loop: Header=BB4_6071 Depth=2
	s_cmpk_lt_i32 s29, 0x270f
	s_mov_b32 s41, -1
	s_cselect_b32 s43, -1, 0
	s_cmpk_gt_i32 s29, 0x270e
	s_cbranch_scc0 .LBB4_6074
; %bb.6073:                             ;   in Loop: Header=BB4_6071 Depth=2
	s_trap 2
	ds_read_b64 v[12:13], v0
	s_andn2_b32 s29, s43, exec_lo
	s_mov_b32 s42, 0
	s_waitcnt vmcnt(0) lgkmcnt(0)
	s_waitcnt_vscnt null, 0x0
	flat_load_dword v9, v[12:13] glc dlc
	s_waitcnt vmcnt(0) lgkmcnt(0)
	buffer_gl1_inv
	buffer_gl0_inv
	v_cmp_eq_u32_e64 s12, 0, v9
	s_and_b32 s12, s12, exec_lo
	s_or_b32 s43, s29, s12
	s_mov_b32 s29, 0
	s_and_saveexec_b32 s44, s43
	s_cbranch_execz .LBB4_6069
	s_branch .LBB4_6068
.LBB4_6074:                             ;   in Loop: Header=BB4_6071 Depth=2
	s_add_i32 s29, s29, 1
	s_mov_b32 s42, -1
                                        ; implicit-def: $vgpr9
	s_and_saveexec_b32 s44, s43
	s_cbranch_execz .LBB4_6069
	s_branch .LBB4_6068
.LBB4_6075:                             ;   in Loop: Header=BB4_3089 Depth=1
	s_or_b32 exec_lo, exec_lo, s25
	s_xor_b32 s12, s26, -1
	s_and_saveexec_b32 s25, s12
	s_xor_b32 s12, exec_lo, s25
	s_cbranch_execz .LBB4_6077
; %bb.6076:                             ;   in Loop: Header=BB4_3089 Depth=1
	v_or_b32_e32 v84, 64, v84
	s_waitcnt vmcnt(0) lgkmcnt(0)
	s_waitcnt_vscnt null, 0x0
	ds_write_b32 v0, v9
	s_trap 2
.LBB4_6077:                             ;   in Loop: Header=BB4_3089 Depth=1
	s_or_b32 exec_lo, exec_lo, s12
.LBB4_6078:                             ;   in Loop: Header=BB4_3089 Depth=1
	s_or_b32 exec_lo, exec_lo, s24
	v_and_b32_e32 v9, 0x100, v84
	v_and_b32_e32 v15, 7, v8
	s_mov_b32 s12, -1
	;;#ASMSTART
	s_wakeup
	;;#ASMEND
	v_cmp_ne_u32_e32 vcc_lo, 0, v9
                                        ; implicit-def: $vgpr8_vgpr9
	s_and_saveexec_b32 s24, vcc_lo
	s_cbranch_execz .LBB4_6082
; %bb.6079:                             ;   in Loop: Header=BB4_3089 Depth=1
	v_mad_u64_u32 v[12:13], null, v15, 24, v[6:7]
	flat_load_dword v8, v[12:13]
	s_waitcnt vmcnt(0) lgkmcnt(0)
	v_cmp_eq_u32_e64 s12, 1, v8
	v_cmp_ne_u32_e32 vcc_lo, 1, v8
                                        ; implicit-def: $vgpr8_vgpr9
	s_and_saveexec_b32 s25, s12
	s_cbranch_execz .LBB4_6081
; %bb.6080:                             ;   in Loop: Header=BB4_3089 Depth=1
	flat_load_dword v8, v[12:13] offset:4 glc dlc
	s_waitcnt vmcnt(0) lgkmcnt(0)
	v_ashrrev_i32_e32 v9, 31, v8
.LBB4_6081:                             ;   in Loop: Header=BB4_3089 Depth=1
	s_or_b32 exec_lo, exec_lo, s25
	s_orn2_b32 s12, vcc_lo, exec_lo
.LBB4_6082:                             ;   in Loop: Header=BB4_3089 Depth=1
	s_or_b32 exec_lo, exec_lo, s24
	s_and_saveexec_b32 s24, s12
; %bb.6083:                             ;   in Loop: Header=BB4_3089 Depth=1
	v_mad_i64_i32 v[8:9], null, v15, v85, 0
; %bb.6084:                             ;   in Loop: Header=BB4_3089 Depth=1
	s_or_b32 exec_lo, exec_lo, s24
	v_add_co_u32 v8, vcc_lo, v34, v8
	v_and_b32_e32 v12, 0x2000, v84
	v_add_co_ci_u32_e64 v9, null, v35, v9, vcc_lo
	s_mov_b32 s12, exec_lo
	ds_write_b64 v0, v[8:9] offset:728
	v_cmpx_ne_u32_e32 0, v12
	s_cbranch_execz .LBB4_6086
; %bb.6085:                             ;   in Loop: Header=BB4_3089 Depth=1
	ds_read_b64 v[8:9], v0 offset:872
	s_waitcnt lgkmcnt(0)
	v_add_co_u32 v8, vcc_lo, v8, 1
	v_add_co_ci_u32_e64 v9, null, 0, v9, vcc_lo
	ds_write_b64 v0, v[8:9] offset:872
.LBB4_6086:                             ;   in Loop: Header=BB4_3089 Depth=1
	s_or_b32 exec_lo, exec_lo, s12
	v_mov_b32_e32 v8, v10
	v_mov_b32_e32 v9, v11
.LBB4_6087:                             ;   in Loop: Header=BB4_3089 Depth=1
	s_or_b32 exec_lo, exec_lo, s23
	s_and_saveexec_b32 s12, s6
	s_cbranch_execz .LBB4_6106
; %bb.6088:                             ;   in Loop: Header=BB4_3089 Depth=1
	s_and_saveexec_b32 s23, s19
	s_xor_b32 s23, exec_lo, s23
	s_cbranch_execz .LBB4_6103
; %bb.6089:                             ;   in Loop: Header=BB4_3089 Depth=1
	s_and_saveexec_b32 s24, s7
	s_cbranch_execz .LBB4_6102
; %bb.6090:                             ;   in Loop: Header=BB4_3089 Depth=1
	s_mov_b32 s26, exec_lo
	s_mov_b32 s25, exec_lo
	v_mbcnt_lo_u32_b32 v10, s26, 0
	s_waitcnt vmcnt(0) lgkmcnt(0)
	s_waitcnt_vscnt null, 0x0
	buffer_gl1_inv
	buffer_gl0_inv
	v_cmpx_eq_u32_e32 0, v10
	s_cbranch_execz .LBB4_6092
; %bb.6091:                             ;   in Loop: Header=BB4_3089 Depth=1
	s_bcnt1_i32_b32 s26, s26
	v_mov_b32_e32 v50, s26
	ds_add_u64 v0, v[50:51]
	s_trap 2
.LBB4_6092:                             ;   in Loop: Header=BB4_3089 Depth=1
	s_or_b32 exec_lo, exec_lo, s25
	s_trap 2
	ds_read_b64 v[10:11], v0
	s_waitcnt lgkmcnt(0)
	buffer_gl0_inv
	v_add_co_u32 v36, vcc_lo, v36, v86
	v_add_co_ci_u32_e64 v37, null, 0, v37, vcc_lo
	s_mov_b32 s25, exec_lo
	v_cmpx_lt_u64_e64 v[10:11], v[36:37]
	s_cbranch_execz .LBB4_6101
; %bb.6093:                             ;   in Loop: Header=BB4_3089 Depth=1
	s_mov_b32 s26, 0
	s_mov_b32 s29, 0
                                        ; implicit-def: $sgpr27
                                        ; implicit-def: $sgpr28
	s_inst_prefetch 0x1
	s_branch .LBB4_6095
	.p2align	6
.LBB4_6094:                             ;   in Loop: Header=BB4_6095 Depth=2
	s_or_b32 exec_lo, exec_lo, s41
	s_and_b32 s40, exec_lo, s42
	s_or_b32 s26, s40, s26
	s_andn2_b32 s27, s27, exec_lo
	s_and_b32 s40, s28, exec_lo
	s_or_b32 s27, s27, s40
	s_andn2_b32 exec_lo, exec_lo, s26
	s_cbranch_execz .LBB4_6099
.LBB4_6095:                             ;   Parent Loop BB4_3089 Depth=1
                                        ; =>  This Inner Loop Header: Depth=2
	s_add_i32 s29, s29, 1
	s_cmpk_lg_i32 s29, 0x2710
	s_cselect_b32 s40, -1, 0
	s_and_b32 vcc_lo, exec_lo, s40
	s_cbranch_vccz .LBB4_6097
; %bb.6096:                             ;   in Loop: Header=BB4_6095 Depth=2
	s_mov_b32 s42, -1
	s_or_b32 s28, s28, exec_lo
	s_and_saveexec_b32 s41, s40
	s_cbranch_execz .LBB4_6094
	s_branch .LBB4_6098
	.p2align	6
.LBB4_6097:                             ;   in Loop: Header=BB4_6095 Depth=2
	s_trap 2
	ds_read_b64 v[10:11], v0
	s_andn2_b32 s40, s40, exec_lo
	s_mov_b32 s29, 0
	s_waitcnt lgkmcnt(0)
	flat_load_dword v10, v[10:11] glc dlc
	s_waitcnt vmcnt(0) lgkmcnt(0)
	buffer_gl1_inv
	buffer_gl0_inv
	v_cmp_eq_u32_e32 vcc_lo, 0, v10
	s_and_b32 s41, vcc_lo, exec_lo
	s_or_b32 s40, s40, s41
	s_mov_b32 s42, -1
	s_or_b32 s28, s28, exec_lo
	s_and_saveexec_b32 s41, s40
	s_cbranch_execz .LBB4_6094
.LBB4_6098:                             ;   in Loop: Header=BB4_6095 Depth=2
	s_sleep 1
	s_trap 2
	ds_read_b64 v[10:11], v0
	s_waitcnt lgkmcnt(0)
	buffer_gl0_inv
	s_andn2_b32 s28, s28, exec_lo
	v_cmp_ge_u64_e32 vcc_lo, v[10:11], v[36:37]
	s_orn2_b32 s42, vcc_lo, exec_lo
	s_branch .LBB4_6094
.LBB4_6099:                             ;   in Loop: Header=BB4_3089 Depth=1
	s_inst_prefetch 0x2
	s_or_b32 exec_lo, exec_lo, s26
	s_and_saveexec_b32 s26, s27
	s_xor_b32 s26, exec_lo, s26
	s_cbranch_execz .LBB4_6101
; %bb.6100:                             ;   in Loop: Header=BB4_3089 Depth=1
	ds_write_b32 v0, v99
	s_trap 2
.LBB4_6101:                             ;   in Loop: Header=BB4_3089 Depth=1
	s_or_b32 exec_lo, exec_lo, s25
	;;#ASMSTART
	s_wakeup
	;;#ASMEND
.LBB4_6102:                             ;   in Loop: Header=BB4_3089 Depth=1
	s_or_b32 exec_lo, exec_lo, s24
.LBB4_6103:                             ;   in Loop: Header=BB4_3089 Depth=1
	s_andn2_saveexec_b32 s23, s23
	s_cbranch_execz .LBB4_6105
; %bb.6104:                             ;   in Loop: Header=BB4_3089 Depth=1
	s_waitcnt vmcnt(0) lgkmcnt(0)
	s_waitcnt_vscnt null, 0x0
	buffer_gl1_inv
	buffer_gl0_inv
	s_barrier
.LBB4_6105:                             ;   in Loop: Header=BB4_3089 Depth=1
	s_or_b32 exec_lo, exec_lo, s23
.LBB4_6106:                             ;   in Loop: Header=BB4_3089 Depth=1
	s_or_b32 exec_lo, exec_lo, s12
	s_trap 2
	ds_read_b32 v10, v0
	v_sub_nc_u32_e32 v11, v54, v14
	v_min_i32_e32 v11, v55, v11
	v_cmp_lt_i32_e32 vcc_lo, 0, v11
	s_waitcnt lgkmcnt(0)
	v_readfirstlane_b32 s12, v10
	v_and_b32_e32 v10, 16, v84
	s_cmp_eq_u32 s12, 0
	v_cmp_ne_u32_e64 s12, 0, v10
	s_cselect_b32 s23, -1, 0
	s_and_b32 s23, vcc_lo, s23
	s_and_b32 s23, s12, s23
	s_and_saveexec_b32 s12, s23
	s_cbranch_execz .LBB4_6108
; %bb.6107:                             ;   in Loop: Header=BB4_3089 Depth=1
	s_waitcnt vmcnt(0)
	s_waitcnt_vscnt null, 0x0
	buffer_gl1_inv
	buffer_gl0_inv
.LBB4_6108:                             ;   in Loop: Header=BB4_3089 Depth=1
	s_or_b32 exec_lo, exec_lo, s12
	v_and_b32_e32 v10, 32, v84
	s_mov_b32 s12, exec_lo
	v_cmpx_ne_u32_e32 0, v10
	s_cbranch_execz .LBB4_3087
; %bb.6109:                             ;   in Loop: Header=BB4_3089 Depth=1
	v_add_co_u32 v8, vcc_lo, v8, 1
	v_add_co_ci_u32_e64 v9, null, 0, v9, vcc_lo
	s_waitcnt vmcnt(0)
	s_waitcnt_vscnt null, 0x0
	flat_store_dwordx2 v[32:33], v[8:9]
	s_branch .LBB4_3087
.LBB4_6110:
	s_or_b32 exec_lo, exec_lo, s20
.LBB4_6111:
	s_or_b32 exec_lo, exec_lo, s18
.LBB4_6112:
	s_or_b32 exec_lo, exec_lo, s14
                                        ; implicit-def: $vgpr26_vgpr27
                                        ; implicit-def: $vgpr4_vgpr5
                                        ; implicit-def: $vgpr50_vgpr51
                                        ; implicit-def: $vgpr85
                                        ; implicit-def: $vgpr38_vgpr39
                                        ; implicit-def: $vgpr34_vgpr35
                                        ; implicit-def: $vgpr32_vgpr33
                                        ; implicit-def: $vgpr0
                                        ; implicit-def: $vgpr25
                                        ; implicit-def: $vgpr48
.LBB4_6113:
	s_andn2_saveexec_b32 s17, s17
	s_cbranch_execz .LBB4_6285
; %bb.6114:
	v_mov_b32_e32 v36, 0
	v_mov_b32_e32 v37, 0
	s_mov_b32 s18, exec_lo
	v_cmpx_ne_u64_e32 0, v[4:5]
	s_cbranch_execz .LBB4_6284
; %bb.6115:
	v_and_b32_e32 v23, 31, v0
	v_and_b32_e32 v10, 31, v31
	v_lshrrev_b32_e32 v24, 5, v1
	s_ashr_i32 s6, s16, 31
	v_cmp_eq_u32_e32 vcc_lo, 32, v1
	v_cmp_lt_u32_e64 s11, v23, v25
	v_lshrrev_b32_e32 v25, 5, v0
	v_lshlrev_b32_e32 v52, 4, v23
	s_lshr_b32 s6, s6, 24
	v_mov_b32_e32 v12, 0
	s_waitcnt vmcnt(1) lgkmcnt(1)
	v_cmp_ne_u64_e64 s12, 0, v[50:51]
	v_mov_b32_e32 v36, 0
	v_cmp_ge_u32_e64 s5, v0, v1
	s_add_i32 s13, s16, s6
	v_cmp_ne_u32_e64 s6, 32, v1
	s_waitcnt vmcnt(0)
	v_cmp_ne_u32_sdwa s16, v1, v30 src0_sel:DWORD src1_sel:WORD_0
	v_cmp_eq_u32_e64 s7, 0, v10
	v_mov_b32_e32 v11, 0
	v_cmp_eq_u32_e64 s10, 0, v23
	v_lshlrev_b32_e32 v53, 11, v24
	v_lshlrev_b32_e32 v54, 9, v24
	v_and_b32_e32 v55, 0x1fe0, v1
	v_mov_b32_e32 v13, 0
	v_lshl_or_b32 v64, v25, 11, v52
	v_mov_b32_e32 v37, 0
	v_mov_b32_e32 v65, 1
	s_ashr_i32 s20, s13, 8
	s_mov_b32 s19, 0
	s_xor_b32 s21, vcc_lo, -1
	s_trap 2
	s_branch .LBB4_6119
.LBB4_6116:                             ;   in Loop: Header=BB4_6119 Depth=1
	s_or_b32 exec_lo, exec_lo, s22
	v_add_co_u32 v8, vcc_lo, v8, 1
	v_add_co_ci_u32_e64 v9, null, 0, v9, vcc_lo
	s_waitcnt vmcnt(0) lgkmcnt(0)
	s_waitcnt_vscnt null, 0x0
	flat_store_dwordx2 v[32:33], v[8:9]
.LBB4_6117:                             ;   in Loop: Header=BB4_6119 Depth=1
	s_or_b32 exec_lo, exec_lo, s13
.LBB4_6118:                             ;   in Loop: Header=BB4_6119 Depth=1
	s_or_b32 exec_lo, exec_lo, s14
	v_add_co_u32 v12, vcc_lo, v12, v48
	v_add_co_ci_u32_e64 v13, null, 0, v13, vcc_lo
	v_cmp_ge_u64_e32 vcc_lo, v[12:13], v[4:5]
	s_or_b32 s19, vcc_lo, s19
	s_andn2_b32 exec_lo, exec_lo, s19
	s_cbranch_execz .LBB4_6283
.LBB4_6119:                             ; =>This Loop Header: Depth=1
                                        ;     Child Loop BB4_6128 Depth 2
                                        ;     Child Loop BB4_6152 Depth 2
                                        ;     Child Loop BB4_6171 Depth 2
                                        ;     Child Loop BB4_6193 Depth 2
                                        ;     Child Loop BB4_6198 Depth 2
                                        ;     Child Loop BB4_6204 Depth 2
                                        ;     Child Loop BB4_6209 Depth 2
                                        ;     Child Loop BB4_6218 Depth 2
                                        ;     Child Loop BB4_6243 Depth 2
                                        ;     Child Loop BB4_6267 Depth 2
	v_sub_co_u32 v14, vcc_lo, v4, v12
	v_sub_co_ci_u32_e64 v15, null, v5, v13, vcc_lo
	v_cmp_lt_u64_e32 vcc_lo, v[48:49], v[14:15]
	v_cndmask_b32_e32 v14, v14, v48, vcc_lo
	v_cndmask_b32_e64 v15, v15, 0, vcc_lo
	v_add_nc_u32_e32 v10, 15, v14
	v_cmp_eq_u64_e32 vcc_lo, 0, v[14:15]
	v_mov_b32_e32 v15, 0
	v_and_b32_e32 v10, 0x7ffffff0, v10
	s_or_b32 s22, s5, vcc_lo
	s_xor_b32 s13, s22, -1
	v_max_i32_e32 v10, s20, v10
	s_and_saveexec_b32 s23, s13
	s_cbranch_execz .LBB4_6236
; %bb.6120:                             ;   in Loop: Header=BB4_6119 Depth=1
	s_and_saveexec_b32 s13, s4
	s_cbranch_execz .LBB4_6122
; %bb.6121:                             ;   in Loop: Header=BB4_6119 Depth=1
	s_trap 2
	ds_read_b64 v[15:16], v0
	s_waitcnt lgkmcnt(0)
	v_add_co_u32 v17, vcc_lo, v15, v26
	v_add_co_ci_u32_e64 v16, null, v16, v27, vcc_lo
	v_mov_b32_e32 v15, v11
	v_add_co_u32 v17, vcc_lo, v17, v12
	v_add_co_ci_u32_e64 v18, null, v16, v13, vcc_lo
	v_mov_b32_e32 v16, v11
	ds_write_b64 v0, v[17:18]
	ds_write_b64 v0, v[15:16]
.LBB4_6122:                             ;   in Loop: Header=BB4_6119 Depth=1
	s_or_b32 exec_lo, exec_lo, s13
	v_and_b32_e32 v15, 8, v84
	v_min_u32_e32 v10, v10, v14
	s_mov_b32 s14, exec_lo
	v_cmpx_ne_u32_e32 0, v15
	s_cbranch_execz .LBB4_6144
; %bb.6123:                             ;   in Loop: Header=BB4_6119 Depth=1
	s_waitcnt vmcnt(0)
	v_add_co_u32 v17, vcc_lo, v38, 8
	v_add_co_ci_u32_e64 v18, null, 0, v39, vcc_lo
	s_waitcnt lgkmcnt(0)
	v_add_co_u32 v15, vcc_lo, v8, 1
	v_add_co_ci_u32_e64 v16, null, 0, v9, vcc_lo
	s_mov_b32 s24, exec_lo
	v_cmpx_lt_u64_e64 v[17:18], v[15:16]
	s_cbranch_execz .LBB4_6135
; %bb.6124:                             ;   in Loop: Header=BB4_6119 Depth=1
	v_and_b32_e32 v9, 64, v84
	s_mov_b32 s25, 0
	s_mov_b32 s29, 0
                                        ; implicit-def: $sgpr26
                                        ; implicit-def: $sgpr27
                                        ; implicit-def: $sgpr28
	v_cmp_eq_u32_e32 vcc_lo, 0, v9
	s_branch .LBB4_6128
.LBB4_6125:                             ;   in Loop: Header=BB4_6128 Depth=2
	s_waitcnt vmcnt(0) lgkmcnt(0)
	v_add_co_u32 v17, s13, v38, 8
	v_add_co_ci_u32_e64 v18, null, 0, v39, s13
	s_or_b32 s42, s42, exec_lo
	v_cmp_ge_u64_e64 s13, v[17:18], v[15:16]
	s_orn2_b32 s41, s13, exec_lo
.LBB4_6126:                             ;   in Loop: Header=BB4_6128 Depth=2
	s_or_b32 exec_lo, exec_lo, s44
	s_andn2_b32 s13, s28, exec_lo
	s_and_b32 s28, s42, exec_lo
	s_andn2_b32 s27, s27, exec_lo
	s_and_b32 s41, s41, exec_lo
	s_or_b32 s28, s13, s28
	s_or_b32 s27, s27, s41
.LBB4_6127:                             ;   in Loop: Header=BB4_6128 Depth=2
	s_or_b32 exec_lo, exec_lo, s40
	s_and_b32 s13, exec_lo, s27
	s_or_b32 s25, s13, s25
	s_andn2_b32 s13, s26, exec_lo
	s_and_b32 s26, s28, exec_lo
	s_or_b32 s26, s13, s26
	s_andn2_b32 exec_lo, exec_lo, s25
	s_cbranch_execz .LBB4_6132
.LBB4_6128:                             ;   Parent Loop BB4_6119 Depth=1
                                        ; =>  This Inner Loop Header: Depth=2
	s_sleep 1
	s_waitcnt vmcnt(0) lgkmcnt(0)
	flat_load_dwordx2 v[38:39], v[32:33] glc dlc
	s_or_b32 s28, s28, exec_lo
	s_or_b32 s27, s27, exec_lo
                                        ; implicit-def: $vgpr9
	s_and_saveexec_b32 s40, vcc_lo
	s_cbranch_execz .LBB4_6127
; %bb.6129:                             ;   in Loop: Header=BB4_6128 Depth=2
	s_cmpk_lt_i32 s29, 0x270f
	s_mov_b32 s41, -1
	s_cselect_b32 s43, -1, 0
	s_cmpk_gt_i32 s29, 0x270e
	s_cbranch_scc0 .LBB4_6131
; %bb.6130:                             ;   in Loop: Header=BB4_6128 Depth=2
	s_trap 2
	ds_read_b64 v[17:18], v0
	s_andn2_b32 s29, s43, exec_lo
	s_mov_b32 s42, 0
	s_waitcnt vmcnt(0) lgkmcnt(0)
	s_waitcnt_vscnt null, 0x0
	flat_load_dword v9, v[17:18] glc dlc
	s_waitcnt vmcnt(0) lgkmcnt(0)
	buffer_gl1_inv
	buffer_gl0_inv
	v_cmp_eq_u32_e64 s13, 0, v9
	s_and_b32 s13, s13, exec_lo
	s_or_b32 s43, s29, s13
	s_mov_b32 s29, 0
	s_and_saveexec_b32 s44, s43
	s_cbranch_execz .LBB4_6126
	s_branch .LBB4_6125
.LBB4_6131:                             ;   in Loop: Header=BB4_6128 Depth=2
	s_add_i32 s29, s29, 1
	s_mov_b32 s42, -1
                                        ; implicit-def: $vgpr9
	s_and_saveexec_b32 s44, s43
	s_cbranch_execz .LBB4_6126
	s_branch .LBB4_6125
.LBB4_6132:                             ;   in Loop: Header=BB4_6119 Depth=1
	s_or_b32 exec_lo, exec_lo, s25
	s_xor_b32 s13, s26, -1
	s_and_saveexec_b32 s25, s13
	s_xor_b32 s13, exec_lo, s25
	s_cbranch_execz .LBB4_6134
; %bb.6133:                             ;   in Loop: Header=BB4_6119 Depth=1
	v_or_b32_e32 v84, 64, v84
	s_waitcnt vmcnt(0) lgkmcnt(0)
	s_waitcnt_vscnt null, 0x0
	ds_write_b32 v0, v9
	s_trap 2
.LBB4_6134:                             ;   in Loop: Header=BB4_6119 Depth=1
	s_or_b32 exec_lo, exec_lo, s13
.LBB4_6135:                             ;   in Loop: Header=BB4_6119 Depth=1
	s_or_b32 exec_lo, exec_lo, s24
	v_and_b32_e32 v9, 0x100, v84
	v_and_b32_e32 v19, 7, v8
	s_mov_b32 s13, -1
	;;#ASMSTART
	s_wakeup
	;;#ASMEND
	v_cmp_ne_u32_e32 vcc_lo, 0, v9
                                        ; implicit-def: $vgpr8_vgpr9
	s_and_saveexec_b32 s24, vcc_lo
	s_cbranch_execz .LBB4_6139
; %bb.6136:                             ;   in Loop: Header=BB4_6119 Depth=1
	v_mad_u64_u32 v[17:18], null, v19, 24, v[6:7]
	flat_load_dword v8, v[17:18]
	flat_store_dwordx2 v[17:18], v[10:11] offset:8
	s_waitcnt vmcnt(0) lgkmcnt(1)
	v_cmp_eq_u32_e64 s13, 1, v8
	v_cmp_ne_u32_e32 vcc_lo, 1, v8
                                        ; implicit-def: $vgpr8_vgpr9
	s_and_saveexec_b32 s25, s13
	s_cbranch_execz .LBB4_6138
; %bb.6137:                             ;   in Loop: Header=BB4_6119 Depth=1
	flat_load_dword v8, v[17:18] offset:4 glc dlc
	s_waitcnt vmcnt(0) lgkmcnt(0)
	v_ashrrev_i32_e32 v9, 31, v8
.LBB4_6138:                             ;   in Loop: Header=BB4_6119 Depth=1
	s_or_b32 exec_lo, exec_lo, s25
	s_orn2_b32 s13, vcc_lo, exec_lo
.LBB4_6139:                             ;   in Loop: Header=BB4_6119 Depth=1
	s_or_b32 exec_lo, exec_lo, s24
	s_and_saveexec_b32 s24, s13
; %bb.6140:                             ;   in Loop: Header=BB4_6119 Depth=1
	v_mad_i64_i32 v[8:9], null, v19, v85, 0
; %bb.6141:                             ;   in Loop: Header=BB4_6119 Depth=1
	s_or_b32 exec_lo, exec_lo, s24
	v_add_co_u32 v8, vcc_lo, v34, v8
	v_and_b32_e32 v17, 0x2000, v84
	v_add_co_ci_u32_e64 v9, null, v35, v9, vcc_lo
	s_mov_b32 s13, exec_lo
	ds_write_b64 v0, v[8:9] offset:784
	v_cmpx_ne_u32_e32 0, v17
	s_cbranch_execz .LBB4_6143
; %bb.6142:                             ;   in Loop: Header=BB4_6119 Depth=1
	ds_read_b64 v[8:9], v0 offset:872
	s_waitcnt lgkmcnt(0)
	v_add_co_u32 v8, vcc_lo, v8, 1
	v_add_co_ci_u32_e64 v9, null, 0, v9, vcc_lo
	ds_write_b64 v0, v[8:9] offset:872
.LBB4_6143:                             ;   in Loop: Header=BB4_6119 Depth=1
	s_or_b32 exec_lo, exec_lo, s13
	v_mov_b32_e32 v8, v15
	v_mov_b32_e32 v9, v16
.LBB4_6144:                             ;   in Loop: Header=BB4_6119 Depth=1
	s_or_b32 exec_lo, exec_lo, s14
	s_and_saveexec_b32 s13, s6
	s_cbranch_execz .LBB4_6163
; %bb.6145:                             ;   in Loop: Header=BB4_6119 Depth=1
	s_and_saveexec_b32 s14, s16
	s_xor_b32 s14, exec_lo, s14
	s_cbranch_execz .LBB4_6160
; %bb.6146:                             ;   in Loop: Header=BB4_6119 Depth=1
	s_and_saveexec_b32 s24, s7
	s_cbranch_execz .LBB4_6159
; %bb.6147:                             ;   in Loop: Header=BB4_6119 Depth=1
	s_mov_b32 s26, exec_lo
	s_mov_b32 s25, exec_lo
	v_mbcnt_lo_u32_b32 v15, s26, 0
	s_waitcnt vmcnt(0) lgkmcnt(0)
	s_waitcnt_vscnt null, 0x0
	buffer_gl1_inv
	buffer_gl0_inv
	v_cmpx_eq_u32_e32 0, v15
	s_cbranch_execz .LBB4_6149
; %bb.6148:                             ;   in Loop: Header=BB4_6119 Depth=1
	s_bcnt1_i32_b32 s26, s26
	v_mov_b32_e32 v16, v11
	v_mov_b32_e32 v15, s26
	ds_add_u64 v0, v[15:16]
	s_trap 2
.LBB4_6149:                             ;   in Loop: Header=BB4_6119 Depth=1
	s_or_b32 exec_lo, exec_lo, s25
	s_trap 2
	ds_read_b64 v[15:16], v0
	s_waitcnt lgkmcnt(0)
	buffer_gl0_inv
	v_add_co_u32 v36, vcc_lo, v36, v24
	v_add_co_ci_u32_e64 v37, null, 0, v37, vcc_lo
	s_mov_b32 s25, exec_lo
	v_cmpx_lt_u64_e64 v[15:16], v[36:37]
	s_cbranch_execz .LBB4_6158
; %bb.6150:                             ;   in Loop: Header=BB4_6119 Depth=1
	s_mov_b32 s26, 0
	s_mov_b32 s29, 0
                                        ; implicit-def: $sgpr27
                                        ; implicit-def: $sgpr28
	s_inst_prefetch 0x1
	s_branch .LBB4_6152
	.p2align	6
.LBB4_6151:                             ;   in Loop: Header=BB4_6152 Depth=2
	s_or_b32 exec_lo, exec_lo, s41
	s_and_b32 s40, exec_lo, s42
	s_or_b32 s26, s40, s26
	s_andn2_b32 s27, s27, exec_lo
	s_and_b32 s40, s28, exec_lo
	s_or_b32 s27, s27, s40
	s_andn2_b32 exec_lo, exec_lo, s26
	s_cbranch_execz .LBB4_6156
.LBB4_6152:                             ;   Parent Loop BB4_6119 Depth=1
                                        ; =>  This Inner Loop Header: Depth=2
	s_add_i32 s29, s29, 1
	s_cmpk_lg_i32 s29, 0x2710
	s_cselect_b32 s40, -1, 0
	s_and_b32 vcc_lo, exec_lo, s40
	s_cbranch_vccz .LBB4_6154
; %bb.6153:                             ;   in Loop: Header=BB4_6152 Depth=2
	s_mov_b32 s42, -1
	s_or_b32 s28, s28, exec_lo
	s_and_saveexec_b32 s41, s40
	s_cbranch_execz .LBB4_6151
	s_branch .LBB4_6155
	.p2align	6
.LBB4_6154:                             ;   in Loop: Header=BB4_6152 Depth=2
	s_trap 2
	ds_read_b64 v[15:16], v0
	s_andn2_b32 s40, s40, exec_lo
	s_mov_b32 s29, 0
	s_waitcnt lgkmcnt(0)
	flat_load_dword v15, v[15:16] glc dlc
	s_waitcnt vmcnt(0) lgkmcnt(0)
	buffer_gl1_inv
	buffer_gl0_inv
	v_cmp_eq_u32_e32 vcc_lo, 0, v15
	s_and_b32 s41, vcc_lo, exec_lo
	s_or_b32 s40, s40, s41
	s_mov_b32 s42, -1
	s_or_b32 s28, s28, exec_lo
	s_and_saveexec_b32 s41, s40
	s_cbranch_execz .LBB4_6151
.LBB4_6155:                             ;   in Loop: Header=BB4_6152 Depth=2
	s_sleep 1
	s_trap 2
	ds_read_b64 v[15:16], v0
	s_waitcnt lgkmcnt(0)
	buffer_gl0_inv
	s_andn2_b32 s28, s28, exec_lo
	v_cmp_ge_u64_e32 vcc_lo, v[15:16], v[36:37]
	s_orn2_b32 s42, vcc_lo, exec_lo
	s_branch .LBB4_6151
.LBB4_6156:                             ;   in Loop: Header=BB4_6119 Depth=1
	s_inst_prefetch 0x2
	s_or_b32 exec_lo, exec_lo, s26
	s_and_saveexec_b32 s26, s27
	s_xor_b32 s26, exec_lo, s26
	s_cbranch_execz .LBB4_6158
; %bb.6157:                             ;   in Loop: Header=BB4_6119 Depth=1
	ds_write_b32 v0, v65
	s_trap 2
.LBB4_6158:                             ;   in Loop: Header=BB4_6119 Depth=1
	s_or_b32 exec_lo, exec_lo, s25
	;;#ASMSTART
	s_wakeup
	;;#ASMEND
.LBB4_6159:                             ;   in Loop: Header=BB4_6119 Depth=1
	s_or_b32 exec_lo, exec_lo, s24
.LBB4_6160:                             ;   in Loop: Header=BB4_6119 Depth=1
	s_andn2_saveexec_b32 s14, s14
	s_cbranch_execz .LBB4_6162
; %bb.6161:                             ;   in Loop: Header=BB4_6119 Depth=1
	s_waitcnt vmcnt(0) lgkmcnt(0)
	s_waitcnt_vscnt null, 0x0
	buffer_gl1_inv
	buffer_gl0_inv
	s_barrier
.LBB4_6162:                             ;   in Loop: Header=BB4_6119 Depth=1
	s_or_b32 exec_lo, exec_lo, s14
.LBB4_6163:                             ;   in Loop: Header=BB4_6119 Depth=1
	s_or_b32 exec_lo, exec_lo, s13
	s_trap 2
	ds_read_b32 v19, v0
	v_and_b32_e32 v15, 0x4000, v84
	v_cmp_ne_u32_e32 vcc_lo, 0, v15
	s_and_b32 s14, s21, vcc_lo
	s_and_saveexec_b32 s13, s14
	s_cbranch_execz .LBB4_6182
; %bb.6164:                             ;   in Loop: Header=BB4_6119 Depth=1
	s_and_saveexec_b32 s14, s16
	s_xor_b32 s14, exec_lo, s14
	s_cbranch_execz .LBB4_6179
; %bb.6165:                             ;   in Loop: Header=BB4_6119 Depth=1
	s_and_saveexec_b32 s24, s7
	s_cbranch_execz .LBB4_6178
; %bb.6166:                             ;   in Loop: Header=BB4_6119 Depth=1
	s_mov_b32 s26, exec_lo
	s_mov_b32 s25, exec_lo
	v_mbcnt_lo_u32_b32 v15, s26, 0
	s_waitcnt vmcnt(0) lgkmcnt(0)
	s_waitcnt_vscnt null, 0x0
	buffer_gl1_inv
	buffer_gl0_inv
	v_cmpx_eq_u32_e32 0, v15
	s_cbranch_execz .LBB4_6168
; %bb.6167:                             ;   in Loop: Header=BB4_6119 Depth=1
	s_bcnt1_i32_b32 s26, s26
	v_mov_b32_e32 v16, v11
	v_mov_b32_e32 v15, s26
	ds_add_u64 v0, v[15:16]
	s_trap 2
.LBB4_6168:                             ;   in Loop: Header=BB4_6119 Depth=1
	s_or_b32 exec_lo, exec_lo, s25
	s_trap 2
	ds_read_b64 v[15:16], v0
	s_waitcnt lgkmcnt(0)
	buffer_gl0_inv
	v_add_co_u32 v36, vcc_lo, v36, v24
	v_add_co_ci_u32_e64 v37, null, 0, v37, vcc_lo
	s_mov_b32 s25, exec_lo
	v_cmpx_lt_u64_e64 v[15:16], v[36:37]
	s_cbranch_execz .LBB4_6177
; %bb.6169:                             ;   in Loop: Header=BB4_6119 Depth=1
	s_mov_b32 s26, 0
	s_mov_b32 s29, 0
                                        ; implicit-def: $sgpr27
                                        ; implicit-def: $sgpr28
	s_inst_prefetch 0x1
	s_branch .LBB4_6171
	.p2align	6
.LBB4_6170:                             ;   in Loop: Header=BB4_6171 Depth=2
	s_or_b32 exec_lo, exec_lo, s41
	s_and_b32 s40, exec_lo, s42
	s_or_b32 s26, s40, s26
	s_andn2_b32 s27, s27, exec_lo
	s_and_b32 s40, s28, exec_lo
	s_or_b32 s27, s27, s40
	s_andn2_b32 exec_lo, exec_lo, s26
	s_cbranch_execz .LBB4_6175
.LBB4_6171:                             ;   Parent Loop BB4_6119 Depth=1
                                        ; =>  This Inner Loop Header: Depth=2
	s_add_i32 s29, s29, 1
	s_cmpk_lg_i32 s29, 0x2710
	s_cselect_b32 s40, -1, 0
	s_and_b32 vcc_lo, exec_lo, s40
	s_cbranch_vccz .LBB4_6173
; %bb.6172:                             ;   in Loop: Header=BB4_6171 Depth=2
	s_mov_b32 s42, -1
	s_or_b32 s28, s28, exec_lo
	s_and_saveexec_b32 s41, s40
	s_cbranch_execz .LBB4_6170
	s_branch .LBB4_6174
	.p2align	6
.LBB4_6173:                             ;   in Loop: Header=BB4_6171 Depth=2
	s_trap 2
	ds_read_b64 v[15:16], v0
	s_andn2_b32 s40, s40, exec_lo
	s_mov_b32 s29, 0
	s_waitcnt lgkmcnt(0)
	flat_load_dword v15, v[15:16] glc dlc
	s_waitcnt vmcnt(0) lgkmcnt(0)
	buffer_gl1_inv
	buffer_gl0_inv
	v_cmp_eq_u32_e32 vcc_lo, 0, v15
	s_and_b32 s41, vcc_lo, exec_lo
	s_or_b32 s40, s40, s41
	s_mov_b32 s42, -1
	s_or_b32 s28, s28, exec_lo
	s_and_saveexec_b32 s41, s40
	s_cbranch_execz .LBB4_6170
.LBB4_6174:                             ;   in Loop: Header=BB4_6171 Depth=2
	s_sleep 1
	s_trap 2
	ds_read_b64 v[15:16], v0
	s_waitcnt lgkmcnt(0)
	buffer_gl0_inv
	s_andn2_b32 s28, s28, exec_lo
	v_cmp_ge_u64_e32 vcc_lo, v[15:16], v[36:37]
	s_orn2_b32 s42, vcc_lo, exec_lo
	s_branch .LBB4_6170
.LBB4_6175:                             ;   in Loop: Header=BB4_6119 Depth=1
	s_inst_prefetch 0x2
	s_or_b32 exec_lo, exec_lo, s26
	s_and_saveexec_b32 s26, s27
	s_xor_b32 s26, exec_lo, s26
	s_cbranch_execz .LBB4_6177
; %bb.6176:                             ;   in Loop: Header=BB4_6119 Depth=1
	ds_write_b32 v0, v65
	s_trap 2
.LBB4_6177:                             ;   in Loop: Header=BB4_6119 Depth=1
	s_or_b32 exec_lo, exec_lo, s25
	;;#ASMSTART
	s_wakeup
	;;#ASMEND
.LBB4_6178:                             ;   in Loop: Header=BB4_6119 Depth=1
	s_or_b32 exec_lo, exec_lo, s24
.LBB4_6179:                             ;   in Loop: Header=BB4_6119 Depth=1
	s_andn2_saveexec_b32 s14, s14
	s_cbranch_execz .LBB4_6181
; %bb.6180:                             ;   in Loop: Header=BB4_6119 Depth=1
	s_waitcnt vmcnt(0) lgkmcnt(0)
	s_waitcnt_vscnt null, 0x0
	buffer_gl1_inv
	buffer_gl0_inv
	s_barrier
.LBB4_6181:                             ;   in Loop: Header=BB4_6119 Depth=1
	s_or_b32 exec_lo, exec_lo, s14
.LBB4_6182:                             ;   in Loop: Header=BB4_6119 Depth=1
	s_or_b32 exec_lo, exec_lo, s13
	s_trap 2
	ds_read_b64 v[15:16], v0
	s_waitcnt lgkmcnt(0)
	v_cmp_eq_u64_e32 vcc_lo, 0, v[15:16]
	s_cbranch_vccnz .LBB4_6190
; %bb.6183:                             ;   in Loop: Header=BB4_6119 Depth=1
	s_trap 2
	ds_read_b64 v[17:18], v0
	s_waitcnt lgkmcnt(0)
	v_cmp_eq_u64_e32 vcc_lo, 0, v[17:18]
	s_cbranch_vccnz .LBB4_6190
; %bb.6184:                             ;   in Loop: Header=BB4_6119 Depth=1
	s_mov_b32 s13, -1
	s_and_saveexec_b32 s14, s10
	s_cbranch_execz .LBB4_6186
; %bb.6185:                             ;   in Loop: Header=BB4_6119 Depth=1
	ds_read_b32 v20, v0 offset:720
	s_waitcnt lgkmcnt(0)
	v_and_b32_e32 v20, 15, v20
	v_cmp_eq_u32_e32 vcc_lo, 0, v20
	s_orn2_b32 s13, vcc_lo, exec_lo
.LBB4_6186:                             ;   in Loop: Header=BB4_6119 Depth=1
	s_or_b32 exec_lo, exec_lo, s14
	s_and_saveexec_b32 s14, s11
	s_cbranch_execz .LBB4_6188
; %bb.6187:                             ;   in Loop: Header=BB4_6119 Depth=1
	ds_read_b32 v20, v0 offset:784
	s_waitcnt lgkmcnt(0)
	v_and_b32_e32 v20, 15, v20
	v_cmp_eq_u32_e32 vcc_lo, 0, v20
	s_and_b32 s24, s13, vcc_lo
	s_andn2_b32 s13, s13, exec_lo
	s_and_b32 s24, s24, exec_lo
	s_or_b32 s13, s13, s24
.LBB4_6188:                             ;   in Loop: Header=BB4_6119 Depth=1
	s_or_b32 exec_lo, exec_lo, s14
	v_cmp_eq_u32_e32 vcc_lo, 0, v19
	s_xor_b32 s13, s13, -1
	v_mov_b32_e32 v19, 0
	v_cndmask_b32_e64 v20, 0, 1, s13
	v_mov_b32_e32 v21, v0
	v_cndmask_b32_e32 v66, 0, v10, vcc_lo
	s_mov_b32 s13, -1
	v_cmp_ne_u32_e32 vcc_lo, 0, v20
	v_mov_b32_e32 v20, v66
	s_cbranch_vccz .LBB4_6191
; %bb.6189:                             ;   in Loop: Header=BB4_6119 Depth=1
	s_and_saveexec_b32 s14, s13
	s_cbranch_execnz .LBB4_6202
	s_branch .LBB4_6210
.LBB4_6190:                             ;   in Loop: Header=BB4_6119 Depth=1
	s_mov_b32 s13, 0
	s_and_saveexec_b32 s14, s6
	s_cbranch_execnz .LBB4_6211
	s_branch .LBB4_6229
.LBB4_6191:                             ;   in Loop: Header=BB4_6119 Depth=1
	v_lshrrev_b32_e32 v19, 11, v66
	s_mov_b32 s14, exec_lo
	v_sub_nc_u32_e32 v67, v19, v25
	v_cmpx_lt_i32_e32 0, v67
	s_cbranch_execz .LBB4_6195
; %bb.6192:                             ;   in Loop: Header=BB4_6119 Depth=1
	v_mov_b32_e32 v20, v18
	v_mov_b32_e32 v22, v16
	v_mov_b32_e32 v19, v17
	v_mov_b32_e32 v21, v15
	s_mov_b32 s24, 0
	s_inst_prefetch 0x1
	.p2align	6
.LBB4_6193:                             ;   Parent Loop BB4_6119 Depth=1
                                        ; =>  This Inner Loop Header: Depth=2
	v_add_co_u32 v86, vcc_lo, v64, v21
	v_add_co_ci_u32_e64 v87, null, 0, v22, vcc_lo
	v_sub_nc_u32_e32 v67, v67, v24
	s_clause 0x3
	global_load_dwordx4 v[68:71], v[86:87], off slc
	global_load_dwordx4 v[80:83], v[86:87], off offset:512 slc
	global_load_dwordx4 v[96:99], v[86:87], off offset:1024 slc
	;; [unrolled: 1-line block ×3, first 2 shown]
	v_add_co_u32 v86, vcc_lo, v64, v19
	v_add_co_ci_u32_e64 v87, null, 0, v20, vcc_lo
	v_add_co_u32 v21, vcc_lo, v21, v53
	v_add_co_ci_u32_e64 v22, null, 0, v22, vcc_lo
	v_add_co_u32 v19, vcc_lo, v19, v53
	v_cmp_gt_i32_e64 s13, 1, v67
	v_add_co_ci_u32_e64 v20, null, 0, v20, vcc_lo
	s_waitcnt vmcnt(3)
	global_store_dwordx4 v[86:87], v[68:71], off glc slc
	s_waitcnt vmcnt(2)
	global_store_dwordx4 v[86:87], v[80:83], off offset:512 glc slc
	s_waitcnt vmcnt(1)
	global_store_dwordx4 v[86:87], v[96:99], off offset:1024 glc slc
	;; [unrolled: 2-line block ×3, first 2 shown]
	s_or_b32 s24, s13, s24
	s_andn2_b32 exec_lo, exec_lo, s24
	s_cbranch_execnz .LBB4_6193
; %bb.6194:                             ;   in Loop: Header=BB4_6119 Depth=1
	s_inst_prefetch 0x2
	s_or_b32 exec_lo, exec_lo, s24
.LBB4_6195:                             ;   in Loop: Header=BB4_6119 Depth=1
	s_or_b32 exec_lo, exec_lo, s14
	v_and_b32_e32 v22, 0x3ffff800, v66
	v_mov_b32_e32 v19, 0
	s_mov_b32 s13, 0
	s_mov_b32 s24, exec_lo
                                        ; implicit-def: $vgpr20
                                        ; implicit-def: $vgpr21
	v_cmpx_ne_u32_e64 v66, v22
	s_cbranch_execz .LBB4_6201
; %bb.6196:                             ;   in Loop: Header=BB4_6119 Depth=1
	v_and_b32_e32 v19, 0x1ff, v66
	v_lshlrev_b32_e32 v20, 9, v67
	v_sub_nc_u32_e32 v21, 0, v67
	v_bfe_u32 v69, v66, 9, 2
	v_and_b32_e32 v68, 0x7ff, v66
	v_cmp_lt_u32_e32 vcc_lo, 15, v19
	v_sub_nc_u32_e32 v67, v52, v20
	v_and_b32_e32 v21, 0x7ffffff, v21
	s_mov_b32 s25, exec_lo
	v_add_co_ci_u32_e64 v69, null, 0, v69, vcc_lo
	v_sub_nc_u32_e32 v20, v68, v67
	v_sub_nc_u32_e32 v21, v69, v21
	v_cmpx_lt_i32_e32 15, v20
	s_cbranch_execz .LBB4_6200
; %bb.6197:                             ;   in Loop: Header=BB4_6119 Depth=1
	v_add_nc_u32_e32 v22, v67, v22
	v_mov_b32_e32 v67, v11
	s_mov_b32 s26, 0
	.p2align	6
.LBB4_6198:                             ;   Parent Loop BB4_6119 Depth=1
                                        ; =>  This Inner Loop Header: Depth=2
	v_add_co_u32 v68, s13, v15, v22
	v_add_co_ci_u32_e64 v69, null, v16, v67, s13
	v_sub_nc_u32_e32 v20, v20, v54
	v_add_co_u32 v80, s13, v17, v22
	global_load_dwordx4 v[68:71], v[68:69], off slc
	v_add_co_ci_u32_e64 v81, null, v18, v67, s13
	v_cmp_gt_i32_e64 s13, 16, v20
	v_add_co_u32 v22, s14, v22, v54
	v_sub_nc_u32_e32 v21, v21, v24
	v_add_co_ci_u32_e64 v67, null, 0, v67, s14
	s_or_b32 s26, s13, s26
	s_waitcnt vmcnt(0)
	global_store_dwordx4 v[80:81], v[68:71], off glc slc
	s_andn2_b32 exec_lo, exec_lo, s26
	s_cbranch_execnz .LBB4_6198
; %bb.6199:                             ;   in Loop: Header=BB4_6119 Depth=1
	s_or_b32 exec_lo, exec_lo, s26
.LBB4_6200:                             ;   in Loop: Header=BB4_6119 Depth=1
	s_or_b32 exec_lo, exec_lo, s25
	v_cmp_lt_i32_e64 s13, 0, v21
	v_and_b32_e32 v20, 15, v66
	v_and_b32_e32 v22, 0x1f0, v66
	v_cndmask_b32_e64 v67, 0, v24, s13
	v_cndmask_b32_e32 v20, v19, v20, vcc_lo
	v_cndmask_b32_e32 v19, 0, v22, vcc_lo
	v_sub_nc_u32_e32 v21, v67, v21
	v_cmp_ne_u32_e32 vcc_lo, 0, v20
	v_and_or_b32 v19, 0x3ffffe00, v66, v19
	v_lshl_or_b32 v21, v21, 5, v23
	s_and_b32 s13, vcc_lo, exec_lo
.LBB4_6201:                             ;   in Loop: Header=BB4_6119 Depth=1
	s_or_b32 exec_lo, exec_lo, s24
	s_and_saveexec_b32 s14, s13
	s_cbranch_execz .LBB4_6210
.LBB4_6202:                             ;   in Loop: Header=BB4_6119 Depth=1
	v_ashrrev_i32_e32 v22, 31, v21
	v_lshrrev_b32_e32 v67, 9, v20
	s_mov_b32 s13, exec_lo
	v_lshrrev_b32_e32 v22, 27, v22
	v_add_nc_u32_e32 v68, v21, v22
	v_ashrrev_i32_e32 v22, 5, v68
	v_sub_nc_u32_e32 v67, v67, v22
	v_cmpx_lt_i32_e32 0, v67
	s_cbranch_execz .LBB4_6206
; %bb.6203:                             ;   in Loop: Header=BB4_6119 Depth=1
	v_and_b32_e32 v68, 0xffffffe0, v68
	v_lshlrev_b32_e32 v69, 9, v22
	s_mov_b32 s24, 0
	v_sub_nc_u32_e32 v68, v21, v68
	v_add3_u32 v68, v19, v68, v69
	v_ashrrev_i32_e32 v69, 31, v68
.LBB4_6204:                             ;   Parent Loop BB4_6119 Depth=1
                                        ; =>  This Inner Loop Header: Depth=2
	v_add_co_u32 v70, vcc_lo, v68, v15
	v_add_co_ci_u32_e64 v71, null, v69, v16, vcc_lo
	v_sub_nc_u32_e32 v67, v67, v24
	s_clause 0xf
	flat_load_ubyte v80, v[70:71] slc
	flat_load_ubyte v81, v[70:71] offset:32 slc
	flat_load_ubyte v82, v[70:71] offset:64 slc
	flat_load_ubyte v83, v[70:71] offset:96 slc
	flat_load_ubyte v86, v[70:71] offset:128 slc
	flat_load_ubyte v87, v[70:71] offset:160 slc
	flat_load_ubyte v96, v[70:71] offset:192 slc
	flat_load_ubyte v97, v[70:71] offset:224 slc
	flat_load_ubyte v98, v[70:71] offset:256 slc
	flat_load_ubyte v99, v[70:71] offset:288 slc
	flat_load_ubyte v100, v[70:71] offset:320 slc
	flat_load_ubyte v101, v[70:71] offset:352 slc
	flat_load_ubyte v102, v[70:71] offset:384 slc
	flat_load_ubyte v103, v[70:71] offset:416 slc
	flat_load_ubyte v112, v[70:71] offset:448 slc
	flat_load_ubyte v113, v[70:71] offset:480 slc
	v_add_co_u32 v70, vcc_lo, v68, v17
	v_add_co_ci_u32_e64 v71, null, v69, v18, vcc_lo
	v_add_co_u32 v15, vcc_lo, v15, v54
	v_add_co_ci_u32_e64 v16, null, 0, v16, vcc_lo
	;; [unrolled: 2-line block ×3, first 2 shown]
	v_cmp_gt_i32_e32 vcc_lo, 1, v67
	s_waitcnt vmcnt(15) lgkmcnt(15)
	flat_store_byte v[70:71], v80 glc slc
	s_waitcnt vmcnt(14) lgkmcnt(15)
	flat_store_byte v[70:71], v81 offset:32 glc slc
	s_waitcnt vmcnt(13) lgkmcnt(15)
	flat_store_byte v[70:71], v82 offset:64 glc slc
	;; [unrolled: 2-line block ×15, first 2 shown]
	s_or_b32 s24, vcc_lo, s24
	s_andn2_b32 exec_lo, exec_lo, s24
	s_cbranch_execnz .LBB4_6204
; %bb.6205:                             ;   in Loop: Header=BB4_6119 Depth=1
	s_or_b32 exec_lo, exec_lo, s24
.LBB4_6206:                             ;   in Loop: Header=BB4_6119 Depth=1
	s_or_b32 exec_lo, exec_lo, s13
	v_and_b32_e32 v18, 0xfffffe00, v20
	v_cmp_ne_u32_e32 vcc_lo, v20, v18
	s_and_b32 exec_lo, exec_lo, vcc_lo
	s_cbranch_execz .LBB4_6210
; %bb.6207:                             ;   in Loop: Header=BB4_6119 Depth=1
	v_lshlrev_b32_e32 v15, 5, v22
	v_lshlrev_b32_e32 v16, 5, v67
	v_sub_nc_u32_e32 v15, v21, v15
	v_sub_nc_u32_e32 v21, v15, v16
	v_and_b32_e32 v15, 0x1ff, v20
	v_sub_nc_u32_e32 v17, v15, v21
	v_cmp_lt_i32_e32 vcc_lo, 0, v17
	s_and_b32 exec_lo, exec_lo, vcc_lo
	s_cbranch_execz .LBB4_6210
; %bb.6208:                             ;   in Loop: Header=BB4_6119 Depth=1
	s_trap 2
	ds_read_b64 v[15:16], v0
	v_add3_u32 v18, v18, v19, v21
	s_mov_b32 s24, 0
	v_ashrrev_i32_e32 v19, 31, v18
	.p2align	6
.LBB4_6209:                             ;   Parent Loop BB4_6119 Depth=1
                                        ; =>  This Inner Loop Header: Depth=2
	s_waitcnt lgkmcnt(0)
	v_add_co_u32 v20, vcc_lo, v15, v18
	v_add_co_ci_u32_e64 v21, null, v16, v19, vcc_lo
	v_sub_nc_u32_e32 v17, v17, v55
	v_add_co_u32 v18, s13, v18, v55
	flat_load_ubyte v22, v[20:21] slc
	v_add_co_ci_u32_e64 v19, null, 0, v19, s13
	v_cmp_gt_i32_e32 vcc_lo, 1, v17
	s_or_b32 s24, vcc_lo, s24
	s_waitcnt vmcnt(0) lgkmcnt(0)
	flat_store_byte v[20:21], v22 glc slc
	s_andn2_b32 exec_lo, exec_lo, s24
	s_cbranch_execnz .LBB4_6209
.LBB4_6210:                             ;   in Loop: Header=BB4_6119 Depth=1
	s_or_b32 exec_lo, exec_lo, s14
	v_cmp_ne_u32_e64 s13, 0, v66
	s_and_saveexec_b32 s14, s6
	s_cbranch_execz .LBB4_6229
.LBB4_6211:                             ;   in Loop: Header=BB4_6119 Depth=1
	s_and_saveexec_b32 s24, s16
	s_xor_b32 s24, exec_lo, s24
	s_cbranch_execz .LBB4_6226
; %bb.6212:                             ;   in Loop: Header=BB4_6119 Depth=1
	s_and_saveexec_b32 s25, s7
	s_cbranch_execz .LBB4_6225
; %bb.6213:                             ;   in Loop: Header=BB4_6119 Depth=1
	s_mov_b32 s27, exec_lo
	s_mov_b32 s26, exec_lo
	v_mbcnt_lo_u32_b32 v15, s27, 0
	s_waitcnt vmcnt(0) lgkmcnt(0)
	s_waitcnt_vscnt null, 0x0
	buffer_gl1_inv
	buffer_gl0_inv
	v_cmpx_eq_u32_e32 0, v15
	s_cbranch_execz .LBB4_6215
; %bb.6214:                             ;   in Loop: Header=BB4_6119 Depth=1
	s_bcnt1_i32_b32 s27, s27
	v_mov_b32_e32 v16, v11
	v_mov_b32_e32 v15, s27
	ds_add_u64 v0, v[15:16]
	s_trap 2
.LBB4_6215:                             ;   in Loop: Header=BB4_6119 Depth=1
	s_or_b32 exec_lo, exec_lo, s26
	s_trap 2
	ds_read_b64 v[15:16], v0
	s_waitcnt lgkmcnt(0)
	buffer_gl0_inv
	v_add_co_u32 v36, vcc_lo, v36, v24
	v_add_co_ci_u32_e64 v37, null, 0, v37, vcc_lo
	s_mov_b32 s26, exec_lo
	v_cmpx_lt_u64_e64 v[15:16], v[36:37]
	s_cbranch_execz .LBB4_6224
; %bb.6216:                             ;   in Loop: Header=BB4_6119 Depth=1
	s_mov_b32 s27, 0
	s_mov_b32 s40, 0
                                        ; implicit-def: $sgpr28
                                        ; implicit-def: $sgpr29
	s_inst_prefetch 0x1
	s_branch .LBB4_6218
	.p2align	6
.LBB4_6217:                             ;   in Loop: Header=BB4_6218 Depth=2
	s_or_b32 exec_lo, exec_lo, s42
	s_and_b32 s41, exec_lo, s43
	s_or_b32 s27, s41, s27
	s_andn2_b32 s28, s28, exec_lo
	s_and_b32 s41, s29, exec_lo
	s_or_b32 s28, s28, s41
	s_andn2_b32 exec_lo, exec_lo, s27
	s_cbranch_execz .LBB4_6222
.LBB4_6218:                             ;   Parent Loop BB4_6119 Depth=1
                                        ; =>  This Inner Loop Header: Depth=2
	s_add_i32 s40, s40, 1
	s_cmpk_lg_i32 s40, 0x2710
	s_cselect_b32 s41, -1, 0
	s_and_b32 vcc_lo, exec_lo, s41
	s_cbranch_vccz .LBB4_6220
; %bb.6219:                             ;   in Loop: Header=BB4_6218 Depth=2
	s_mov_b32 s43, -1
	s_or_b32 s29, s29, exec_lo
	s_and_saveexec_b32 s42, s41
	s_cbranch_execz .LBB4_6217
	s_branch .LBB4_6221
	.p2align	6
.LBB4_6220:                             ;   in Loop: Header=BB4_6218 Depth=2
	s_trap 2
	ds_read_b64 v[15:16], v0
	s_andn2_b32 s41, s41, exec_lo
	s_mov_b32 s40, 0
	s_waitcnt lgkmcnt(0)
	flat_load_dword v15, v[15:16] glc dlc
	s_waitcnt vmcnt(0) lgkmcnt(0)
	buffer_gl1_inv
	buffer_gl0_inv
	v_cmp_eq_u32_e32 vcc_lo, 0, v15
	s_and_b32 s42, vcc_lo, exec_lo
	s_or_b32 s41, s41, s42
	s_mov_b32 s43, -1
	s_or_b32 s29, s29, exec_lo
	s_and_saveexec_b32 s42, s41
	s_cbranch_execz .LBB4_6217
.LBB4_6221:                             ;   in Loop: Header=BB4_6218 Depth=2
	s_sleep 1
	s_trap 2
	ds_read_b64 v[15:16], v0
	s_waitcnt lgkmcnt(0)
	buffer_gl0_inv
	s_andn2_b32 s29, s29, exec_lo
	v_cmp_ge_u64_e32 vcc_lo, v[15:16], v[36:37]
	s_orn2_b32 s43, vcc_lo, exec_lo
	s_branch .LBB4_6217
.LBB4_6222:                             ;   in Loop: Header=BB4_6119 Depth=1
	s_inst_prefetch 0x2
	s_or_b32 exec_lo, exec_lo, s27
	s_and_saveexec_b32 s27, s28
	s_xor_b32 s27, exec_lo, s27
	s_cbranch_execz .LBB4_6224
; %bb.6223:                             ;   in Loop: Header=BB4_6119 Depth=1
	ds_write_b32 v0, v65
	s_trap 2
.LBB4_6224:                             ;   in Loop: Header=BB4_6119 Depth=1
	s_or_b32 exec_lo, exec_lo, s26
	;;#ASMSTART
	s_wakeup
	;;#ASMEND
.LBB4_6225:                             ;   in Loop: Header=BB4_6119 Depth=1
	s_or_b32 exec_lo, exec_lo, s25
.LBB4_6226:                             ;   in Loop: Header=BB4_6119 Depth=1
	s_andn2_saveexec_b32 s24, s24
	s_cbranch_execz .LBB4_6228
; %bb.6227:                             ;   in Loop: Header=BB4_6119 Depth=1
	s_waitcnt vmcnt(0) lgkmcnt(0)
	s_waitcnt_vscnt null, 0x0
	buffer_gl1_inv
	buffer_gl0_inv
	s_barrier
.LBB4_6228:                             ;   in Loop: Header=BB4_6119 Depth=1
	s_or_b32 exec_lo, exec_lo, s24
.LBB4_6229:                             ;   in Loop: Header=BB4_6119 Depth=1
	s_or_b32 exec_lo, exec_lo, s14
	v_and_b32_e32 v15, 16, v84
	v_cmp_ne_u32_e32 vcc_lo, 0, v15
	s_and_b32 s14, vcc_lo, s13
	s_and_saveexec_b32 s13, s14
	s_cbranch_execz .LBB4_6231
; %bb.6230:                             ;   in Loop: Header=BB4_6119 Depth=1
	s_waitcnt vmcnt(0) lgkmcnt(0)
	s_waitcnt_vscnt null, 0x0
	buffer_gl1_inv
	buffer_gl0_inv
.LBB4_6231:                             ;   in Loop: Header=BB4_6119 Depth=1
	s_or_b32 exec_lo, exec_lo, s13
	s_mov_b32 s13, exec_lo
	v_cmpx_ne_u32_e32 0, v15
	s_cbranch_execz .LBB4_6235
; %bb.6232:                             ;   in Loop: Header=BB4_6119 Depth=1
	s_and_saveexec_b32 s14, s12
	s_cbranch_execz .LBB4_6234
; %bb.6233:                             ;   in Loop: Header=BB4_6119 Depth=1
	s_waitcnt vmcnt(0) lgkmcnt(0)
	s_waitcnt_vscnt null, 0x0
	flat_store_dword v[50:51], v65
.LBB4_6234:                             ;   in Loop: Header=BB4_6119 Depth=1
	s_or_b32 exec_lo, exec_lo, s14
	v_add_co_u32 v8, vcc_lo, v8, 1
	v_add_co_ci_u32_e64 v9, null, 0, v9, vcc_lo
	s_waitcnt vmcnt(0) lgkmcnt(0)
	s_waitcnt_vscnt null, 0x0
	flat_store_dwordx2 v[32:33], v[8:9]
.LBB4_6235:                             ;   in Loop: Header=BB4_6119 Depth=1
	s_or_b32 exec_lo, exec_lo, s13
	v_mov_b32_e32 v15, v10
.LBB4_6236:                             ;   in Loop: Header=BB4_6119 Depth=1
	s_or_b32 exec_lo, exec_lo, s23
	s_and_saveexec_b32 s14, s22
	s_cbranch_execz .LBB4_6118
; %bb.6237:                             ;   in Loop: Header=BB4_6119 Depth=1
	v_sub_nc_u32_e32 v14, v14, v15
	v_and_b32_e32 v15, 8, v84
	s_mov_b32 s22, exec_lo
	v_min_i32_e32 v14, v10, v14
	v_cmpx_ne_u32_e32 0, v15
	s_cbranch_execz .LBB4_6259
; %bb.6238:                             ;   in Loop: Header=BB4_6119 Depth=1
	s_waitcnt vmcnt(0)
	v_add_co_u32 v18, vcc_lo, v38, 8
	v_add_co_ci_u32_e64 v19, null, 0, v39, vcc_lo
	s_waitcnt lgkmcnt(0)
	v_add_co_u32 v16, vcc_lo, v8, 1
	v_add_co_ci_u32_e64 v17, null, 0, v9, vcc_lo
	s_mov_b32 s23, exec_lo
	v_cmpx_lt_u64_e64 v[18:19], v[16:17]
	s_cbranch_execz .LBB4_6250
; %bb.6239:                             ;   in Loop: Header=BB4_6119 Depth=1
	v_and_b32_e32 v9, 64, v84
	s_mov_b32 s24, 0
	s_mov_b32 s28, 0
                                        ; implicit-def: $sgpr25
                                        ; implicit-def: $sgpr26
                                        ; implicit-def: $sgpr27
	v_cmp_eq_u32_e32 vcc_lo, 0, v9
	s_branch .LBB4_6243
.LBB4_6240:                             ;   in Loop: Header=BB4_6243 Depth=2
	s_waitcnt vmcnt(0) lgkmcnt(0)
	v_add_co_u32 v18, s13, v38, 8
	v_add_co_ci_u32_e64 v19, null, 0, v39, s13
	s_or_b32 s41, s41, exec_lo
	v_cmp_ge_u64_e64 s13, v[18:19], v[16:17]
	s_orn2_b32 s40, s13, exec_lo
.LBB4_6241:                             ;   in Loop: Header=BB4_6243 Depth=2
	s_or_b32 exec_lo, exec_lo, s43
	s_andn2_b32 s13, s27, exec_lo
	s_and_b32 s27, s41, exec_lo
	s_andn2_b32 s26, s26, exec_lo
	s_and_b32 s40, s40, exec_lo
	s_or_b32 s27, s13, s27
	s_or_b32 s26, s26, s40
.LBB4_6242:                             ;   in Loop: Header=BB4_6243 Depth=2
	s_or_b32 exec_lo, exec_lo, s29
	s_and_b32 s13, exec_lo, s26
	s_or_b32 s24, s13, s24
	s_andn2_b32 s13, s25, exec_lo
	s_and_b32 s25, s27, exec_lo
	s_or_b32 s25, s13, s25
	s_andn2_b32 exec_lo, exec_lo, s24
	s_cbranch_execz .LBB4_6247
.LBB4_6243:                             ;   Parent Loop BB4_6119 Depth=1
                                        ; =>  This Inner Loop Header: Depth=2
	s_sleep 1
	s_waitcnt vmcnt(0) lgkmcnt(0)
	flat_load_dwordx2 v[38:39], v[32:33] glc dlc
	s_or_b32 s27, s27, exec_lo
	s_or_b32 s26, s26, exec_lo
                                        ; implicit-def: $vgpr9
	s_and_saveexec_b32 s29, vcc_lo
	s_cbranch_execz .LBB4_6242
; %bb.6244:                             ;   in Loop: Header=BB4_6243 Depth=2
	s_cmpk_lt_i32 s28, 0x270f
	s_mov_b32 s40, -1
	s_cselect_b32 s42, -1, 0
	s_cmpk_gt_i32 s28, 0x270e
	s_cbranch_scc0 .LBB4_6246
; %bb.6245:                             ;   in Loop: Header=BB4_6243 Depth=2
	s_trap 2
	ds_read_b64 v[9:10], v0
	s_andn2_b32 s28, s42, exec_lo
	s_mov_b32 s41, 0
	s_waitcnt vmcnt(0) lgkmcnt(0)
	s_waitcnt_vscnt null, 0x0
	flat_load_dword v9, v[9:10] glc dlc
	s_waitcnt vmcnt(0) lgkmcnt(0)
	buffer_gl1_inv
	buffer_gl0_inv
	v_cmp_eq_u32_e64 s13, 0, v9
	s_and_b32 s13, s13, exec_lo
	s_or_b32 s42, s28, s13
	s_mov_b32 s28, 0
	s_and_saveexec_b32 s43, s42
	s_cbranch_execz .LBB4_6241
	s_branch .LBB4_6240
.LBB4_6246:                             ;   in Loop: Header=BB4_6243 Depth=2
	s_add_i32 s28, s28, 1
	s_mov_b32 s41, -1
                                        ; implicit-def: $vgpr9
	s_and_saveexec_b32 s43, s42
	s_cbranch_execz .LBB4_6241
	s_branch .LBB4_6240
.LBB4_6247:                             ;   in Loop: Header=BB4_6119 Depth=1
	s_or_b32 exec_lo, exec_lo, s24
	s_xor_b32 s13, s25, -1
	s_and_saveexec_b32 s24, s13
	s_xor_b32 s13, exec_lo, s24
	s_cbranch_execz .LBB4_6249
; %bb.6248:                             ;   in Loop: Header=BB4_6119 Depth=1
	v_or_b32_e32 v84, 64, v84
	s_waitcnt vmcnt(0) lgkmcnt(0)
	s_waitcnt_vscnt null, 0x0
	ds_write_b32 v0, v9
	s_trap 2
.LBB4_6249:                             ;   in Loop: Header=BB4_6119 Depth=1
	s_or_b32 exec_lo, exec_lo, s13
.LBB4_6250:                             ;   in Loop: Header=BB4_6119 Depth=1
	s_or_b32 exec_lo, exec_lo, s23
	v_and_b32_e32 v9, 0x100, v84
	v_and_b32_e32 v10, 7, v8
	s_mov_b32 s13, -1
	;;#ASMSTART
	s_wakeup
	;;#ASMEND
	v_cmp_ne_u32_e32 vcc_lo, 0, v9
                                        ; implicit-def: $vgpr8_vgpr9
	s_and_saveexec_b32 s23, vcc_lo
	s_cbranch_execz .LBB4_6254
; %bb.6251:                             ;   in Loop: Header=BB4_6119 Depth=1
	v_mad_u64_u32 v[18:19], null, v10, 24, v[6:7]
	v_ashrrev_i32_e32 v15, 31, v14
	flat_load_dword v8, v[18:19]
	flat_store_dwordx2 v[18:19], v[14:15] offset:8
	s_waitcnt vmcnt(0) lgkmcnt(1)
	v_cmp_eq_u32_e64 s13, 1, v8
	v_cmp_ne_u32_e32 vcc_lo, 1, v8
                                        ; implicit-def: $vgpr8_vgpr9
	s_and_saveexec_b32 s24, s13
	s_cbranch_execz .LBB4_6253
; %bb.6252:                             ;   in Loop: Header=BB4_6119 Depth=1
	flat_load_dword v8, v[18:19] offset:4 glc dlc
	s_waitcnt vmcnt(0) lgkmcnt(0)
	v_ashrrev_i32_e32 v9, 31, v8
.LBB4_6253:                             ;   in Loop: Header=BB4_6119 Depth=1
	s_or_b32 exec_lo, exec_lo, s24
	s_orn2_b32 s13, vcc_lo, exec_lo
.LBB4_6254:                             ;   in Loop: Header=BB4_6119 Depth=1
	s_or_b32 exec_lo, exec_lo, s23
	s_and_saveexec_b32 s23, s13
; %bb.6255:                             ;   in Loop: Header=BB4_6119 Depth=1
	v_mad_i64_i32 v[8:9], null, v10, v85, 0
; %bb.6256:                             ;   in Loop: Header=BB4_6119 Depth=1
	s_or_b32 exec_lo, exec_lo, s23
	v_add_co_u32 v8, vcc_lo, v34, v8
	v_and_b32_e32 v10, 0x2000, v84
	v_add_co_ci_u32_e64 v9, null, v35, v9, vcc_lo
	s_mov_b32 s13, exec_lo
	ds_write_b64 v0, v[8:9] offset:784
	v_cmpx_ne_u32_e32 0, v10
	s_cbranch_execz .LBB4_6258
; %bb.6257:                             ;   in Loop: Header=BB4_6119 Depth=1
	ds_read_b64 v[8:9], v0 offset:872
	s_waitcnt lgkmcnt(0)
	v_add_co_u32 v8, vcc_lo, v8, 1
	v_add_co_ci_u32_e64 v9, null, 0, v9, vcc_lo
	ds_write_b64 v0, v[8:9] offset:872
.LBB4_6258:                             ;   in Loop: Header=BB4_6119 Depth=1
	s_or_b32 exec_lo, exec_lo, s13
	v_mov_b32_e32 v8, v16
	v_mov_b32_e32 v9, v17
.LBB4_6259:                             ;   in Loop: Header=BB4_6119 Depth=1
	s_or_b32 exec_lo, exec_lo, s22
	s_and_saveexec_b32 s13, s6
	s_cbranch_execz .LBB4_6278
; %bb.6260:                             ;   in Loop: Header=BB4_6119 Depth=1
	s_and_saveexec_b32 s22, s16
	s_xor_b32 s22, exec_lo, s22
	s_cbranch_execz .LBB4_6275
; %bb.6261:                             ;   in Loop: Header=BB4_6119 Depth=1
	s_and_saveexec_b32 s23, s7
	s_cbranch_execz .LBB4_6274
; %bb.6262:                             ;   in Loop: Header=BB4_6119 Depth=1
	s_mov_b32 s25, exec_lo
	s_mov_b32 s24, exec_lo
	v_mbcnt_lo_u32_b32 v10, s25, 0
	s_waitcnt vmcnt(0) lgkmcnt(0)
	s_waitcnt_vscnt null, 0x0
	buffer_gl1_inv
	buffer_gl0_inv
	v_cmpx_eq_u32_e32 0, v10
	s_cbranch_execz .LBB4_6264
; %bb.6263:                             ;   in Loop: Header=BB4_6119 Depth=1
	s_bcnt1_i32_b32 s25, s25
	v_mov_b32_e32 v10, s25
	ds_add_u64 v0, v[10:11]
	s_trap 2
.LBB4_6264:                             ;   in Loop: Header=BB4_6119 Depth=1
	s_or_b32 exec_lo, exec_lo, s24
	s_trap 2
	ds_read_b64 v[15:16], v0
	s_waitcnt lgkmcnt(0)
	buffer_gl0_inv
	v_add_co_u32 v36, vcc_lo, v36, v24
	v_add_co_ci_u32_e64 v37, null, 0, v37, vcc_lo
	s_mov_b32 s24, exec_lo
	v_cmpx_lt_u64_e64 v[15:16], v[36:37]
	s_cbranch_execz .LBB4_6273
; %bb.6265:                             ;   in Loop: Header=BB4_6119 Depth=1
	s_mov_b32 s25, 0
	s_mov_b32 s28, 0
                                        ; implicit-def: $sgpr26
                                        ; implicit-def: $sgpr27
	s_inst_prefetch 0x1
	s_branch .LBB4_6267
	.p2align	6
.LBB4_6266:                             ;   in Loop: Header=BB4_6267 Depth=2
	s_or_b32 exec_lo, exec_lo, s40
	s_and_b32 s29, exec_lo, s41
	s_or_b32 s25, s29, s25
	s_andn2_b32 s26, s26, exec_lo
	s_and_b32 s29, s27, exec_lo
	s_or_b32 s26, s26, s29
	s_andn2_b32 exec_lo, exec_lo, s25
	s_cbranch_execz .LBB4_6271
.LBB4_6267:                             ;   Parent Loop BB4_6119 Depth=1
                                        ; =>  This Inner Loop Header: Depth=2
	s_add_i32 s28, s28, 1
	s_cmpk_lg_i32 s28, 0x2710
	s_cselect_b32 s29, -1, 0
	s_and_b32 vcc_lo, exec_lo, s29
	s_cbranch_vccz .LBB4_6269
; %bb.6268:                             ;   in Loop: Header=BB4_6267 Depth=2
	s_mov_b32 s41, -1
	s_or_b32 s27, s27, exec_lo
	s_and_saveexec_b32 s40, s29
	s_cbranch_execz .LBB4_6266
	s_branch .LBB4_6270
	.p2align	6
.LBB4_6269:                             ;   in Loop: Header=BB4_6267 Depth=2
	s_trap 2
	ds_read_b64 v[15:16], v0
	s_andn2_b32 s29, s29, exec_lo
	s_mov_b32 s28, 0
	s_waitcnt lgkmcnt(0)
	flat_load_dword v10, v[15:16] glc dlc
	s_waitcnt vmcnt(0) lgkmcnt(0)
	buffer_gl1_inv
	buffer_gl0_inv
	v_cmp_eq_u32_e32 vcc_lo, 0, v10
	s_and_b32 s40, vcc_lo, exec_lo
	s_or_b32 s29, s29, s40
	s_mov_b32 s41, -1
	s_or_b32 s27, s27, exec_lo
	s_and_saveexec_b32 s40, s29
	s_cbranch_execz .LBB4_6266
.LBB4_6270:                             ;   in Loop: Header=BB4_6267 Depth=2
	s_sleep 1
	s_trap 2
	ds_read_b64 v[15:16], v0
	s_waitcnt lgkmcnt(0)
	buffer_gl0_inv
	s_andn2_b32 s27, s27, exec_lo
	v_cmp_ge_u64_e32 vcc_lo, v[15:16], v[36:37]
	s_orn2_b32 s41, vcc_lo, exec_lo
	s_branch .LBB4_6266
.LBB4_6271:                             ;   in Loop: Header=BB4_6119 Depth=1
	s_inst_prefetch 0x2
	s_or_b32 exec_lo, exec_lo, s25
	s_and_saveexec_b32 s25, s26
	s_xor_b32 s25, exec_lo, s25
	s_cbranch_execz .LBB4_6273
; %bb.6272:                             ;   in Loop: Header=BB4_6119 Depth=1
	ds_write_b32 v0, v65
	s_trap 2
.LBB4_6273:                             ;   in Loop: Header=BB4_6119 Depth=1
	s_or_b32 exec_lo, exec_lo, s24
	;;#ASMSTART
	s_wakeup
	;;#ASMEND
.LBB4_6274:                             ;   in Loop: Header=BB4_6119 Depth=1
	s_or_b32 exec_lo, exec_lo, s23
.LBB4_6275:                             ;   in Loop: Header=BB4_6119 Depth=1
	s_andn2_saveexec_b32 s22, s22
	s_cbranch_execz .LBB4_6277
; %bb.6276:                             ;   in Loop: Header=BB4_6119 Depth=1
	s_waitcnt vmcnt(0) lgkmcnt(0)
	s_waitcnt_vscnt null, 0x0
	buffer_gl1_inv
	buffer_gl0_inv
	s_barrier
.LBB4_6277:                             ;   in Loop: Header=BB4_6119 Depth=1
	s_or_b32 exec_lo, exec_lo, s22
.LBB4_6278:                             ;   in Loop: Header=BB4_6119 Depth=1
	s_or_b32 exec_lo, exec_lo, s13
	s_trap 2
	ds_read_b32 v10, v0
	v_cmp_lt_i32_e32 vcc_lo, 0, v14
	s_waitcnt lgkmcnt(0)
	v_readfirstlane_b32 s13, v10
	v_and_b32_e32 v10, 16, v84
	s_cmp_eq_u32 s13, 0
	v_cmp_ne_u32_e64 s13, 0, v10
	s_cselect_b32 s22, -1, 0
	s_and_b32 s22, vcc_lo, s22
	s_and_b32 s22, s13, s22
	s_and_saveexec_b32 s13, s22
	s_cbranch_execz .LBB4_6280
; %bb.6279:                             ;   in Loop: Header=BB4_6119 Depth=1
	s_waitcnt vmcnt(0)
	s_waitcnt_vscnt null, 0x0
	buffer_gl1_inv
	buffer_gl0_inv
.LBB4_6280:                             ;   in Loop: Header=BB4_6119 Depth=1
	s_or_b32 exec_lo, exec_lo, s13
	s_mov_b32 s13, exec_lo
	v_cmpx_ne_u32_e32 0, v10
	s_cbranch_execz .LBB4_6117
; %bb.6281:                             ;   in Loop: Header=BB4_6119 Depth=1
	s_and_saveexec_b32 s22, s12
	s_cbranch_execz .LBB4_6116
; %bb.6282:                             ;   in Loop: Header=BB4_6119 Depth=1
	s_waitcnt vmcnt(0)
	s_waitcnt_vscnt null, 0x0
	flat_store_dword v[50:51], v65
	s_branch .LBB4_6116
.LBB4_6283:
	s_or_b32 exec_lo, exec_lo, s19
.LBB4_6284:
	s_or_b32 exec_lo, exec_lo, s18
.LBB4_6285:
	s_or_b32 exec_lo, exec_lo, s17
	v_and_b32_e32 v0, 0x800, v84
	s_mov_b32 s5, exec_lo
	v_cmpx_eq_u32_e32 0, v0
	s_cbranch_execz .LBB4_6318
; %bb.6286:
	v_and_b32_e32 v0, 48, v84
	s_mov_b32 s4, exec_lo
	v_cmpx_ne_u32_e32 0, v0
	s_cbranch_execz .LBB4_6288
; %bb.6287:
	s_waitcnt vmcnt(0) lgkmcnt(0)
	flat_store_dwordx2 v[28:29], v[8:9] offset:104
.LBB4_6288:
	s_or_b32 exec_lo, exec_lo, s4
	v_and_b32_e32 v0, 0x88, v84
	s_mov_b32 s6, exec_lo
	v_cmpx_eq_u32_e32 0x88, v0
	s_cbranch_execz .LBB4_6298
; %bb.6289:
	s_waitcnt vmcnt(0) lgkmcnt(0)
	v_add_nc_u32_e32 v0, -1, v8
	s_mov_b32 s7, 0
	v_and_b32_e32 v0, 7, v0
	v_mad_u64_u32 v[4:5], null, v0, 24, v[6:7]
	v_and_b32_e32 v0, 64, v84
	v_cmp_eq_u32_e64 s4, 0, v0
	flat_load_dwordx2 v[6:7], v[4:5] offset:8 glc dlc
	s_waitcnt vmcnt(0) lgkmcnt(0)
	v_cmp_ne_u64_e32 vcc_lo, -1, v[6:7]
	s_and_b32 s4, vcc_lo, s4
	s_and_b32 exec_lo, exec_lo, s4
	s_cbranch_execz .LBB4_6298
; %bb.6290:
	s_mov_b32 s11, 0
                                        ; implicit-def: $sgpr4
                                        ; implicit-def: $sgpr10
	s_inst_prefetch 0x1
	s_branch .LBB4_6293
	.p2align	6
.LBB4_6291:                             ;   in Loop: Header=BB4_6293 Depth=1
	flat_load_dwordx2 v[6:7], v[4:5] offset:8 glc dlc
	s_waitcnt vmcnt(0)
	s_andn2_b32 s10, s10, exec_lo
	s_waitcnt lgkmcnt(0)
	v_cmp_eq_u64_e32 vcc_lo, -1, v[6:7]
	s_orn2_b32 s13, vcc_lo, exec_lo
.LBB4_6292:                             ;   in Loop: Header=BB4_6293 Depth=1
	s_or_b32 exec_lo, exec_lo, s14
	s_and_b32 s12, exec_lo, s13
	s_or_b32 s7, s12, s7
	s_andn2_b32 s4, s4, exec_lo
	s_and_b32 s12, s10, exec_lo
	s_or_b32 s4, s4, s12
	s_andn2_b32 exec_lo, exec_lo, s7
	s_cbranch_execz .LBB4_6296
.LBB4_6293:                             ; =>This Inner Loop Header: Depth=1
	s_cmpk_lt_i32 s11, 0x270f
	s_cselect_b32 s12, -1, 0
	s_and_b32 vcc_lo, exec_lo, s12
	s_cbranch_vccnz .LBB4_6295
; %bb.6294:                             ;   in Loop: Header=BB4_6293 Depth=1
	s_trap 2
	ds_read_b64 v[6:7], v0
	s_andn2_b32 s12, s12, exec_lo
	s_mov_b32 s11, 0
	s_waitcnt lgkmcnt(0)
	s_waitcnt_vscnt null, 0x0
	flat_load_dword v0, v[6:7] glc dlc
	s_waitcnt vmcnt(0) lgkmcnt(0)
	buffer_gl1_inv
	buffer_gl0_inv
	v_cmp_eq_u32_e32 vcc_lo, 0, v0
	s_and_b32 s13, vcc_lo, exec_lo
	s_or_b32 s12, s12, s13
	s_mov_b32 s13, -1
	s_or_b32 s10, s10, exec_lo
	s_and_saveexec_b32 s14, s12
	s_cbranch_execz .LBB4_6292
	s_branch .LBB4_6291
	.p2align	6
.LBB4_6295:                             ;   in Loop: Header=BB4_6293 Depth=1
	s_add_i32 s11, s11, 1
                                        ; implicit-def: $vgpr0
	s_mov_b32 s13, -1
	s_or_b32 s10, s10, exec_lo
	s_and_saveexec_b32 s14, s12
	s_cbranch_execz .LBB4_6292
	s_branch .LBB4_6291
.LBB4_6296:
	s_inst_prefetch 0x2
	s_or_b32 exec_lo, exec_lo, s7
	s_and_saveexec_b32 s7, s4
	s_xor_b32 s7, exec_lo, s7
	s_cbranch_execz .LBB4_6298
; %bb.6297:
	s_waitcnt_vscnt null, 0x0
	ds_write_b32 v0, v0
	s_trap 2
.LBB4_6298:
	s_or_b32 exec_lo, exec_lo, s6
	v_and_b32_e32 v0, 0x2000, v84
	s_mov_b32 s4, exec_lo
	v_cmpx_ne_u32_e32 0, v0
	s_cbranch_execz .LBB4_6300
; %bb.6299:
	s_trap 2
	ds_read_b64 v[4:5], v0
	s_waitcnt lgkmcnt(0)
	flat_store_dwordx2 v[2:3], v[4:5] offset:16
.LBB4_6300:
	s_or_b32 exec_lo, exec_lo, s4
	v_cmp_ne_u32_e32 vcc_lo, 32, v1
	s_and_b32 exec_lo, exec_lo, vcc_lo
	s_cbranch_execz .LBB4_6318
; %bb.6301:
	s_waitcnt vmcnt(0)
	v_cmp_ne_u32_sdwa s4, v1, v30 src0_sel:DWORD src1_sel:WORD_0
	s_and_saveexec_b32 s6, s4
	s_xor_b32 s4, exec_lo, s6
	s_cbranch_execz .LBB4_6316
; %bb.6302:
	v_and_b32_e32 v0, 31, v31
	s_mov_b32 s6, exec_lo
	v_cmpx_eq_u32_e32 0, v0
	s_cbranch_execz .LBB4_6315
; %bb.6303:
	s_mov_b32 s10, exec_lo
	s_mov_b32 s7, exec_lo
	v_mbcnt_lo_u32_b32 v0, s10, 0
	s_waitcnt lgkmcnt(0)
	s_waitcnt_vscnt null, 0x0
	buffer_gl1_inv
	buffer_gl0_inv
	v_cmpx_eq_u32_e32 0, v0
	s_cbranch_execz .LBB4_6305
; %bb.6304:
	s_bcnt1_i32_b32 s10, s10
	v_mov_b32_e32 v3, 0
	v_mov_b32_e32 v2, s10
	ds_add_u64 v0, v[2:3]
	s_trap 2
.LBB4_6305:
	s_or_b32 exec_lo, exec_lo, s7
	s_trap 2
	ds_read_b64 v[2:3], v0
	s_waitcnt lgkmcnt(0)
	buffer_gl0_inv
	v_lshrrev_b32_e32 v0, 5, v1
	s_mov_b32 s7, exec_lo
	v_add_co_u32 v0, vcc_lo, v36, v0
	v_add_co_ci_u32_e64 v1, null, 0, v37, vcc_lo
	v_cmpx_lt_u64_e64 v[2:3], v[0:1]
	s_cbranch_execz .LBB4_6314
; %bb.6306:
	s_mov_b32 s10, 0
	s_mov_b32 s13, 0
                                        ; implicit-def: $sgpr11
                                        ; implicit-def: $sgpr12
	s_inst_prefetch 0x1
	s_branch .LBB4_6308
	.p2align	6
.LBB4_6307:                             ;   in Loop: Header=BB4_6308 Depth=1
	s_or_b32 exec_lo, exec_lo, s16
	s_and_b32 s14, exec_lo, s17
	s_or_b32 s10, s14, s10
	s_andn2_b32 s11, s11, exec_lo
	s_and_b32 s14, s12, exec_lo
	s_or_b32 s11, s11, s14
	s_andn2_b32 exec_lo, exec_lo, s10
	s_cbranch_execz .LBB4_6312
.LBB4_6308:                             ; =>This Inner Loop Header: Depth=1
	s_add_i32 s13, s13, 1
	s_cmpk_lg_i32 s13, 0x2710
	s_cselect_b32 s14, -1, 0
	s_and_b32 vcc_lo, exec_lo, s14
	s_cbranch_vccz .LBB4_6310
; %bb.6309:                             ;   in Loop: Header=BB4_6308 Depth=1
	s_mov_b32 s17, -1
	s_or_b32 s12, s12, exec_lo
	s_and_saveexec_b32 s16, s14
	s_cbranch_execz .LBB4_6307
	s_branch .LBB4_6311
.LBB4_6310:                             ;   in Loop: Header=BB4_6308 Depth=1
	s_trap 2
	ds_read_b64 v[2:3], v0
	s_andn2_b32 s14, s14, exec_lo
	s_mov_b32 s13, 0
	s_waitcnt lgkmcnt(0)
	flat_load_dword v2, v[2:3] glc dlc
	s_waitcnt vmcnt(0) lgkmcnt(0)
	buffer_gl1_inv
	buffer_gl0_inv
	v_cmp_eq_u32_e32 vcc_lo, 0, v2
	s_and_b32 s16, vcc_lo, exec_lo
	s_or_b32 s14, s14, s16
	s_mov_b32 s17, -1
	s_or_b32 s12, s12, exec_lo
	s_and_saveexec_b32 s16, s14
	s_cbranch_execz .LBB4_6307
.LBB4_6311:                             ;   in Loop: Header=BB4_6308 Depth=1
	s_sleep 1
	s_trap 2
	ds_read_b64 v[2:3], v0
	s_waitcnt lgkmcnt(0)
	buffer_gl0_inv
	s_andn2_b32 s12, s12, exec_lo
	v_cmp_ge_u64_e32 vcc_lo, v[2:3], v[0:1]
	s_orn2_b32 s17, vcc_lo, exec_lo
	s_branch .LBB4_6307
.LBB4_6312:
	s_inst_prefetch 0x2
	s_or_b32 exec_lo, exec_lo, s10
	s_and_saveexec_b32 s10, s11
	s_xor_b32 s10, exec_lo, s10
	s_cbranch_execz .LBB4_6314
; %bb.6313:
	v_mov_b32_e32 v0, 1
	ds_write_b32 v0, v0
	s_trap 2
.LBB4_6314:
	s_or_b32 exec_lo, exec_lo, s7
	;;#ASMSTART
	s_wakeup
	;;#ASMEND
.LBB4_6315:
	s_or_b32 exec_lo, exec_lo, s6
.LBB4_6316:
	s_andn2_saveexec_b32 s4, s4
	s_cbranch_execz .LBB4_6318
; %bb.6317:
	s_waitcnt lgkmcnt(0)
	s_waitcnt_vscnt null, 0x0
	buffer_gl1_inv
	buffer_gl0_inv
	s_barrier
.LBB4_6318:
	s_or_b32 exec_lo, exec_lo, s5
.LBB4_6319:
	s_andn2_saveexec_b32 s25, s15
	s_cbranch_execz .LBB4_6321
; %bb.6320:
	s_getpc_b64 s[4:5]
	s_add_u32 s4, s4, __PRETTY_FUNCTION__._ZN10PrimitivesI12rccl_bfloat810FuncMinMaxIS0_E12FanSymmetricILi1EELi0E11ProtoSimpleILi1ELi1ELi0ELi2ELi0ELi0EELi0ELb0ELi0ELi0ELi0EEC2EiiPKiS9_PKvPvmhhhP15ncclDevWorkCollP14ncclDevWorkP2pii@rel32@lo+4
	s_addc_u32 s5, s5, __PRETTY_FUNCTION__._ZN10PrimitivesI12rccl_bfloat810FuncMinMaxIS0_E12FanSymmetricILi1EELi0E11ProtoSimpleILi1ELi1ELi0ELi2ELi0ELi0EELi0ELb0ELi0ELi0ELi0EEC2EiiPKiS9_PKvPvmhhhP15ncclDevWorkCollP14ncclDevWorkP2pii@rel32@hi+12
	v_mov_b32_e32 v0, s4
	v_mov_b32_e32 v1, s5
	s_getpc_b64 s[6:7]
	s_add_u32 s6, s6, __assert_fail@rel32@lo+4
	s_addc_u32 s7, s7, __assert_fail@rel32@hi+12
	s_swappc_b64 s[30:31], s[6:7]
	; divergent unreachable
.LBB4_6321:
	s_or_b32 exec_lo, exec_lo, s25
	s_clause 0x15
	buffer_load_dword v77, off, s[0:3], s33
	buffer_load_dword v76, off, s[0:3], s33 offset:4
	buffer_load_dword v75, off, s[0:3], s33 offset:8
	buffer_load_dword v74, off, s[0:3], s33 offset:12
	buffer_load_dword v73, off, s[0:3], s33 offset:16
	buffer_load_dword v72, off, s[0:3], s33 offset:20
	buffer_load_dword v63, off, s[0:3], s33 offset:24
	buffer_load_dword v62, off, s[0:3], s33 offset:28
	buffer_load_dword v61, off, s[0:3], s33 offset:32
	buffer_load_dword v60, off, s[0:3], s33 offset:36
	buffer_load_dword v59, off, s[0:3], s33 offset:40
	buffer_load_dword v58, off, s[0:3], s33 offset:44
	buffer_load_dword v57, off, s[0:3], s33 offset:48
	buffer_load_dword v56, off, s[0:3], s33 offset:52
	buffer_load_dword v47, off, s[0:3], s33 offset:56
	buffer_load_dword v46, off, s[0:3], s33 offset:60
	buffer_load_dword v45, off, s[0:3], s33 offset:64
	buffer_load_dword v44, off, s[0:3], s33 offset:68
	buffer_load_dword v43, off, s[0:3], s33 offset:72
	buffer_load_dword v42, off, s[0:3], s33 offset:76
	buffer_load_dword v41, off, s[0:3], s33 offset:80
	buffer_load_dword v40, off, s[0:3], s33 offset:84
	v_readlane_b32 s30, v78, 0
	v_readlane_b32 s31, v78, 1
	s_mov_b32 s32, s33
	s_or_saveexec_b32 s4, -1
	buffer_load_dword v78, off, s[0:3], s33 offset:88 ; 4-byte Folded Reload
	s_mov_b32 exec_lo, s4
	s_mov_b32 s33, s47
	s_waitcnt vmcnt(0) lgkmcnt(0)
	s_setpc_b64 s[30:31]
.Lfunc_end4:
	.size	_ZN12_GLOBAL__N_17runRingI12rccl_bfloat810FuncMinMaxIS1_E11ProtoSimpleILi1ELi1ELi0ELi2ELi0ELi0EELi0ELi2ELi0EEEviiP15ncclDevWorkColl, .Lfunc_end4-_ZN12_GLOBAL__N_17runRingI12rccl_bfloat810FuncMinMaxIS1_E11ProtoSimpleILi1ELi1ELi0ELi2ELi0ELi0EELi0ELi2ELi0EEEviiP15ncclDevWorkColl
                                        ; -- End function
	.set .L_ZN12_GLOBAL__N_17runRingI12rccl_bfloat810FuncMinMaxIS1_E11ProtoSimpleILi1ELi1ELi0ELi2ELi0ELi0EELi0ELi2ELi0EEEviiP15ncclDevWorkColl.num_vgpr, max(120, .L__assert_fail.num_vgpr)
	.set .L_ZN12_GLOBAL__N_17runRingI12rccl_bfloat810FuncMinMaxIS1_E11ProtoSimpleILi1ELi1ELi0ELi2ELi0ELi0EELi0ELi2ELi0EEEviiP15ncclDevWorkColl.num_agpr, max(0, .L__assert_fail.num_agpr)
	.set .L_ZN12_GLOBAL__N_17runRingI12rccl_bfloat810FuncMinMaxIS1_E11ProtoSimpleILi1ELi1ELi0ELi2ELi0ELi0EELi0ELi2ELi0EEEviiP15ncclDevWorkColl.numbered_sgpr, max(48, .L__assert_fail.numbered_sgpr)
	.set .L_ZN12_GLOBAL__N_17runRingI12rccl_bfloat810FuncMinMaxIS1_E11ProtoSimpleILi1ELi1ELi0ELi2ELi0ELi0EELi0ELi2ELi0EEEviiP15ncclDevWorkColl.num_named_barrier, max(0, .L__assert_fail.num_named_barrier)
	.set .L_ZN12_GLOBAL__N_17runRingI12rccl_bfloat810FuncMinMaxIS1_E11ProtoSimpleILi1ELi1ELi0ELi2ELi0ELi0EELi0ELi2ELi0EEEviiP15ncclDevWorkColl.private_seg_size, 96+max(.L__assert_fail.private_seg_size)
	.set .L_ZN12_GLOBAL__N_17runRingI12rccl_bfloat810FuncMinMaxIS1_E11ProtoSimpleILi1ELi1ELi0ELi2ELi0ELi0EELi0ELi2ELi0EEEviiP15ncclDevWorkColl.uses_vcc, or(1, .L__assert_fail.uses_vcc)
	.set .L_ZN12_GLOBAL__N_17runRingI12rccl_bfloat810FuncMinMaxIS1_E11ProtoSimpleILi1ELi1ELi0ELi2ELi0ELi0EELi0ELi2ELi0EEEviiP15ncclDevWorkColl.uses_flat_scratch, or(1, .L__assert_fail.uses_flat_scratch)
	.set .L_ZN12_GLOBAL__N_17runRingI12rccl_bfloat810FuncMinMaxIS1_E11ProtoSimpleILi1ELi1ELi0ELi2ELi0ELi0EELi0ELi2ELi0EEEviiP15ncclDevWorkColl.has_dyn_sized_stack, or(0, .L__assert_fail.has_dyn_sized_stack)
	.set .L_ZN12_GLOBAL__N_17runRingI12rccl_bfloat810FuncMinMaxIS1_E11ProtoSimpleILi1ELi1ELi0ELi2ELi0ELi0EELi0ELi2ELi0EEEviiP15ncclDevWorkColl.has_recursion, or(1, .L__assert_fail.has_recursion)
	.set .L_ZN12_GLOBAL__N_17runRingI12rccl_bfloat810FuncMinMaxIS1_E11ProtoSimpleILi1ELi1ELi0ELi2ELi0ELi0EELi0ELi2ELi0EEEviiP15ncclDevWorkColl.has_indirect_call, or(0, .L__assert_fail.has_indirect_call)
	.section	.AMDGPU.csdata,"",@progbits
; Function info:
; codeLenInByte = 195408
; TotalNumSgprs: 50
; NumVgprs: 120
; ScratchSize: 160
; MemoryBound: 1
	.text
	.p2align	2                               ; -- Begin function _Z50ncclDevFunc_Reduce_RING_SIMPLE_MinMax_f8e5m2_0_0_2v
	.type	_Z50ncclDevFunc_Reduce_RING_SIMPLE_MinMax_f8e5m2_0_0_2v,@function
_Z50ncclDevFunc_Reduce_RING_SIMPLE_MinMax_f8e5m2_0_0_2v: ; @_Z50ncclDevFunc_Reduce_RING_SIMPLE_MinMax_f8e5m2_0_0_2v
; %bb.0:
	s_waitcnt vmcnt(0) expcnt(0) lgkmcnt(0)
	s_mov_b32 s61, s33
	s_mov_b32 s33, s32
	s_or_saveexec_b32 s4, -1
	buffer_store_dword v43, off, s[0:3], s33 offset:16 ; 4-byte Folded Spill
	s_mov_b32 exec_lo, s4
	s_addk_i32 s32, 0x400
	buffer_store_dword v40, off, s[0:3], s33 offset:12 ; 4-byte Folded Spill
	buffer_store_dword v41, off, s[0:3], s33 offset:8 ; 4-byte Folded Spill
	;; [unrolled: 1-line block ×3, first 2 shown]
	buffer_store_dword v78, off, s[0:3], s33 ; 4-byte Folded Spill
	v_writelane_b32 v43, s34, 0
	v_writelane_b32 v43, s35, 1
	v_writelane_b32 v43, s30, 2
	v_writelane_b32 v43, s31, 3
	s_trap 2
	ds_read_b32 v0, v0
	v_mov_b32_e32 v40, v31
	s_mov_b32 s58, s12
	s_mov_b64 s[56:57], s[8:9]
	s_mov_b32 s4, exec_lo
	v_and_b32_e32 v41, 0x3ff, v40
	s_waitcnt lgkmcnt(0)
	v_cmpx_lt_i32_e64 v41, v0
	s_cbranch_execz .LBB5_5
; %bb.1:
	s_load_dword s5, s[56:57], 0x0
	v_mov_b32_e32 v1, 0
	v_mov_b32_e32 v3, v41
                                        ; implicit-def: $vgpr4
	s_waitcnt lgkmcnt(0)
	s_cmp_lt_u32 s58, s5
	s_cselect_b32 s5, 12, 18
	s_add_u32 s6, s56, s5
	s_addc_u32 s7, s57, 0
	s_mov_b32 s5, 0
	global_load_ushort v1, v1, s[6:7]
	s_trap 2
	ds_read_b32 v2, v0
	s_mov_b32 s6, 0
	s_waitcnt vmcnt(0) lgkmcnt(0)
	v_mul_lo_u32 v2, v2, v1
	s_branch .LBB5_3
	.p2align	6
.LBB5_2:                                ;   in Loop: Header=BB5_3 Depth=1
	s_or_b32 exec_lo, exec_lo, s7
	v_add_nc_u32_e32 v3, v3, v1
	v_add_nc_u32_e32 v4, v4, v2
	v_cmp_ge_i32_e32 vcc_lo, v3, v0
	s_or_b32 s6, vcc_lo, s6
	s_andn2_b32 exec_lo, exec_lo, s6
	s_cbranch_execz .LBB5_5
.LBB5_3:                                ; =>This Inner Loop Header: Depth=1
	ds_read_b32 v5, v4
	s_mov_b32 s7, exec_lo
	s_waitcnt lgkmcnt(0)
	v_and_b32_e32 v5, 0x1000000, v5
	v_cmpx_ne_u32_e32 0, v5
	s_cbranch_execz .LBB5_2
; %bb.4:                                ;   in Loop: Header=BB5_3 Depth=1
	ds_read_b64 v[5:6], v4 offset:104
	s_waitcnt lgkmcnt(0)
	flat_load_ubyte v5, v[5:6]
	v_mov_b32_e32 v6, s5
	s_waitcnt vmcnt(0) lgkmcnt(0)
	v_and_b32_e32 v5, 0xffff, v5
	ds_write_b64 v4, v[5:6] offset:104
	s_branch .LBB5_2
.LBB5_5:
	s_or_b32 exec_lo, exec_lo, s4
	s_waitcnt lgkmcnt(0)
	s_waitcnt_vscnt null, 0x0
	s_barrier
	buffer_gl0_inv
	s_trap 2
	ds_read_b32 v0, v0
	s_waitcnt lgkmcnt(0)
	v_cmp_gt_i32_e32 vcc_lo, 1, v0
	s_cbranch_vccnz .LBB5_13
; %bb.6:
	v_mov_b32_e32 v42, 5
	s_mov_b32 s59, 0
	s_inst_prefetch 0x1
	s_branch .LBB5_8
	.p2align	6
.LBB5_7:                                ;   in Loop: Header=BB5_8 Depth=1
	s_or_b32 exec_lo, exec_lo, s60
	s_trap 2
	ds_read_b32 v0, v0
	s_add_i32 s59, s59, 1
	s_waitcnt lgkmcnt(0)
	v_cmp_lt_i32_e32 vcc_lo, s59, v0
	s_cbranch_vccz .LBB5_13
.LBB5_8:                                ; =>This Inner Loop Header: Depth=1
	s_trap 2
	ds_read_b32 v0, v0
	s_cmp_eq_u32 s59, 0
	s_cbranch_scc1 .LBB5_11
; %bb.9:                                ;   in Loop: Header=BB5_8 Depth=1
	s_trap 2
	s_waitcnt lgkmcnt(0)
	ds_read_b32 v1, v0
	s_waitcnt lgkmcnt(0)
	v_xor_b32_e32 v1, v1, v0
	v_and_b32_e32 v1, 0xff0000, v1
	v_cmp_eq_u32_e32 vcc_lo, 0, v1
	s_cbranch_vccnz .LBB5_11
; %bb.10:                               ;   in Loop: Header=BB5_8 Depth=1
	s_barrier
	buffer_gl0_inv
	ds_read_b32 v0, v0
.LBB5_11:                               ;   in Loop: Header=BB5_8 Depth=1
	s_waitcnt lgkmcnt(0)
	v_lshlrev_b32_sdwa v1, v42, v0 dst_sel:DWORD dst_unused:UNUSED_PAD src0_sel:DWORD src1_sel:BYTE_2
	s_mov_b32 s60, exec_lo
	v_cmpx_lt_u32_e64 v41, v1
	s_cbranch_execz .LBB5_7
; %bb.12:                               ;   in Loop: Header=BB5_8 Depth=1
	s_mov_b64 s[4:5], src_shared_base
	v_mov_b32_e32 v31, v40
	v_mov_b32_e32 v0, v41
	;; [unrolled: 1-line block ×3, first 2 shown]
	s_getpc_b64 s[6:7]
	s_add_u32 s6, s6, _ZN12_GLOBAL__N_17runRingI12rccl_bfloat810FuncMinMaxIS1_E11ProtoSimpleILi1ELi1ELi0ELi2ELi0ELi0EELi0ELi2ELi0EEEviiP15ncclDevWorkColl@rel32@lo+4
	s_addc_u32 s7, s7, _ZN12_GLOBAL__N_17runRingI12rccl_bfloat810FuncMinMaxIS1_E11ProtoSimpleILi1ELi1ELi0ELi2ELi0ELi0EELi0ELi2ELi0EEEviiP15ncclDevWorkColl@rel32@hi+12
	s_mov_b64 s[8:9], s[56:57]
	s_mov_b32 s12, s58
	s_swappc_b64 s[30:31], s[6:7]
	s_branch .LBB5_7
.LBB5_13:
	s_inst_prefetch 0x2
	s_clause 0x3
	buffer_load_dword v78, off, s[0:3], s33
	buffer_load_dword v42, off, s[0:3], s33 offset:4
	buffer_load_dword v41, off, s[0:3], s33 offset:8
	;; [unrolled: 1-line block ×3, first 2 shown]
	v_readlane_b32 s30, v43, 2
	v_readlane_b32 s31, v43, 3
	;; [unrolled: 1-line block ×4, first 2 shown]
	s_mov_b32 s32, s33
	s_or_saveexec_b32 s4, -1
	buffer_load_dword v43, off, s[0:3], s33 offset:16 ; 4-byte Folded Reload
	s_mov_b32 exec_lo, s4
	s_mov_b32 s33, s61
	s_waitcnt vmcnt(0)
	s_setpc_b64 s[30:31]
.Lfunc_end5:
	.size	_Z50ncclDevFunc_Reduce_RING_SIMPLE_MinMax_f8e5m2_0_0_2v, .Lfunc_end5-_Z50ncclDevFunc_Reduce_RING_SIMPLE_MinMax_f8e5m2_0_0_2v
                                        ; -- End function
	.set .L_Z50ncclDevFunc_Reduce_RING_SIMPLE_MinMax_f8e5m2_0_0_2v.num_vgpr, max(79, .L_ZN12_GLOBAL__N_17runRingI12rccl_bfloat810FuncMinMaxIS1_E11ProtoSimpleILi1ELi1ELi0ELi2ELi0ELi0EELi0ELi2ELi0EEEviiP15ncclDevWorkColl.num_vgpr)
	.set .L_Z50ncclDevFunc_Reduce_RING_SIMPLE_MinMax_f8e5m2_0_0_2v.num_agpr, max(0, .L_ZN12_GLOBAL__N_17runRingI12rccl_bfloat810FuncMinMaxIS1_E11ProtoSimpleILi1ELi1ELi0ELi2ELi0ELi0EELi0ELi2ELi0EEEviiP15ncclDevWorkColl.num_agpr)
	.set .L_Z50ncclDevFunc_Reduce_RING_SIMPLE_MinMax_f8e5m2_0_0_2v.numbered_sgpr, max(62, .L_ZN12_GLOBAL__N_17runRingI12rccl_bfloat810FuncMinMaxIS1_E11ProtoSimpleILi1ELi1ELi0ELi2ELi0ELi0EELi0ELi2ELi0EEEviiP15ncclDevWorkColl.numbered_sgpr)
	.set .L_Z50ncclDevFunc_Reduce_RING_SIMPLE_MinMax_f8e5m2_0_0_2v.num_named_barrier, max(0, .L_ZN12_GLOBAL__N_17runRingI12rccl_bfloat810FuncMinMaxIS1_E11ProtoSimpleILi1ELi1ELi0ELi2ELi0ELi0EELi0ELi2ELi0EEEviiP15ncclDevWorkColl.num_named_barrier)
	.set .L_Z50ncclDevFunc_Reduce_RING_SIMPLE_MinMax_f8e5m2_0_0_2v.private_seg_size, 32+max(.L_ZN12_GLOBAL__N_17runRingI12rccl_bfloat810FuncMinMaxIS1_E11ProtoSimpleILi1ELi1ELi0ELi2ELi0ELi0EELi0ELi2ELi0EEEviiP15ncclDevWorkColl.private_seg_size)
	.set .L_Z50ncclDevFunc_Reduce_RING_SIMPLE_MinMax_f8e5m2_0_0_2v.uses_vcc, or(1, .L_ZN12_GLOBAL__N_17runRingI12rccl_bfloat810FuncMinMaxIS1_E11ProtoSimpleILi1ELi1ELi0ELi2ELi0ELi0EELi0ELi2ELi0EEEviiP15ncclDevWorkColl.uses_vcc)
	.set .L_Z50ncclDevFunc_Reduce_RING_SIMPLE_MinMax_f8e5m2_0_0_2v.uses_flat_scratch, or(0, .L_ZN12_GLOBAL__N_17runRingI12rccl_bfloat810FuncMinMaxIS1_E11ProtoSimpleILi1ELi1ELi0ELi2ELi0ELi0EELi0ELi2ELi0EEEviiP15ncclDevWorkColl.uses_flat_scratch)
	.set .L_Z50ncclDevFunc_Reduce_RING_SIMPLE_MinMax_f8e5m2_0_0_2v.has_dyn_sized_stack, or(0, .L_ZN12_GLOBAL__N_17runRingI12rccl_bfloat810FuncMinMaxIS1_E11ProtoSimpleILi1ELi1ELi0ELi2ELi0ELi0EELi0ELi2ELi0EEEviiP15ncclDevWorkColl.has_dyn_sized_stack)
	.set .L_Z50ncclDevFunc_Reduce_RING_SIMPLE_MinMax_f8e5m2_0_0_2v.has_recursion, or(1, .L_ZN12_GLOBAL__N_17runRingI12rccl_bfloat810FuncMinMaxIS1_E11ProtoSimpleILi1ELi1ELi0ELi2ELi0ELi0EELi0ELi2ELi0EEEviiP15ncclDevWorkColl.has_recursion)
	.set .L_Z50ncclDevFunc_Reduce_RING_SIMPLE_MinMax_f8e5m2_0_0_2v.has_indirect_call, or(0, .L_ZN12_GLOBAL__N_17runRingI12rccl_bfloat810FuncMinMaxIS1_E11ProtoSimpleILi1ELi1ELi0ELi2ELi0ELi0EELi0ELi2ELi0EEEviiP15ncclDevWorkColl.has_indirect_call)
	.section	.AMDGPU.csdata,"",@progbits
; Function info:
; codeLenInByte = 744
; TotalNumSgprs: 64
; NumVgprs: 120
; ScratchSize: 192
; MemoryBound: 0
	.text
	.p2align	2                               ; -- Begin function _ZN12_GLOBAL__N_17runRingI12rccl_bfloat810FuncMinMaxIS1_E11ProtoSimpleILi1ELi1ELi0ELi4ELi0ELi0EELi0ELi4ELi0EEEviiP15ncclDevWorkColl
	.type	_ZN12_GLOBAL__N_17runRingI12rccl_bfloat810FuncMinMaxIS1_E11ProtoSimpleILi1ELi1ELi0ELi4ELi0ELi0EELi0ELi4ELi0EEEviiP15ncclDevWorkColl,@function
_ZN12_GLOBAL__N_17runRingI12rccl_bfloat810FuncMinMaxIS1_E11ProtoSimpleILi1ELi1ELi0ELi4ELi0ELi0EELi0ELi4ELi0EEEviiP15ncclDevWorkColl: ; @_ZN12_GLOBAL__N_17runRingI12rccl_bfloat810FuncMinMaxIS1_E11ProtoSimpleILi1ELi1ELi0ELi4ELi0ELi0EELi0ELi4ELi0EEEviiP15ncclDevWorkColl
; %bb.0:
	s_waitcnt vmcnt(0) expcnt(0) lgkmcnt(0)
	s_mov_b32 s47, s33
	s_mov_b32 s33, s32
	s_or_saveexec_b32 s4, -1
	buffer_store_dword v127, off, s[0:3], s33 offset:200 ; 4-byte Folded Spill
	s_mov_b32 exec_lo, s4
	s_addk_i32 s32, 0x1a00
	buffer_store_dword v40, off, s[0:3], s33 offset:184 ; 4-byte Folded Spill
	buffer_store_dword v41, off, s[0:3], s33 offset:180 ; 4-byte Folded Spill
	;; [unrolled: 1-line block ×46, first 2 shown]
	buffer_store_dword v126, off, s[0:3], s33 ; 4-byte Folded Spill
	v_writelane_b32 v127, s30, 0
	v_writelane_b32 v127, s31, 1
	s_trap 2
	ds_read_b64 v[14:15], v0
	ds_read_b32 v6, v0
	flat_load_dwordx2 v[8:9], v[2:3]
                                        ; implicit-def: $vgpr17_vgpr18
                                        ; implicit-def: $vgpr52_vgpr53
	s_waitcnt lgkmcnt(2)
	v_ashrrev_i32_e32 v5, 31, v15
	v_mov_b32_e32 v4, v15
	v_lshlrev_b64 v[4:5], 2, v[4:5]
	v_add_co_u32 v4, vcc_lo, v14, v4
	v_add_co_ci_u32_e64 v5, null, v15, v5, vcc_lo
	v_add_co_u32 v4, vcc_lo, -4, v4
	v_add_co_ci_u32_e64 v5, null, -1, v5, vcc_lo
	flat_load_ushort v16, v[2:3] offset:8
	flat_load_dword v24, v[4:5]
                                        ; implicit-def: $vgpr4_vgpr5
	s_waitcnt vmcnt(2) lgkmcnt(2)
	v_mov_b32_e32 v15, v9
	v_cmp_ne_u32_sdwa s4, v6, v8 src0_sel:DWORD src1_sel:BYTE_0
	s_and_saveexec_b32 s5, s4
	s_xor_b32 s4, exec_lo, s5
	s_cbranch_execz .LBB6_6
; %bb.1:
	v_not_b32_sdwa v9, v8 dst_sel:DWORD dst_unused:UNUSED_PAD src0_sel:BYTE_0
	v_cmp_ne_u32_sdwa s5, v6, v8 src0_sel:DWORD src1_sel:BYTE_1
                                        ; implicit-def: $vgpr17_vgpr18
                                        ; implicit-def: $vgpr4_vgpr5
                                        ; implicit-def: $vgpr52_vgpr53
	s_and_saveexec_b32 s6, s5
	s_xor_b32 s5, exec_lo, s6
	s_cbranch_execz .LBB6_3
; %bb.2:
	s_clause 0x1
	flat_load_dwordx4 v[10:13], v[2:3] offset:72
	flat_load_dwordx2 v[4:5], v[2:3] offset:96
	v_add_nc_u32_e32 v6, v6, v9
                                        ; implicit-def: $vgpr8
                                        ; implicit-def: $vgpr9
	v_ashrrev_i32_e32 v7, 31, v6
	s_waitcnt vmcnt(1) lgkmcnt(1)
	v_mul_lo_u32 v7, v12, v7
	v_mad_u64_u32 v[52:53], null, v12, v6, v[10:11]
	v_mul_lo_u32 v6, v13, v6
	s_waitcnt vmcnt(0) lgkmcnt(0)
	v_lshrrev_b64 v[17:18], 12, v[4:5]
	v_mov_b32_e32 v4, v12
	v_mov_b32_e32 v5, v13
	v_add3_u32 v53, v6, v53, v7
.LBB6_3:
	s_andn2_saveexec_b32 s5, s5
	s_cbranch_execz .LBB6_5
; %bb.4:
	s_clause 0x1
	flat_load_dwordx4 v[10:13], v[2:3] offset:72
	flat_load_dwordx4 v[4:7], v[2:3] offset:88
	s_waitcnt vmcnt(0) lgkmcnt(0)
	v_add_nc_u32_sdwa v6, v8, v9 dst_sel:DWORD dst_unused:UNUSED_PAD src0_sel:BYTE_1 src1_sel:DWORD
	v_ashrrev_i32_e32 v8, 31, v6
	v_mul_lo_u32 v8, v12, v8
	v_mad_u64_u32 v[52:53], null, v12, v6, v[10:11]
	v_mul_lo_u32 v6, v13, v6
	v_lshrrev_b32_e32 v17, 1, v7
	v_add3_u32 v53, v6, v53, v8
.LBB6_5:
	s_or_b32 exec_lo, exec_lo, s5
.LBB6_6:
	s_andn2_saveexec_b32 s4, s4
	s_cbranch_execz .LBB6_8
; %bb.7:
	s_clause 0x1
	flat_load_dwordx2 v[6:7], v[2:3] offset:96
	flat_load_dwordx2 v[4:5], v[2:3] offset:72
	v_mov_b32_e32 v52, 0
	v_mov_b32_e32 v53, 0
	s_waitcnt vmcnt(1) lgkmcnt(1)
	v_lshlrev_b64 v[17:18], 9, v[6:7]
.LBB6_8:
	s_or_b32 exec_lo, exec_lo, s4
	s_trap 2
	ds_read_b64 v[6:7], v0
	s_mov_b32 s5, exec_lo
	s_waitcnt lgkmcnt(0)
	v_cmp_ne_u32_e32 vcc_lo, -1, v6
	v_cndmask_b32_e64 v25, 0, 1, vcc_lo
	v_cmp_ne_u32_e32 vcc_lo, -1, v7
	v_add_co_ci_u32_e64 v6, null, 0, v25, vcc_lo
	v_lshlrev_b32_e32 v7, 1, v6
	v_cmpx_le_u32_e64 v7, v1
	s_xor_b32 s15, exec_lo, s5
	s_cbranch_execnz .LBB6_9
; %bb.10558:
	s_getpc_b64 s[34:35]
.Lpost_getpc8:
	s_add_u32 s34, s34, (.LBB6_10543-.Lpost_getpc8)&4294967295
	s_addc_u32 s35, s35, (.LBB6_10543-.Lpost_getpc8)>>32
	s_setpc_b64 s[34:35]
.LBB6_9:
	s_clause 0x1
	flat_load_dwordx4 v[10:13], v[2:3] offset:16
	flat_load_dwordx2 v[18:19], v[2:3] offset:104
	s_trap 2
	s_load_dword s4, s[8:9], 0x0
	v_mov_b32_e32 v2, 0
	v_mov_b32_e32 v117, 4
	s_waitcnt lgkmcnt(0)
	s_cmp_lt_u32 s12, s4
	s_cselect_b32 s4, 12, 18
	s_add_u32 s4, s8, s4
	s_addc_u32 s5, s9, 0
	global_load_ushort v116, v2, s[4:5]
	ds_read_b32 v2, v0
	s_mov_b32 s5, exec_lo
	s_waitcnt lgkmcnt(0)
	v_readfirstlane_b32 s16, v2
	v_cmpx_ge_u32_e64 v0, v25
	s_cbranch_execz .LBB6_19
; %bb.10:
	v_cmp_ge_u32_e64 s4, v0, v6
                                        ; implicit-def: $vgpr117
	s_and_saveexec_b32 s6, s4
	s_xor_b32 s4, exec_lo, s6
	s_cbranch_execz .LBB6_16
; %bb.11:
	v_cndmask_b32_e64 v2, 0, 1, vcc_lo
	s_mov_b32 s6, exec_lo
	v_sub_nc_u32_e32 v2, v1, v2
	v_cmpx_ge_u32_e64 v0, v2
	s_xor_b32 s6, exec_lo, s6
; %bb.12:
                                        ; implicit-def: $vgpr6
; %bb.13:
	s_or_saveexec_b32 s6, s6
	v_mov_b32_e32 v117, 16
	s_xor_b32 exec_lo, exec_lo, s6
; %bb.14:
	v_sub_nc_u32_e32 v2, v1, v6
	v_cmp_lt_i32_e32 vcc_lo, v0, v2
	v_cndmask_b32_e64 v117, 32, 0, vcc_lo
; %bb.15:
	s_or_b32 exec_lo, exec_lo, s6
.LBB6_16:
	s_andn2_saveexec_b32 s4, s4
; %bb.17:
	v_mov_b32_e32 v117, 8
; %bb.18:
	s_or_b32 exec_lo, exec_lo, s4
.LBB6_19:
	s_or_b32 exec_lo, exec_lo, s5
	v_and_b32_e32 v2, 36, v117
	v_mov_b32_e32 v20, -1
	v_cmp_ne_u32_e32 vcc_lo, 0, v2
	s_and_saveexec_b32 s4, vcc_lo
	s_cbranch_execz .LBB6_21
; %bb.20:
	s_trap 2
	ds_read_b32 v20, v0
.LBB6_21:
	s_or_b32 exec_lo, exec_lo, s4
	v_and_b32_e32 v2, 24, v117
	s_mov_b32 s5, exec_lo
	v_cmpx_ne_u32_e32 0, v2
	s_cbranch_execz .LBB6_23
; %bb.22:
	s_trap 2
	s_waitcnt lgkmcnt(0)
	ds_read_b32 v20, v0
.LBB6_23:
	s_or_b32 exec_lo, exec_lo, s5
	s_waitcnt vmcnt(4)
	v_lshrrev_b64 v[2:3], 31, v[15:16]
	v_mov_b32_e32 v54, 0
	v_mov_b32_e32 v6, 0
	;; [unrolled: 1-line block ×3, first 2 shown]
	s_waitcnt lgkmcnt(0)
	v_ashrrev_i32_e32 v21, 31, v20
	v_mov_b32_e32 v7, 0
	v_and_b32_e32 v2, 3, v2
                                        ; implicit-def: $vgpr118
                                        ; implicit-def: $vgpr70_vgpr71
                                        ; implicit-def: $vgpr66_vgpr67
                                        ; implicit-def: $vgpr64_vgpr65
	v_and_b32_e32 v16, 0xffff, v2
                                        ; implicit-def: $vgpr2_vgpr3
                                        ; kill: killed $vgpr2_vgpr3
	s_and_saveexec_b32 s4, vcc_lo
	s_cbranch_execz .LBB6_33
; %bb.24:
	s_trap 2
	ds_read_b64 v[2:3], v0
	v_lshlrev_b64 v[6:7], 3, v[20:21]
	s_waitcnt lgkmcnt(0)
	v_add_co_u32 v2, vcc_lo, v2, v6
	v_add_co_ci_u32_e64 v3, null, v3, v7, vcc_lo
	flat_load_dwordx2 v[2:3], v[2:3]
	s_waitcnt vmcnt(0) lgkmcnt(0)
	v_mad_u64_u32 v[22:23], null, 0xa8, v16, v[2:3]
	flat_load_dword v2, v[22:23] offset:640
	s_waitcnt vmcnt(0) lgkmcnt(0)
	v_cmp_eq_u32_e32 vcc_lo, 1, v2
                                        ; implicit-def: $vgpr2_vgpr3
                                        ; kill: killed $vgpr2_vgpr3
	s_and_saveexec_b32 s5, vcc_lo
	s_cbranch_execz .LBB6_26
; %bb.25:
	flat_load_dwordx2 v[6:7], v[22:23] offset:648
	v_or_b32_e32 v117, 0x2000, v117
	s_waitcnt vmcnt(0) lgkmcnt(0)
	flat_load_dwordx2 v[2:3], v[6:7]
	s_trap 2
	s_waitcnt vmcnt(0) lgkmcnt(0)
	ds_write_b64 v0, v[2:3]
	flat_load_dwordx2 v[2:3], v[6:7] offset:8
	s_waitcnt vmcnt(0) lgkmcnt(0)
	ds_write_b64 v0, v[2:3]
	buffer_store_dword v6, off, s[0:3], s33 offset:188 ; 4-byte Folded Spill
	buffer_store_dword v7, off, s[0:3], s33 offset:192 ; 4-byte Folded Spill
	flat_load_dwordx2 v[2:3], v[6:7] offset:16
	s_waitcnt vmcnt(0) lgkmcnt(0)
	ds_write_b64 v0, v[2:3]
.LBB6_26:
	s_or_b32 exec_lo, exec_lo, s5
	flat_load_dwordx2 v[8:9], v[22:23] offset:608
	v_and_b32_e32 v2, 32, v117
	s_mov_b32 s5, exec_lo
                                        ; implicit-def: $vgpr64_vgpr65
	v_cmpx_ne_u32_e32 0, v2
	s_cbranch_execz .LBB6_28
; %bb.27:
	flat_load_dwordx2 v[64:65], v[22:23] offset:560
	s_waitcnt vmcnt(0) lgkmcnt(0)
	s_waitcnt_vscnt null, 0x0
	flat_store_dwordx2 v[64:65], v[8:9]
.LBB6_28:
	s_or_b32 exec_lo, exec_lo, s5
	v_add_co_u32 v54, vcc_lo, 0x1f8, v22
	v_mov_b32_e32 v6, 0
	v_and_b32_e32 v2, 4, v117
	v_add_co_ci_u32_e64 v55, null, 0, v23, vcc_lo
	v_mov_b32_e32 v7, 0
	s_mov_b32 s5, exec_lo
                                        ; implicit-def: $vgpr118
                                        ; implicit-def: $vgpr70_vgpr71
                                        ; implicit-def: $vgpr66_vgpr67
	v_cmpx_ne_u32_e32 0, v2
	s_cbranch_execz .LBB6_32
; %bb.29:
	v_and_b32_e32 v2, 0x800, v117
	s_mov_b32 s6, exec_lo
	v_cmpx_eq_u32_e32 0, v2
	s_cbranch_execz .LBB6_31
; %bb.30:
	s_trap 2
	ds_write_b64 v0, v[54:55]
.LBB6_31:
	s_or_b32 exec_lo, exec_lo, s6
	flat_load_dwordx2 v[64:65], v[22:23] offset:552
	v_or_b32_e32 v2, 0x100, v117
	s_waitcnt vmcnt(0) lgkmcnt(0)
	flat_load_dwordx2 v[70:71], v[64:65] glc dlc
	s_clause 0x2
	flat_load_dwordx2 v[6:7], v[22:23] offset:600
	flat_load_dword v118, v[22:23] offset:576
	flat_load_dwordx2 v[66:67], v[22:23] offset:520
	s_waitcnt vmcnt(2) lgkmcnt(2)
	v_cmp_eq_u64_e32 vcc_lo, 0, v[6:7]
	v_cndmask_b32_e32 v117, v2, v117, vcc_lo
.LBB6_32:
	s_or_b32 exec_lo, exec_lo, s5
.LBB6_33:
	s_or_b32 exec_lo, exec_lo, s4
	v_and_b32_e32 v2, 24, v117
	s_mov_b32 s4, exec_lo
                                        ; implicit-def: $vgpr82_vgpr83
	v_cmpx_ne_u32_e32 0, v2
	s_cbranch_execz .LBB6_41
; %bb.34:
	s_trap 2
	ds_read_b64 v[2:3], v0
	v_lshlrev_b64 v[6:7], 3, v[20:21]
	s_mov_b32 s5, exec_lo
                                        ; implicit-def: $vgpr82_vgpr83
	s_waitcnt lgkmcnt(0)
	v_add_co_u32 v2, vcc_lo, v2, v6
	v_add_co_ci_u32_e64 v3, null, v3, v7, vcc_lo
	flat_load_dwordx2 v[2:3], v[2:3]
	s_waitcnt vmcnt(0) lgkmcnt(0)
	v_mad_u64_u32 v[54:55], null, 0xa8, v16, v[2:3]
	v_or_b32_e32 v2, 0x100, v117
	flat_load_dwordx4 v[6:9], v[54:55] offset:96
	s_waitcnt vmcnt(0) lgkmcnt(0)
	v_cmp_eq_u64_e32 vcc_lo, 0, v[6:7]
	v_cndmask_b32_e32 v117, v2, v117, vcc_lo
	v_and_b32_e32 v2, 16, v117
	v_cmpx_ne_u32_e32 0, v2
	s_cbranch_execz .LBB6_36
; %bb.35:
	s_clause 0x2
	flat_load_dwordx2 v[64:65], v[54:55] offset:48
	flat_load_dwordx2 v[82:83], v[54:55] offset:120
	;; [unrolled: 1-line block ×3, first 2 shown]
.LBB6_36:
	s_or_b32 exec_lo, exec_lo, s5
	v_and_b32_e32 v2, 8, v117
	s_mov_b32 s5, exec_lo
	v_cmpx_ne_u32_e32 0, v2
	s_cbranch_execz .LBB6_40
; %bb.37:
	v_and_b32_e32 v2, 0x800, v117
	s_mov_b32 s6, exec_lo
	v_cmpx_eq_u32_e32 0, v2
	s_cbranch_execz .LBB6_39
; %bb.38:
	s_trap 2
	ds_write_b64 v0, v[54:55]
.LBB6_39:
	s_or_b32 exec_lo, exec_lo, s6
	s_waitcnt vmcnt(2) lgkmcnt(2)
	flat_load_dwordx2 v[64:65], v[54:55] offset:56
	s_waitcnt vmcnt(0) lgkmcnt(0)
	flat_load_dwordx2 v[70:71], v[64:65] glc dlc
	s_clause 0x1
	flat_load_dword v118, v[54:55] offset:72
	flat_load_dwordx2 v[66:67], v[54:55] offset:16
.LBB6_40:
	s_or_b32 exec_lo, exec_lo, s5
.LBB6_41:
	s_or_b32 exec_lo, exec_lo, s4
	v_cmp_eq_u32_e64 s4, 0, v0
	s_and_saveexec_b32 s5, s4
	s_cbranch_execz .LBB6_43
; %bb.42:
	s_waitcnt vmcnt(2)
	v_mov_b32_e32 v2, v12
	v_mov_b32_e32 v12, 0
	;; [unrolled: 1-line block ×4, first 2 shown]
	ds_write2_b64 v0, v[2:3], v[10:11] offset1:1
	s_trap 2
	ds_write_b64 v0, v[12:13]
	s_waitcnt vmcnt(1)
	ds_write_b64 v0, v[18:19]
.LBB6_43:
	s_or_b32 exec_lo, exec_lo, s5
	v_bfe_u32 v2, v15, 1, 30
	v_and_b32_e32 v80, 0x3ffffe00, v17
	v_mov_b32_e32 v81, 0
                                        ; implicit-def: $vgpr68_vgpr69
	s_mov_b32 s5, exec_lo
	s_waitcnt vmcnt(3)
	v_cmpx_ne_u32_e64 v24, v2
	s_xor_b32 s17, exec_lo, s5
	s_cbranch_execnz .LBB6_44
; %bb.10560:
	s_getpc_b64 s[34:35]
.Lpost_getpc9:
	s_add_u32 s34, s34, (.LBB6_10337-.Lpost_getpc9)&4294967295
	s_addc_u32 s35, s35, (.LBB6_10337-.Lpost_getpc9)>>32
	s_setpc_b64 s[34:35]
.LBB6_44:
                                        ; implicit-def: $vgpr68_vgpr69
	s_mov_b32 s5, exec_lo
	v_cmpx_ne_u32_e64 v14, v2
	s_xor_b32 s18, exec_lo, s5
	s_cbranch_execnz .LBB6_45
; %bb.10562:
	s_getpc_b64 s[34:35]
.Lpost_getpc10:
	s_add_u32 s34, s34, (.LBB6_5196-.Lpost_getpc10)&4294967295
	s_addc_u32 s35, s35, (.LBB6_5196-.Lpost_getpc10)>>32
	s_setpc_b64 s[34:35]
.LBB6_45:
	v_mov_b32_e32 v68, 0
	v_mov_b32_e32 v69, 0
	s_mov_b32 s19, exec_lo
	v_cmpx_ne_u64_e32 0, v[4:5]
	s_cbranch_execnz .LBB6_46
; %bb.10564:
	s_getpc_b64 s[34:35]
.Lpost_getpc11:
	s_add_u32 s34, s34, (.LBB6_5195-.Lpost_getpc11)&4294967295
	s_addc_u32 s35, s35, (.LBB6_5195-.Lpost_getpc11)>>32
	s_setpc_b64 s[34:35]
.LBB6_46:
	v_and_b32_e32 v2, 31, v31
	v_lshrrev_b32_e32 v3, 5, v0
	s_waitcnt vmcnt(2)
	v_and_b32_e32 v10, 31, v0
	v_lshrrev_b32_e32 v41, 5, v1
	s_ashr_i32 s6, s16, 31
	v_cmp_eq_u32_e64 s7, 0, v2
	v_lshlrev_b32_e32 v2, 11, v3
	s_lshr_b32 s6, s6, 24
	v_cmp_eq_u32_e32 vcc_lo, 32, v1
	v_mov_b32_e32 v86, 0
	s_waitcnt vmcnt(1) lgkmcnt(1)
	v_cmp_eq_u64_e64 s12, 0, v[82:83]
	v_mov_b32_e32 v68, 0
	v_cmp_ge_u32_e64 s5, v0, v1
	v_ashrrev_i32_e32 v102, 31, v118
	s_add_i32 s13, s16, s6
	v_cmp_ne_u32_e64 s6, 32, v1
	s_waitcnt vmcnt(0)
	v_cmp_ne_u32_sdwa s20, v1, v116 src0_sel:DWORD src1_sel:WORD_0
	v_mov_b32_e32 v84, 0
	v_cmp_le_u32_e64 s10, v10, v25
	v_cmp_lt_u32_e64 s11, v10, v25
	v_lshl_or_b32 v2, v10, 4, v2
	v_lshlrev_b32_e32 v43, 11, v41
	v_lshlrev_b32_e32 v44, 9, v41
	;; [unrolled: 1-line block ×3, first 2 shown]
	v_and_b32_e32 v46, 0x1fe0, v1
	v_mov_b32_e32 v87, 0
	v_mov_b32_e32 v47, 1
	;; [unrolled: 1-line block ×9, first 2 shown]
	s_ashr_i32 s22, s13, 8
	s_mov_b32 s21, 0
	s_xor_b32 s23, vcc_lo, -1
	buffer_store_dword v2, off, s[0:3], s33 offset:196 ; 4-byte Folded Spill
	s_trap 2
	s_branch .LBB6_49
.LBB6_47:                               ;   in Loop: Header=BB6_49 Depth=1
	s_or_b32 exec_lo, exec_lo, s13
.LBB6_48:                               ;   in Loop: Header=BB6_49 Depth=1
	s_or_b32 exec_lo, exec_lo, s14
	v_add_co_u32 v86, vcc_lo, v86, v80
	v_add_co_ci_u32_e64 v87, null, 0, v87, vcc_lo
	v_cmp_ge_u64_e32 vcc_lo, v[86:87], v[4:5]
	s_or_b32 s21, vcc_lo, s21
	s_andn2_b32 exec_lo, exec_lo, s21
	s_cbranch_execnz .LBB6_49
; %bb.10566:
	s_getpc_b64 s[34:35]
.Lpost_getpc12:
	s_add_u32 s34, s34, (.LBB6_5194-.Lpost_getpc12)&4294967295
	s_addc_u32 s35, s35, (.LBB6_5194-.Lpost_getpc12)>>32
	s_setpc_b64 s[34:35]
.LBB6_49:                               ; =>This Loop Header: Depth=1
                                        ;     Child Loop BB6_58 Depth 2
                                        ;     Child Loop BB6_86 Depth 2
	;; [unrolled: 1-line block ×10, first 2 shown]
	v_sub_co_u32 v2, vcc_lo, v4, v86
	v_sub_co_ci_u32_e64 v3, null, v5, v87, vcc_lo
	v_cmp_lt_u64_e32 vcc_lo, v[80:81], v[2:3]
	v_cndmask_b32_e32 v96, v2, v80, vcc_lo
	v_cndmask_b32_e64 v97, v3, 0, vcc_lo
	v_add_nc_u32_e32 v2, 15, v96
	v_cmp_eq_u64_e32 vcc_lo, 0, v[96:97]
	v_and_b32_e32 v2, 0x7ffffff0, v2
	s_or_b32 s24, s5, vcc_lo
	s_xor_b32 s13, s24, -1
	v_max_i32_e32 v97, s22, v2
	v_mov_b32_e32 v2, 0
	s_and_saveexec_b32 s25, s13
	s_cbranch_execnz .LBB6_50
; %bb.10568:                            ;   in Loop: Header=BB6_49 Depth=1
	s_getpc_b64 s[34:35]
.Lpost_getpc13:
	s_add_u32 s34, s34, (.LBB6_5142-.Lpost_getpc13)&4294967295
	s_addc_u32 s35, s35, (.LBB6_5142-.Lpost_getpc13)>>32
	s_setpc_b64 s[34:35]
.LBB6_50:                               ;   in Loop: Header=BB6_49 Depth=1
	s_and_saveexec_b32 s13, s4
	s_cbranch_execz .LBB6_52
; %bb.51:                               ;   in Loop: Header=BB6_49 Depth=1
	s_trap 2
	ds_read_b64 v[2:3], v0
	v_mov_b32_e32 v85, v84
	s_waitcnt lgkmcnt(0)
	v_add_co_u32 v2, vcc_lo, v2, v52
	v_add_co_ci_u32_e64 v3, null, v3, v53, vcc_lo
	v_add_co_u32 v2, vcc_lo, v2, v86
	v_add_co_ci_u32_e64 v3, null, v3, v87, vcc_lo
	ds_write_b64 v0, v[2:3]
	ds_write_b64 v0, v[84:85]
.LBB6_52:                               ;   in Loop: Header=BB6_49 Depth=1
	s_or_b32 exec_lo, exec_lo, s13
	v_and_b32_e32 v2, 12, v117
	v_min_u32_e32 v97, v97, v96
	s_mov_b32 s14, exec_lo
	v_cmpx_ne_u32_e32 0, v2
	s_cbranch_execz .LBB6_78
; %bb.53:                               ;   in Loop: Header=BB6_49 Depth=1
	v_and_b32_e32 v14, 8, v117
	s_mov_b32 s26, exec_lo
	s_waitcnt vmcnt(0)
	v_add_co_u32 v2, vcc_lo, v70, v14
	v_add_co_ci_u32_e64 v3, null, 0, v71, vcc_lo
	s_waitcnt lgkmcnt(0)
	v_add_co_u32 v10, vcc_lo, v8, 1
	v_add_co_ci_u32_e64 v11, null, 0, v9, vcc_lo
	v_cmpx_lt_u64_e64 v[2:3], v[10:11]
	s_cbranch_execz .LBB6_65
; %bb.54:                               ;   in Loop: Header=BB6_49 Depth=1
	v_and_b32_e32 v2, 64, v117
	s_mov_b32 s27, 0
	s_mov_b32 s41, 0
                                        ; implicit-def: $sgpr28
                                        ; implicit-def: $sgpr29
                                        ; implicit-def: $sgpr40
	v_cmp_eq_u32_e32 vcc_lo, 0, v2
	s_branch .LBB6_58
.LBB6_55:                               ;   in Loop: Header=BB6_58 Depth=2
	s_waitcnt vmcnt(0) lgkmcnt(0)
	v_add_co_u32 v2, s13, v70, v14
	v_add_co_ci_u32_e64 v3, null, 0, v71, s13
	s_or_b32 s44, s44, exec_lo
	v_cmp_ge_u64_e64 s13, v[2:3], v[10:11]
	s_orn2_b32 s43, s13, exec_lo
.LBB6_56:                               ;   in Loop: Header=BB6_58 Depth=2
	s_or_b32 exec_lo, exec_lo, s46
	s_andn2_b32 s13, s40, exec_lo
	s_and_b32 s40, s44, exec_lo
	s_andn2_b32 s29, s29, exec_lo
	s_and_b32 s43, s43, exec_lo
	s_or_b32 s40, s13, s40
	s_or_b32 s29, s29, s43
.LBB6_57:                               ;   in Loop: Header=BB6_58 Depth=2
	s_or_b32 exec_lo, exec_lo, s42
	s_and_b32 s13, exec_lo, s29
	s_or_b32 s27, s13, s27
	s_andn2_b32 s13, s28, exec_lo
	s_and_b32 s28, s40, exec_lo
	s_or_b32 s28, s13, s28
	s_andn2_b32 exec_lo, exec_lo, s27
	s_cbranch_execz .LBB6_62
.LBB6_58:                               ;   Parent Loop BB6_49 Depth=1
                                        ; =>  This Inner Loop Header: Depth=2
	s_sleep 1
	s_waitcnt vmcnt(0) lgkmcnt(0)
	flat_load_dwordx2 v[70:71], v[64:65] glc dlc
	s_or_b32 s40, s40, exec_lo
	s_or_b32 s29, s29, exec_lo
                                        ; implicit-def: $vgpr9
	s_and_saveexec_b32 s42, vcc_lo
	s_cbranch_execz .LBB6_57
; %bb.59:                               ;   in Loop: Header=BB6_58 Depth=2
	s_cmpk_lt_i32 s41, 0x270f
	s_mov_b32 s43, -1
	s_cselect_b32 s45, -1, 0
	s_cmpk_gt_i32 s41, 0x270e
	s_cbranch_scc0 .LBB6_61
; %bb.60:                               ;   in Loop: Header=BB6_58 Depth=2
	s_trap 2
	ds_read_b64 v[2:3], v0
	s_andn2_b32 s41, s45, exec_lo
	s_mov_b32 s44, 0
	s_waitcnt vmcnt(0) lgkmcnt(0)
	s_waitcnt_vscnt null, 0x0
	flat_load_dword v9, v[2:3] glc dlc
	s_waitcnt vmcnt(0) lgkmcnt(0)
	buffer_gl1_inv
	buffer_gl0_inv
	v_cmp_eq_u32_e64 s13, 0, v9
	s_and_b32 s13, s13, exec_lo
	s_or_b32 s45, s41, s13
	s_mov_b32 s41, 0
	s_and_saveexec_b32 s46, s45
	s_cbranch_execz .LBB6_56
	s_branch .LBB6_55
.LBB6_61:                               ;   in Loop: Header=BB6_58 Depth=2
	s_add_i32 s41, s41, 1
	s_mov_b32 s44, -1
                                        ; implicit-def: $vgpr9
	s_and_saveexec_b32 s46, s45
	s_cbranch_execz .LBB6_56
	s_branch .LBB6_55
.LBB6_62:                               ;   in Loop: Header=BB6_49 Depth=1
	s_or_b32 exec_lo, exec_lo, s27
	s_xor_b32 s13, s28, -1
	s_and_saveexec_b32 s27, s13
	s_xor_b32 s13, exec_lo, s27
	s_cbranch_execz .LBB6_64
; %bb.63:                               ;   in Loop: Header=BB6_49 Depth=1
	v_or_b32_e32 v117, 64, v117
	s_waitcnt vmcnt(0) lgkmcnt(0)
	s_waitcnt_vscnt null, 0x0
	ds_write_b32 v0, v9
	s_trap 2
.LBB6_64:                               ;   in Loop: Header=BB6_49 Depth=1
	s_or_b32 exec_lo, exec_lo, s13
.LBB6_65:                               ;   in Loop: Header=BB6_49 Depth=1
	s_or_b32 exec_lo, exec_lo, s26
	v_and_b32_e32 v2, 0x108, v117
	v_and_b32_e32 v15, 7, v8
	s_mov_b32 s13, exec_lo
	;;#ASMSTART
	s_wakeup
	;;#ASMEND
	v_cmpx_ne_u32_e32 0x108, v2
	s_xor_b32 s13, exec_lo, s13
                                        ; implicit-def: $vgpr16
; %bb.66:                               ;   in Loop: Header=BB6_49 Depth=1
	v_mov_b32_e32 v16, v84
; %bb.67:                               ;   in Loop: Header=BB6_49 Depth=1
	s_andn2_saveexec_b32 s13, s13
	s_cbranch_execz .LBB6_69
; %bb.68:                               ;   in Loop: Header=BB6_49 Depth=1
	v_mad_u64_u32 v[2:3], null, v15, 24, v[6:7]
	v_mov_b32_e32 v98, v84
	v_mov_b32_e32 v16, v84
	flat_store_dwordx2 v[2:3], v[97:98] offset:8
.LBB6_69:                               ;   in Loop: Header=BB6_49 Depth=1
	s_or_b32 exec_lo, exec_lo, s13
	v_and_b32_e32 v2, 0x100, v117
	s_mov_b32 s13, -1
	s_mov_b32 s26, exec_lo
                                        ; implicit-def: $vgpr8_vgpr9
	v_cmpx_ne_u32_e32 0, v2
	s_cbranch_execz .LBB6_73
; %bb.70:                               ;   in Loop: Header=BB6_49 Depth=1
	v_mad_u64_u32 v[12:13], null, v15, 24, v[6:7]
	s_mov_b32 s27, exec_lo
                                        ; implicit-def: $vgpr8_vgpr9
	v_mov_b32_e32 v2, v13
	v_mad_u64_u32 v[2:3], null, v16, 24, v[2:3]
	v_mov_b32_e32 v13, v2
	flat_load_dword v2, v[12:13]
	s_waitcnt vmcnt(0) lgkmcnt(0)
	v_cmp_ne_u32_e32 vcc_lo, 1, v2
	v_cmpx_eq_u32_e32 1, v2
	s_cbranch_execz .LBB6_72
; %bb.71:                               ;   in Loop: Header=BB6_49 Depth=1
	flat_load_dword v8, v[12:13] offset:4 glc dlc
	s_waitcnt vmcnt(0) lgkmcnt(0)
	v_ashrrev_i32_e32 v9, 31, v8
.LBB6_72:                               ;   in Loop: Header=BB6_49 Depth=1
	s_or_b32 exec_lo, exec_lo, s27
	s_orn2_b32 s13, vcc_lo, exec_lo
.LBB6_73:                               ;   in Loop: Header=BB6_49 Depth=1
	s_or_b32 exec_lo, exec_lo, s26
	s_and_saveexec_b32 s26, s13
; %bb.74:                               ;   in Loop: Header=BB6_49 Depth=1
	v_mul_lo_u32 v2, v16, v118
	v_mul_lo_u32 v3, v15, v102
	v_mad_u64_u32 v[8:9], null, v15, v118, 0
	v_add3_u32 v9, v9, v3, v2
; %bb.75:                               ;   in Loop: Header=BB6_49 Depth=1
	s_or_b32 exec_lo, exec_lo, s26
	v_cmp_eq_u32_e32 vcc_lo, 0, v14
	v_and_b32_e32 v13, 0x2000, v117
	s_mov_b32 s13, exec_lo
	v_cndmask_b32_e32 v12, 0xc8, v56, vcc_lo
	v_add_co_u32 v2, vcc_lo, v66, v8
	v_add_co_ci_u32_e64 v3, null, v67, v9, vcc_lo
	v_add_nc_u32_e32 v8, v0, v12
	ds_write_b64 v8, v[2:3] offset:584
	v_cmpx_ne_u32_e32 0, v13
	s_cbranch_execz .LBB6_77
; %bb.76:                               ;   in Loop: Header=BB6_49 Depth=1
	ds_read_b64 v[2:3], v0 offset:872
	s_waitcnt lgkmcnt(0)
	v_add_co_u32 v2, vcc_lo, v2, 1
	v_add_co_ci_u32_e64 v3, null, 0, v3, vcc_lo
	ds_write_b64 v0, v[2:3] offset:872
.LBB6_77:                               ;   in Loop: Header=BB6_49 Depth=1
	s_or_b32 exec_lo, exec_lo, s13
	v_mov_b32_e32 v8, v10
	v_mov_b32_e32 v9, v11
.LBB6_78:                               ;   in Loop: Header=BB6_49 Depth=1
	s_or_b32 exec_lo, exec_lo, s14
	s_and_saveexec_b32 s13, s6
	s_cbranch_execz .LBB6_97
; %bb.79:                               ;   in Loop: Header=BB6_49 Depth=1
	s_and_saveexec_b32 s14, s20
	s_xor_b32 s14, exec_lo, s14
	s_cbranch_execz .LBB6_94
; %bb.80:                               ;   in Loop: Header=BB6_49 Depth=1
	s_and_saveexec_b32 s26, s7
	s_cbranch_execz .LBB6_93
; %bb.81:                               ;   in Loop: Header=BB6_49 Depth=1
	s_mov_b32 s28, exec_lo
	s_mov_b32 s27, exec_lo
	v_mbcnt_lo_u32_b32 v2, s28, 0
	s_waitcnt vmcnt(0) lgkmcnt(0)
	s_waitcnt_vscnt null, 0x0
	buffer_gl1_inv
	buffer_gl0_inv
	v_cmpx_eq_u32_e32 0, v2
	s_cbranch_execz .LBB6_83
; %bb.82:                               ;   in Loop: Header=BB6_49 Depth=1
	s_bcnt1_i32_b32 s28, s28
	v_mov_b32_e32 v3, v84
	v_mov_b32_e32 v2, s28
	ds_add_u64 v0, v[2:3]
	s_trap 2
.LBB6_83:                               ;   in Loop: Header=BB6_49 Depth=1
	s_or_b32 exec_lo, exec_lo, s27
	s_trap 2
	ds_read_b64 v[2:3], v0
	s_waitcnt lgkmcnt(0)
	buffer_gl0_inv
	v_add_co_u32 v68, vcc_lo, v68, v41
	v_add_co_ci_u32_e64 v69, null, 0, v69, vcc_lo
	s_mov_b32 s27, exec_lo
	v_cmpx_lt_u64_e64 v[2:3], v[68:69]
	s_cbranch_execz .LBB6_92
; %bb.84:                               ;   in Loop: Header=BB6_49 Depth=1
	s_mov_b32 s28, 0
	s_mov_b32 s41, 0
                                        ; implicit-def: $sgpr29
                                        ; implicit-def: $sgpr40
	s_inst_prefetch 0x1
	s_branch .LBB6_86
	.p2align	6
.LBB6_85:                               ;   in Loop: Header=BB6_86 Depth=2
	s_or_b32 exec_lo, exec_lo, s43
	s_and_b32 s42, exec_lo, s44
	s_or_b32 s28, s42, s28
	s_andn2_b32 s29, s29, exec_lo
	s_and_b32 s42, s40, exec_lo
	s_or_b32 s29, s29, s42
	s_andn2_b32 exec_lo, exec_lo, s28
	s_cbranch_execz .LBB6_90
.LBB6_86:                               ;   Parent Loop BB6_49 Depth=1
                                        ; =>  This Inner Loop Header: Depth=2
	s_add_i32 s41, s41, 1
	s_cmpk_lg_i32 s41, 0x2710
	s_cselect_b32 s42, -1, 0
	s_and_b32 vcc_lo, exec_lo, s42
	s_cbranch_vccz .LBB6_88
; %bb.87:                               ;   in Loop: Header=BB6_86 Depth=2
	s_mov_b32 s44, -1
	s_or_b32 s40, s40, exec_lo
	s_and_saveexec_b32 s43, s42
	s_cbranch_execz .LBB6_85
	s_branch .LBB6_89
	.p2align	6
.LBB6_88:                               ;   in Loop: Header=BB6_86 Depth=2
	s_trap 2
	ds_read_b64 v[2:3], v0
	s_andn2_b32 s42, s42, exec_lo
	s_mov_b32 s41, 0
	s_waitcnt lgkmcnt(0)
	flat_load_dword v2, v[2:3] glc dlc
	s_waitcnt vmcnt(0) lgkmcnt(0)
	buffer_gl1_inv
	buffer_gl0_inv
	v_cmp_eq_u32_e32 vcc_lo, 0, v2
	s_and_b32 s43, vcc_lo, exec_lo
	s_or_b32 s42, s42, s43
	s_mov_b32 s44, -1
	s_or_b32 s40, s40, exec_lo
	s_and_saveexec_b32 s43, s42
	s_cbranch_execz .LBB6_85
.LBB6_89:                               ;   in Loop: Header=BB6_86 Depth=2
	s_sleep 1
	s_trap 2
	ds_read_b64 v[2:3], v0
	s_waitcnt lgkmcnt(0)
	buffer_gl0_inv
	s_andn2_b32 s40, s40, exec_lo
	v_cmp_ge_u64_e32 vcc_lo, v[2:3], v[68:69]
	s_orn2_b32 s44, vcc_lo, exec_lo
	s_branch .LBB6_85
.LBB6_90:                               ;   in Loop: Header=BB6_49 Depth=1
	s_inst_prefetch 0x2
	s_or_b32 exec_lo, exec_lo, s28
	s_and_saveexec_b32 s28, s29
	s_xor_b32 s28, exec_lo, s28
	s_cbranch_execz .LBB6_92
; %bb.91:                               ;   in Loop: Header=BB6_49 Depth=1
	ds_write_b32 v0, v47
	s_trap 2
.LBB6_92:                               ;   in Loop: Header=BB6_49 Depth=1
	s_or_b32 exec_lo, exec_lo, s27
	;;#ASMSTART
	s_wakeup
	;;#ASMEND
.LBB6_93:                               ;   in Loop: Header=BB6_49 Depth=1
	s_or_b32 exec_lo, exec_lo, s26
.LBB6_94:                               ;   in Loop: Header=BB6_49 Depth=1
	s_andn2_saveexec_b32 s14, s14
	s_cbranch_execz .LBB6_96
; %bb.95:                               ;   in Loop: Header=BB6_49 Depth=1
	s_waitcnt vmcnt(0) lgkmcnt(0)
	s_waitcnt_vscnt null, 0x0
	buffer_gl1_inv
	buffer_gl0_inv
	s_barrier
.LBB6_96:                               ;   in Loop: Header=BB6_49 Depth=1
	s_or_b32 exec_lo, exec_lo, s14
.LBB6_97:                               ;   in Loop: Header=BB6_49 Depth=1
	s_or_b32 exec_lo, exec_lo, s13
	s_trap 2
	ds_read_b32 v10, v0
	v_and_b32_e32 v2, 0x4000, v117
	v_cmp_ne_u32_e32 vcc_lo, 0, v2
	s_and_b32 s14, s23, vcc_lo
	s_and_saveexec_b32 s13, s14
	s_cbranch_execz .LBB6_116
; %bb.98:                               ;   in Loop: Header=BB6_49 Depth=1
	s_and_saveexec_b32 s14, s20
	s_xor_b32 s14, exec_lo, s14
	s_cbranch_execz .LBB6_113
; %bb.99:                               ;   in Loop: Header=BB6_49 Depth=1
	s_and_saveexec_b32 s26, s7
	s_cbranch_execz .LBB6_112
; %bb.100:                              ;   in Loop: Header=BB6_49 Depth=1
	s_mov_b32 s28, exec_lo
	s_mov_b32 s27, exec_lo
	v_mbcnt_lo_u32_b32 v2, s28, 0
	s_waitcnt vmcnt(0) lgkmcnt(0)
	s_waitcnt_vscnt null, 0x0
	buffer_gl1_inv
	buffer_gl0_inv
	v_cmpx_eq_u32_e32 0, v2
	s_cbranch_execz .LBB6_102
; %bb.101:                              ;   in Loop: Header=BB6_49 Depth=1
	s_bcnt1_i32_b32 s28, s28
	v_mov_b32_e32 v3, v84
	v_mov_b32_e32 v2, s28
	ds_add_u64 v0, v[2:3]
	s_trap 2
.LBB6_102:                              ;   in Loop: Header=BB6_49 Depth=1
	s_or_b32 exec_lo, exec_lo, s27
	s_trap 2
	ds_read_b64 v[2:3], v0
	s_waitcnt lgkmcnt(0)
	buffer_gl0_inv
	v_add_co_u32 v68, vcc_lo, v68, v41
	v_add_co_ci_u32_e64 v69, null, 0, v69, vcc_lo
	s_mov_b32 s27, exec_lo
	v_cmpx_lt_u64_e64 v[2:3], v[68:69]
	s_cbranch_execz .LBB6_111
; %bb.103:                              ;   in Loop: Header=BB6_49 Depth=1
	s_mov_b32 s28, 0
	s_mov_b32 s41, 0
                                        ; implicit-def: $sgpr29
                                        ; implicit-def: $sgpr40
	s_inst_prefetch 0x1
	s_branch .LBB6_105
	.p2align	6
.LBB6_104:                              ;   in Loop: Header=BB6_105 Depth=2
	s_or_b32 exec_lo, exec_lo, s43
	s_and_b32 s42, exec_lo, s44
	s_or_b32 s28, s42, s28
	s_andn2_b32 s29, s29, exec_lo
	s_and_b32 s42, s40, exec_lo
	s_or_b32 s29, s29, s42
	s_andn2_b32 exec_lo, exec_lo, s28
	s_cbranch_execz .LBB6_109
.LBB6_105:                              ;   Parent Loop BB6_49 Depth=1
                                        ; =>  This Inner Loop Header: Depth=2
	s_add_i32 s41, s41, 1
	s_cmpk_lg_i32 s41, 0x2710
	s_cselect_b32 s42, -1, 0
	s_and_b32 vcc_lo, exec_lo, s42
	s_cbranch_vccz .LBB6_107
; %bb.106:                              ;   in Loop: Header=BB6_105 Depth=2
	s_mov_b32 s44, -1
	s_or_b32 s40, s40, exec_lo
	s_and_saveexec_b32 s43, s42
	s_cbranch_execz .LBB6_104
	s_branch .LBB6_108
	.p2align	6
.LBB6_107:                              ;   in Loop: Header=BB6_105 Depth=2
	s_trap 2
	ds_read_b64 v[2:3], v0
	s_andn2_b32 s42, s42, exec_lo
	s_mov_b32 s41, 0
	s_waitcnt lgkmcnt(0)
	flat_load_dword v2, v[2:3] glc dlc
	s_waitcnt vmcnt(0) lgkmcnt(0)
	buffer_gl1_inv
	buffer_gl0_inv
	v_cmp_eq_u32_e32 vcc_lo, 0, v2
	s_and_b32 s43, vcc_lo, exec_lo
	s_or_b32 s42, s42, s43
	s_mov_b32 s44, -1
	s_or_b32 s40, s40, exec_lo
	s_and_saveexec_b32 s43, s42
	s_cbranch_execz .LBB6_104
.LBB6_108:                              ;   in Loop: Header=BB6_105 Depth=2
	s_sleep 1
	s_trap 2
	ds_read_b64 v[2:3], v0
	s_waitcnt lgkmcnt(0)
	buffer_gl0_inv
	s_andn2_b32 s40, s40, exec_lo
	v_cmp_ge_u64_e32 vcc_lo, v[2:3], v[68:69]
	s_orn2_b32 s44, vcc_lo, exec_lo
	s_branch .LBB6_104
.LBB6_109:                              ;   in Loop: Header=BB6_49 Depth=1
	s_inst_prefetch 0x2
	s_or_b32 exec_lo, exec_lo, s28
	s_and_saveexec_b32 s28, s29
	s_xor_b32 s28, exec_lo, s28
	s_cbranch_execz .LBB6_111
; %bb.110:                              ;   in Loop: Header=BB6_49 Depth=1
	ds_write_b32 v0, v47
	s_trap 2
.LBB6_111:                              ;   in Loop: Header=BB6_49 Depth=1
	s_or_b32 exec_lo, exec_lo, s27
	;;#ASMSTART
	s_wakeup
	;;#ASMEND
.LBB6_112:                              ;   in Loop: Header=BB6_49 Depth=1
	s_or_b32 exec_lo, exec_lo, s26
.LBB6_113:                              ;   in Loop: Header=BB6_49 Depth=1
	s_andn2_saveexec_b32 s14, s14
	s_cbranch_execz .LBB6_115
; %bb.114:                              ;   in Loop: Header=BB6_49 Depth=1
	s_waitcnt vmcnt(0) lgkmcnt(0)
	s_waitcnt_vscnt null, 0x0
	buffer_gl1_inv
	buffer_gl0_inv
	s_barrier
.LBB6_115:                              ;   in Loop: Header=BB6_49 Depth=1
	s_or_b32 exec_lo, exec_lo, s14
.LBB6_116:                              ;   in Loop: Header=BB6_49 Depth=1
	s_or_b32 exec_lo, exec_lo, s13
	s_trap 2
	ds_read_b64 v[98:99], v0
	s_waitcnt lgkmcnt(0)
	v_cmp_eq_u64_e32 vcc_lo, 0, v[98:99]
	s_cbranch_vccnz .LBB6_124
; %bb.117:                              ;   in Loop: Header=BB6_49 Depth=1
	s_trap 2
	ds_read_b64 v[100:101], v0
	s_waitcnt lgkmcnt(0)
	v_cmp_eq_u64_e32 vcc_lo, 0, v[100:101]
	s_cbranch_vccnz .LBB6_124
; %bb.118:                              ;   in Loop: Header=BB6_49 Depth=1
	s_trap 2
	ds_read_b64 v[2:3], v0
	s_mov_b32 s13, -1
	s_waitcnt lgkmcnt(0)
	v_readfirstlane_b32 s26, v2
	s_and_saveexec_b32 s14, s10
	s_cbranch_execz .LBB6_120
; %bb.119:                              ;   in Loop: Header=BB6_49 Depth=1
	ds_read_b32 v2, v0 offset:720
	s_waitcnt lgkmcnt(0)
	v_and_b32_e32 v2, 15, v2
	v_cmp_eq_u32_e32 vcc_lo, 0, v2
	s_orn2_b32 s13, vcc_lo, exec_lo
.LBB6_120:                              ;   in Loop: Header=BB6_49 Depth=1
	s_or_b32 exec_lo, exec_lo, s14
	s_and_saveexec_b32 s14, s11
	s_cbranch_execz .LBB6_122
; %bb.121:                              ;   in Loop: Header=BB6_49 Depth=1
	ds_read_b32 v2, v0 offset:784
	s_waitcnt lgkmcnt(0)
	v_and_b32_e32 v2, 15, v2
	v_cmp_eq_u32_e32 vcc_lo, 0, v2
	s_and_b32 s27, s13, vcc_lo
	s_andn2_b32 s13, s13, exec_lo
	s_and_b32 s27, s27, exec_lo
	s_or_b32 s13, s13, s27
.LBB6_122:                              ;   in Loop: Header=BB6_49 Depth=1
	s_or_b32 exec_lo, exec_lo, s14
	v_cmp_eq_u32_e32 vcc_lo, 0, v10
	s_xor_b32 s13, s13, -1
	v_mov_b32_e32 v16, 0
	v_cndmask_b32_e64 v2, 0, 1, s13
	v_mov_b32_e32 v18, v0
	v_cndmask_b32_e32 v85, 0, v97, vcc_lo
	s_mov_b32 s13, -1
	v_cmp_ne_u32_e32 vcc_lo, 0, v2
	v_mov_b32_e32 v17, v85
	s_cbranch_vccz .LBB6_125
; %bb.123:                              ;   in Loop: Header=BB6_49 Depth=1
	s_and_saveexec_b32 s14, s13
	s_cbranch_execnz .LBB6_3656
; %bb.10546:                            ;   in Loop: Header=BB6_49 Depth=1
	s_getpc_b64 s[34:35]
.Lpost_getpc2:
	s_add_u32 s34, s34, (.LBB6_5116-.Lpost_getpc2)&4294967295
	s_addc_u32 s35, s35, (.LBB6_5116-.Lpost_getpc2)>>32
	s_setpc_b64 s[34:35]
.LBB6_124:                              ;   in Loop: Header=BB6_49 Depth=1
	s_mov_b32 s13, 0
	s_and_saveexec_b32 s14, s6
	s_cbranch_execz .LBB6_10548
; %bb.10570:                            ;   in Loop: Header=BB6_49 Depth=1
	s_getpc_b64 s[34:35]
.Lpost_getpc14:
	s_add_u32 s34, s34, (.LBB6_5117-.Lpost_getpc14)&4294967295
	s_addc_u32 s35, s35, (.LBB6_5117-.Lpost_getpc14)>>32
	s_setpc_b64 s[34:35]
.LBB6_10548:                            ;   in Loop: Header=BB6_49 Depth=1
	s_getpc_b64 s[34:35]
.Lpost_getpc3:
	s_add_u32 s34, s34, (.LBB6_5135-.Lpost_getpc3)&4294967295
	s_addc_u32 s35, s35, (.LBB6_5135-.Lpost_getpc3)>>32
	s_setpc_b64 s[34:35]
.LBB6_125:                              ;   in Loop: Header=BB6_49 Depth=1
	v_lshrrev_b32_e32 v2, 11, v85
	v_lshrrev_b32_e32 v3, 5, v0
	s_mov_b32 s14, exec_lo
	v_sub_nc_u32_e32 v62, v2, v3
	v_cmpx_lt_i32_e32 0, v62
	s_cbranch_execz .LBB6_2945
; %bb.126:                              ;   in Loop: Header=BB6_49 Depth=1
	s_trap 2
	buffer_load_dword v10, off, s[0:3], s33 offset:196 ; 4-byte Folded Reload
	ds_read_b64 v[2:3], v0
	s_bitcmp1_b32 s26, 0
	s_mov_b32 s27, 0
	s_cselect_b32 s28, -1, 0
	s_waitcnt vmcnt(0)
	v_add_co_u32 v102, vcc_lo, v98, v10
	v_add_co_ci_u32_e64 v103, null, 0, v99, vcc_lo
	s_waitcnt lgkmcnt(0)
	v_add_co_u32 v112, vcc_lo, v2, v10
	v_add_co_ci_u32_e64 v113, null, 0, v3, vcc_lo
	v_add_co_u32 v114, vcc_lo, v100, v10
	v_add_co_ci_u32_e64 v115, null, 0, v101, vcc_lo
	s_branch .LBB6_130
.LBB6_127:                              ;   in Loop: Header=BB6_130 Depth=2
	s_or_b32 exec_lo, exec_lo, s13
	v_lshrrev_b32_e32 v13, 21, v30
	v_min_i32_e32 v17, 31, v2
	v_cmp_gt_i32_e32 vcc_lo, 32, v2
	v_and_b32_sdwa v3, v40, v58 dst_sel:DWORD dst_unused:UNUSED_PAD src0_sel:BYTE_3 src1_sel:DWORD
	v_lshlrev_b32_e32 v17, 2, v17
	v_cndmask_b32_e32 v13, 3, v13, vcc_lo
	v_and_b32_e32 v17, 0xfc, v17
	v_or_b32_e32 v2, v2, v13
	v_and_b32_e32 v13, 3, v13
	v_cmp_ne_u32_e32 vcc_lo, 0, v2
	v_or3_b32 v3, v3, v17, v13
	v_lshlrev_b32_e32 v3, 8, v3
	v_cndmask_b32_e32 v13, 0, v3, vcc_lo
.LBB6_128:                              ;   in Loop: Header=BB6_130 Depth=2
	s_or_b32 exec_lo, exec_lo, s40
.LBB6_129:                              ;   in Loop: Header=BB6_130 Depth=2
	s_or_b32 exec_lo, exec_lo, s29
	v_or_b32_sdwa v2, v19, v107 dst_sel:WORD_1 dst_unused:UNUSED_PAD src0_sel:DWORD src1_sel:DWORD
	v_or_b32_sdwa v3, v18, v105 dst_sel:WORD_1 dst_unused:UNUSED_PAD src0_sel:DWORD src1_sel:DWORD
	;; [unrolled: 1-line block ×5, first 2 shown]
	v_or3_b32 v18, v106, v22, v2
	v_or_b32_sdwa v2, v26, v89 dst_sel:WORD_1 dst_unused:UNUSED_PAD src0_sel:DWORD src1_sel:DWORD
	v_or3_b32 v17, v104, v35, v3
	v_or_b32_sdwa v3, v29, v95 dst_sel:WORD_1 dst_unused:UNUSED_PAD src0_sel:DWORD src1_sel:DWORD
	v_or3_b32 v22, v90, v32, v21
	v_or3_b32 v19, v108, v23, v19
	;; [unrolled: 1-line block ×3, first 2 shown]
	v_or_b32_sdwa v2, v28, v93 dst_sel:WORD_1 dst_unused:UNUSED_PAD src0_sel:DWORD src1_sel:DWORD
	v_or_b32_sdwa v26, v37, v75 dst_sel:WORD_1 dst_unused:UNUSED_PAD src0_sel:DWORD src1_sel:DWORD
	;; [unrolled: 1-line block ×4, first 2 shown]
	v_or3_b32 v20, v110, v24, v20
	v_or3_b32 v23, v92, v33, v2
	v_or_b32_sdwa v2, v39, v79 dst_sel:WORD_1 dst_unused:UNUSED_PAD src0_sel:DWORD src1_sel:DWORD
	v_or3_b32 v24, v94, v34, v3
	v_or_b32_sdwa v3, v11, v123 dst_sel:WORD_1 dst_unused:UNUSED_PAD src0_sel:DWORD src1_sel:DWORD
	v_or_b32_sdwa v10, v10, v121 dst_sel:WORD_1 dst_unused:UNUSED_PAD src0_sel:DWORD src1_sel:DWORD
	;; [unrolled: 1-line block ×4, first 2 shown]
	v_or3_b32 v27, v74, v48, v26
	v_or3_b32 v26, v72, v63, v28
	;; [unrolled: 1-line block ×4, first 2 shown]
	v_sub_nc_u32_e32 v62, v62, v41
	v_add_co_u32 v102, vcc_lo, v102, v43
	v_or3_b32 v11, v122, v14, v3
	v_or3_b32 v10, v120, v25, v10
	;; [unrolled: 1-line block ×4, first 2 shown]
	v_add_co_ci_u32_e64 v103, null, 0, v103, vcc_lo
	v_add_co_u32 v112, vcc_lo, v112, v43
	global_store_dwordx4 v[114:115], v[26:29], off glc slc
	global_store_dwordx4 v[114:115], v[21:24], off offset:512 glc slc
	global_store_dwordx4 v[114:115], v[17:20], off offset:1024 glc slc
	;; [unrolled: 1-line block ×3, first 2 shown]
	v_add_co_ci_u32_e64 v113, null, 0, v113, vcc_lo
	v_cmp_gt_i32_e32 vcc_lo, 1, v62
	v_add_co_u32 v114, s13, v114, v43
	v_add_co_ci_u32_e64 v115, null, 0, v115, s13
	s_or_b32 s27, vcc_lo, s27
	s_andn2_b32 exec_lo, exec_lo, s27
	s_cbranch_execz .LBB6_2944
.LBB6_130:                              ;   Parent Loop BB6_49 Depth=1
                                        ; =>  This Inner Loop Header: Depth=2
	s_clause 0x3
	global_load_dwordx4 v[48:51], v[102:103], off slc
	global_load_dwordx4 v[32:35], v[102:103], off offset:512 slc
	global_load_dwordx4 v[22:25], v[102:103], off offset:1024 slc
	;; [unrolled: 1-line block ×3, first 2 shown]
	s_clause 0x3
	global_load_dwordx4 v[36:39], v[112:113], off slc
	global_load_dwordx4 v[26:29], v[112:113], off offset:512 slc
	global_load_dwordx4 v[18:21], v[112:113], off offset:1024 slc
	;; [unrolled: 1-line block ×3, first 2 shown]
	s_and_b32 vcc_lo, exec_lo, s28
	s_mov_b32 s13, -1
                                        ; implicit-def: $vgpr119
	s_waitcnt vmcnt(7)
	v_cmp_gt_i16_sdwa s29, v48, v57 src0_sel:BYTE_0 src1_sel:DWORD
	s_cbranch_vccz .LBB6_144
; %bb.131:                              ;   in Loop: Header=BB6_130 Depth=2
	s_mov_b32 s13, 0
	s_and_saveexec_b32 s40, s29
	s_xor_b32 s29, exec_lo, s40
	s_cbranch_execz .LBB6_2432
; %bb.132:                              ;   in Loop: Header=BB6_130 Depth=2
	v_cmp_eq_u16_sdwa s41, v48, v58 src0_sel:BYTE_0 src1_sel:DWORD
	s_mov_b32 s13, -1
	s_and_saveexec_b32 s40, s41
; %bb.133:                              ;   in Loop: Header=BB6_130 Depth=2
	s_xor_b32 s13, exec_lo, -1
; %bb.134:                              ;   in Loop: Header=BB6_130 Depth=2
	s_or_b32 exec_lo, exec_lo, s40
	s_and_b32 s13, s13, exec_lo
	s_or_saveexec_b32 s29, s29
	v_mov_b32_e32 v119, 0x7f800001
	s_xor_b32 exec_lo, exec_lo, s29
	s_cbranch_execnz .LBB6_2433
.LBB6_135:                              ;   in Loop: Header=BB6_130 Depth=2
	s_or_b32 exec_lo, exec_lo, s29
	s_and_saveexec_b32 s29, s13
	s_cbranch_execz .LBB6_137
.LBB6_136:                              ;   in Loop: Header=BB6_130 Depth=2
	v_and_b32_e32 v2, 3, v48
	v_bfe_u32 v119, v48, 2, 5
	v_lshlrev_b32_e32 v40, 24, v48
	v_ffbh_u32_e32 v3, v2
	v_cmp_eq_u32_e32 vcc_lo, 0, v119
	v_min_u32_e32 v3, 32, v3
	v_subrev_nc_u32_e32 v30, 29, v3
	v_sub_nc_u32_e32 v3, 30, v3
	v_lshlrev_b32_e32 v30, v30, v48
	v_cndmask_b32_e32 v3, v119, v3, vcc_lo
	v_and_b32_e32 v30, 3, v30
	v_lshl_add_u32 v3, v3, 23, 0x37800000
	v_cndmask_b32_e32 v2, v2, v30, vcc_lo
	v_and_b32_e32 v30, 0x80000000, v40
	v_lshlrev_b32_e32 v2, 21, v2
	v_or3_b32 v119, v30, v3, v2
.LBB6_137:                              ;   in Loop: Header=BB6_130 Depth=2
	s_or_b32 exec_lo, exec_lo, s29
	s_waitcnt vmcnt(3)
	v_cmp_gt_i16_sdwa s29, v36, v57 src0_sel:BYTE_0 src1_sel:DWORD
	s_mov_b32 s13, 0
	s_and_saveexec_b32 s40, s29
	s_xor_b32 s29, exec_lo, s40
	s_cbranch_execz .LBB6_2434
; %bb.138:                              ;   in Loop: Header=BB6_130 Depth=2
	v_cmp_eq_u16_sdwa s41, v36, v58 src0_sel:BYTE_0 src1_sel:DWORD
	s_mov_b32 s13, -1
	s_and_saveexec_b32 s40, s41
; %bb.139:                              ;   in Loop: Header=BB6_130 Depth=2
	s_xor_b32 s13, exec_lo, -1
; %bb.140:                              ;   in Loop: Header=BB6_130 Depth=2
	s_or_b32 exec_lo, exec_lo, s40
	s_and_b32 s13, s13, exec_lo
	s_or_saveexec_b32 s29, s29
	v_mov_b32_e32 v2, 0x7f800001
	s_xor_b32 exec_lo, exec_lo, s29
	s_cbranch_execnz .LBB6_2435
.LBB6_141:                              ;   in Loop: Header=BB6_130 Depth=2
	s_or_b32 exec_lo, exec_lo, s29
	s_and_saveexec_b32 s29, s13
	s_cbranch_execz .LBB6_143
.LBB6_142:                              ;   in Loop: Header=BB6_130 Depth=2
	v_and_b32_e32 v2, 3, v36
	v_bfe_u32 v40, v36, 2, 5
	v_lshlrev_b32_e32 v42, 24, v36
	v_ffbh_u32_e32 v3, v2
	v_cmp_eq_u32_e32 vcc_lo, 0, v40
	v_min_u32_e32 v3, 32, v3
	v_subrev_nc_u32_e32 v30, 29, v3
	v_sub_nc_u32_e32 v3, 30, v3
	v_lshlrev_b32_e32 v30, v30, v36
	v_cndmask_b32_e32 v3, v40, v3, vcc_lo
	v_and_b32_e32 v30, 3, v30
	v_lshl_add_u32 v3, v3, 23, 0x37800000
	v_cndmask_b32_e32 v2, v2, v30, vcc_lo
	v_and_b32_e32 v30, 0x80000000, v42
	v_lshlrev_b32_e32 v2, 21, v2
	v_or3_b32 v2, v30, v3, v2
.LBB6_143:                              ;   in Loop: Header=BB6_130 Depth=2
	s_or_b32 exec_lo, exec_lo, s29
	v_max_f32_e32 v2, v2, v2
	v_max_f32_e32 v3, v119, v119
	s_mov_b32 s13, 0
	v_max_f32_e32 v119, v3, v2
.LBB6_144:                              ;   in Loop: Header=BB6_130 Depth=2
	s_and_b32 vcc_lo, exec_lo, s13
	s_cbranch_vccz .LBB6_158
; %bb.145:                              ;   in Loop: Header=BB6_130 Depth=2
	v_cmp_gt_i16_sdwa s29, v48, v57 src0_sel:BYTE_0 src1_sel:DWORD
	s_mov_b32 s13, 0
	s_and_saveexec_b32 s40, s29
	s_xor_b32 s29, exec_lo, s40
	s_cbranch_execz .LBB6_2436
; %bb.146:                              ;   in Loop: Header=BB6_130 Depth=2
	v_cmp_eq_u16_sdwa s41, v48, v58 src0_sel:BYTE_0 src1_sel:DWORD
	s_mov_b32 s13, -1
	s_and_saveexec_b32 s40, s41
; %bb.147:                              ;   in Loop: Header=BB6_130 Depth=2
	s_xor_b32 s13, exec_lo, -1
; %bb.148:                              ;   in Loop: Header=BB6_130 Depth=2
	s_or_b32 exec_lo, exec_lo, s40
	s_and_b32 s13, s13, exec_lo
	s_or_saveexec_b32 s29, s29
	v_mov_b32_e32 v119, 0x7f800001
	s_xor_b32 exec_lo, exec_lo, s29
	s_cbranch_execnz .LBB6_2437
.LBB6_149:                              ;   in Loop: Header=BB6_130 Depth=2
	s_or_b32 exec_lo, exec_lo, s29
	s_and_saveexec_b32 s29, s13
	s_cbranch_execz .LBB6_151
.LBB6_150:                              ;   in Loop: Header=BB6_130 Depth=2
	v_and_b32_e32 v2, 3, v48
	v_bfe_u32 v119, v48, 2, 5
	v_lshlrev_b32_e32 v40, 24, v48
	v_ffbh_u32_e32 v3, v2
	v_cmp_eq_u32_e32 vcc_lo, 0, v119
	v_min_u32_e32 v3, 32, v3
	v_subrev_nc_u32_e32 v30, 29, v3
	v_sub_nc_u32_e32 v3, 30, v3
	v_lshlrev_b32_e32 v30, v30, v48
	v_cndmask_b32_e32 v3, v119, v3, vcc_lo
	v_and_b32_e32 v30, 3, v30
	v_lshl_add_u32 v3, v3, 23, 0x37800000
	v_cndmask_b32_e32 v2, v2, v30, vcc_lo
	v_and_b32_e32 v30, 0x80000000, v40
	v_lshlrev_b32_e32 v2, 21, v2
	v_or3_b32 v119, v30, v3, v2
.LBB6_151:                              ;   in Loop: Header=BB6_130 Depth=2
	s_or_b32 exec_lo, exec_lo, s29
	s_waitcnt vmcnt(3)
	v_cmp_gt_i16_sdwa s29, v36, v57 src0_sel:BYTE_0 src1_sel:DWORD
	s_mov_b32 s13, 0
	s_and_saveexec_b32 s40, s29
	s_xor_b32 s29, exec_lo, s40
	s_cbranch_execz .LBB6_2438
; %bb.152:                              ;   in Loop: Header=BB6_130 Depth=2
	v_cmp_eq_u16_sdwa s41, v36, v58 src0_sel:BYTE_0 src1_sel:DWORD
	s_mov_b32 s13, -1
	s_and_saveexec_b32 s40, s41
; %bb.153:                              ;   in Loop: Header=BB6_130 Depth=2
	s_xor_b32 s13, exec_lo, -1
; %bb.154:                              ;   in Loop: Header=BB6_130 Depth=2
	s_or_b32 exec_lo, exec_lo, s40
	s_and_b32 s13, s13, exec_lo
	s_or_saveexec_b32 s29, s29
	v_mov_b32_e32 v2, 0x7f800001
	s_xor_b32 exec_lo, exec_lo, s29
	s_cbranch_execnz .LBB6_2439
.LBB6_155:                              ;   in Loop: Header=BB6_130 Depth=2
	s_or_b32 exec_lo, exec_lo, s29
	s_and_saveexec_b32 s29, s13
	s_cbranch_execz .LBB6_157
.LBB6_156:                              ;   in Loop: Header=BB6_130 Depth=2
	v_and_b32_e32 v2, 3, v36
	v_bfe_u32 v40, v36, 2, 5
	v_lshlrev_b32_e32 v42, 24, v36
	v_ffbh_u32_e32 v3, v2
	v_cmp_eq_u32_e32 vcc_lo, 0, v40
	v_min_u32_e32 v3, 32, v3
	v_subrev_nc_u32_e32 v30, 29, v3
	v_sub_nc_u32_e32 v3, 30, v3
	v_lshlrev_b32_e32 v30, v30, v36
	v_cndmask_b32_e32 v3, v40, v3, vcc_lo
	v_and_b32_e32 v30, 3, v30
	v_lshl_add_u32 v3, v3, 23, 0x37800000
	v_cndmask_b32_e32 v2, v2, v30, vcc_lo
	v_and_b32_e32 v30, 0x80000000, v42
	v_lshlrev_b32_e32 v2, 21, v2
	v_or3_b32 v2, v30, v3, v2
.LBB6_157:                              ;   in Loop: Header=BB6_130 Depth=2
	s_or_b32 exec_lo, exec_lo, s29
	v_max_f32_e32 v2, v2, v2
	v_max_f32_e32 v3, v119, v119
	v_min_f32_e32 v119, v3, v2
.LBB6_158:                              ;   in Loop: Header=BB6_130 Depth=2
	v_and_b32_e32 v2, 0x7f800000, v119
	v_mov_b32_e32 v63, 0x80
	s_mov_b32 s29, exec_lo
	v_cmpx_ne_u32_e32 0x7f800000, v2
	s_cbranch_execz .LBB6_166
; %bb.159:                              ;   in Loop: Header=BB6_130 Depth=2
	v_mov_b32_e32 v63, 0
	s_mov_b32 s40, exec_lo
	v_cmpx_ne_u32_e32 0, v119
	s_cbranch_execz .LBB6_165
; %bb.160:                              ;   in Loop: Header=BB6_130 Depth=2
	v_bfe_u32 v2, v119, 23, 8
	v_and_b32_e32 v3, 0x7fffff, v119
	v_sub_nc_u32_e32 v30, 0x70, v2
	v_cmp_gt_u32_e32 vcc_lo, 0x71, v2
	v_or_b32_e32 v40, 0x800000, v3
	v_cndmask_b32_e32 v30, 0, v30, vcc_lo
	v_cmp_eq_u32_e32 vcc_lo, 0, v2
	v_add_nc_u32_e32 v2, 0xffffff91, v2
	v_cndmask_b32_e64 v30, v30, 0x6f, vcc_lo
	v_cndmask_b32_e32 v3, v40, v3, vcc_lo
	v_cndmask_b32_e64 v2, v2, 0xffffff92, vcc_lo
	v_lshl_add_u32 v42, 0x200000, v30, -1
	v_lshrrev_b32_e32 v40, v30, v3
	v_lshlrev_b32_e64 v72, v30, 0x100000
	v_add_nc_u32_e32 v2, v30, v2
	v_and_b32_e32 v3, v42, v3
	v_bfe_u32 v63, v40, 21, 1
	v_cmp_eq_u32_e64 s13, v3, v72
	v_add_nc_u32_e32 v42, -1, v63
	v_cndmask_b32_e64 v3, 0, v42, s13
	v_lshrrev_b32_e32 v42, 23, v40
	s_mov_b32 s13, exec_lo
	v_add_nc_u32_e32 v3, v3, v40
	v_and_b32_e32 v30, 0x1fffff, v3
	v_xor_b32_e32 v3, 1, v42
	v_add_nc_u32_e32 v40, v30, v40
                                        ; implicit-def: $vgpr30
	v_cmpx_ne_u32_e64 v2, v3
	s_xor_b32 s13, exec_lo, s13
; %bb.161:                              ;   in Loop: Header=BB6_130 Depth=2
	v_cmp_lt_u32_e32 vcc_lo, 0xffffff, v40
	v_sub_nc_u32_e32 v2, v2, v3
	v_cndmask_b32_e64 v3, 0, 1, vcc_lo
	v_add_co_ci_u32_e64 v30, null, 0, v2, vcc_lo
	v_lshrrev_b32_e32 v40, v3, v40
; %bb.162:                              ;   in Loop: Header=BB6_130 Depth=2
	s_andn2_saveexec_b32 s13, s13
; %bb.163:                              ;   in Loop: Header=BB6_130 Depth=2
	v_bfe_u32 v30, v40, 23, 1
; %bb.164:                              ;   in Loop: Header=BB6_130 Depth=2
	s_or_b32 exec_lo, exec_lo, s13
	v_lshrrev_b32_e32 v2, 21, v40
	v_min_i32_e32 v3, 31, v30
	v_cmp_gt_i32_e32 vcc_lo, 32, v30
	v_and_b32_sdwa v119, v119, v58 dst_sel:DWORD dst_unused:UNUSED_PAD src0_sel:BYTE_3 src1_sel:DWORD
	v_lshlrev_b32_e32 v3, 2, v3
	v_cndmask_b32_e32 v2, 3, v2, vcc_lo
	v_and_b32_e32 v3, 0xfc, v3
	v_and_b32_e32 v40, 3, v2
	v_or_b32_e32 v2, v30, v2
	v_or3_b32 v3, v3, v119, v40
	v_cmp_ne_u32_e32 vcc_lo, 0, v2
	v_cndmask_b32_e32 v63, 0, v3, vcc_lo
.LBB6_165:                              ;   in Loop: Header=BB6_130 Depth=2
	s_or_b32 exec_lo, exec_lo, s40
.LBB6_166:                              ;   in Loop: Header=BB6_130 Depth=2
	s_or_b32 exec_lo, exec_lo, s29
	v_cmp_gt_i16_sdwa s29, v48, v57 src0_sel:BYTE_1 src1_sel:DWORD
	s_and_b32 vcc_lo, exec_lo, s28
	s_mov_b32 s13, -1
                                        ; implicit-def: $vgpr119
	s_cbranch_vccz .LBB6_180
; %bb.167:                              ;   in Loop: Header=BB6_130 Depth=2
	s_mov_b32 s13, 0
	s_and_saveexec_b32 s40, s29
	s_xor_b32 s29, exec_lo, s40
	s_cbranch_execz .LBB6_2440
; %bb.168:                              ;   in Loop: Header=BB6_130 Depth=2
	v_cmp_eq_u16_sdwa s41, v48, v58 src0_sel:BYTE_1 src1_sel:DWORD
	s_mov_b32 s13, -1
	s_and_saveexec_b32 s40, s41
; %bb.169:                              ;   in Loop: Header=BB6_130 Depth=2
	s_xor_b32 s13, exec_lo, -1
; %bb.170:                              ;   in Loop: Header=BB6_130 Depth=2
	s_or_b32 exec_lo, exec_lo, s40
	s_and_b32 s13, s13, exec_lo
	s_or_saveexec_b32 s29, s29
	v_mov_b32_e32 v119, 0x7f800001
	s_xor_b32 exec_lo, exec_lo, s29
	s_cbranch_execnz .LBB6_2441
.LBB6_171:                              ;   in Loop: Header=BB6_130 Depth=2
	s_or_b32 exec_lo, exec_lo, s29
	s_and_saveexec_b32 s29, s13
	s_cbranch_execz .LBB6_173
.LBB6_172:                              ;   in Loop: Header=BB6_130 Depth=2
	v_and_b32_sdwa v2, v59, v48 dst_sel:DWORD dst_unused:UNUSED_PAD src0_sel:DWORD src1_sel:BYTE_1
	v_and_b32_e32 v3, 3, v2
	v_bfe_u32 v40, v2, 2, 5
	v_ffbh_u32_e32 v30, v3
	v_cmp_eq_u32_e32 vcc_lo, 0, v40
	v_min_u32_e32 v30, 32, v30
	v_subrev_nc_u32_e32 v119, 29, v30
	v_sub_nc_u32_e32 v30, 30, v30
	v_lshlrev_b32_e32 v2, v119, v2
	v_lshlrev_b32_e32 v119, 16, v48
	v_cndmask_b32_e32 v30, v40, v30, vcc_lo
	v_and_b32_e32 v2, 3, v2
	v_lshl_add_u32 v30, v30, 23, 0x37800000
	v_cndmask_b32_e32 v2, v3, v2, vcc_lo
	v_and_b32_e32 v3, 0x80000000, v119
	v_lshlrev_b32_e32 v2, 21, v2
	v_or3_b32 v119, v3, v30, v2
.LBB6_173:                              ;   in Loop: Header=BB6_130 Depth=2
	s_or_b32 exec_lo, exec_lo, s29
	s_waitcnt vmcnt(3)
	v_cmp_gt_i16_sdwa s29, v36, v57 src0_sel:BYTE_1 src1_sel:DWORD
	s_mov_b32 s13, 0
	s_and_saveexec_b32 s40, s29
	s_xor_b32 s29, exec_lo, s40
	s_cbranch_execz .LBB6_2442
; %bb.174:                              ;   in Loop: Header=BB6_130 Depth=2
	v_cmp_eq_u16_sdwa s41, v36, v58 src0_sel:BYTE_1 src1_sel:DWORD
	s_mov_b32 s13, -1
	s_and_saveexec_b32 s40, s41
; %bb.175:                              ;   in Loop: Header=BB6_130 Depth=2
	s_xor_b32 s13, exec_lo, -1
; %bb.176:                              ;   in Loop: Header=BB6_130 Depth=2
	s_or_b32 exec_lo, exec_lo, s40
	s_and_b32 s13, s13, exec_lo
	s_or_saveexec_b32 s29, s29
	v_mov_b32_e32 v2, 0x7f800001
	s_xor_b32 exec_lo, exec_lo, s29
	s_cbranch_execnz .LBB6_2443
.LBB6_177:                              ;   in Loop: Header=BB6_130 Depth=2
	s_or_b32 exec_lo, exec_lo, s29
	s_and_saveexec_b32 s29, s13
	s_cbranch_execz .LBB6_179
.LBB6_178:                              ;   in Loop: Header=BB6_130 Depth=2
	v_and_b32_sdwa v2, v59, v36 dst_sel:DWORD dst_unused:UNUSED_PAD src0_sel:DWORD src1_sel:BYTE_1
	v_and_b32_e32 v3, 3, v2
	v_bfe_u32 v42, v2, 2, 5
	v_ffbh_u32_e32 v30, v3
	v_cmp_eq_u32_e32 vcc_lo, 0, v42
	v_min_u32_e32 v30, 32, v30
	v_subrev_nc_u32_e32 v40, 29, v30
	v_sub_nc_u32_e32 v30, 30, v30
	v_lshlrev_b32_e32 v2, v40, v2
	v_lshlrev_b32_e32 v40, 16, v36
	v_cndmask_b32_e32 v30, v42, v30, vcc_lo
	v_and_b32_e32 v2, 3, v2
	v_lshl_add_u32 v30, v30, 23, 0x37800000
	v_cndmask_b32_e32 v2, v3, v2, vcc_lo
	v_and_b32_e32 v3, 0x80000000, v40
	v_lshlrev_b32_e32 v2, 21, v2
	v_or3_b32 v2, v3, v30, v2
.LBB6_179:                              ;   in Loop: Header=BB6_130 Depth=2
	s_or_b32 exec_lo, exec_lo, s29
	v_max_f32_e32 v2, v2, v2
	v_max_f32_e32 v3, v119, v119
	s_mov_b32 s13, 0
	v_max_f32_e32 v119, v3, v2
.LBB6_180:                              ;   in Loop: Header=BB6_130 Depth=2
	s_and_b32 vcc_lo, exec_lo, s13
	s_cbranch_vccz .LBB6_194
; %bb.181:                              ;   in Loop: Header=BB6_130 Depth=2
	v_cmp_gt_i16_sdwa s29, v48, v57 src0_sel:BYTE_1 src1_sel:DWORD
	s_mov_b32 s13, 0
	s_and_saveexec_b32 s40, s29
	s_xor_b32 s29, exec_lo, s40
	s_cbranch_execz .LBB6_2444
; %bb.182:                              ;   in Loop: Header=BB6_130 Depth=2
	v_cmp_eq_u16_sdwa s41, v48, v58 src0_sel:BYTE_1 src1_sel:DWORD
	s_mov_b32 s13, -1
	s_and_saveexec_b32 s40, s41
; %bb.183:                              ;   in Loop: Header=BB6_130 Depth=2
	s_xor_b32 s13, exec_lo, -1
; %bb.184:                              ;   in Loop: Header=BB6_130 Depth=2
	s_or_b32 exec_lo, exec_lo, s40
	s_and_b32 s13, s13, exec_lo
	s_or_saveexec_b32 s29, s29
	v_mov_b32_e32 v119, 0x7f800001
	s_xor_b32 exec_lo, exec_lo, s29
	s_cbranch_execnz .LBB6_2445
.LBB6_185:                              ;   in Loop: Header=BB6_130 Depth=2
	s_or_b32 exec_lo, exec_lo, s29
	s_and_saveexec_b32 s29, s13
	s_cbranch_execz .LBB6_187
.LBB6_186:                              ;   in Loop: Header=BB6_130 Depth=2
	v_and_b32_sdwa v2, v59, v48 dst_sel:DWORD dst_unused:UNUSED_PAD src0_sel:DWORD src1_sel:BYTE_1
	v_and_b32_e32 v3, 3, v2
	v_bfe_u32 v40, v2, 2, 5
	v_ffbh_u32_e32 v30, v3
	v_cmp_eq_u32_e32 vcc_lo, 0, v40
	v_min_u32_e32 v30, 32, v30
	v_subrev_nc_u32_e32 v119, 29, v30
	v_sub_nc_u32_e32 v30, 30, v30
	v_lshlrev_b32_e32 v2, v119, v2
	v_lshlrev_b32_e32 v119, 16, v48
	v_cndmask_b32_e32 v30, v40, v30, vcc_lo
	v_and_b32_e32 v2, 3, v2
	v_lshl_add_u32 v30, v30, 23, 0x37800000
	v_cndmask_b32_e32 v2, v3, v2, vcc_lo
	v_and_b32_e32 v3, 0x80000000, v119
	v_lshlrev_b32_e32 v2, 21, v2
	v_or3_b32 v119, v3, v30, v2
.LBB6_187:                              ;   in Loop: Header=BB6_130 Depth=2
	s_or_b32 exec_lo, exec_lo, s29
	s_waitcnt vmcnt(3)
	v_cmp_gt_i16_sdwa s29, v36, v57 src0_sel:BYTE_1 src1_sel:DWORD
	s_mov_b32 s13, 0
	s_and_saveexec_b32 s40, s29
	s_xor_b32 s29, exec_lo, s40
	s_cbranch_execz .LBB6_2446
; %bb.188:                              ;   in Loop: Header=BB6_130 Depth=2
	v_cmp_eq_u16_sdwa s41, v36, v58 src0_sel:BYTE_1 src1_sel:DWORD
	s_mov_b32 s13, -1
	s_and_saveexec_b32 s40, s41
; %bb.189:                              ;   in Loop: Header=BB6_130 Depth=2
	s_xor_b32 s13, exec_lo, -1
; %bb.190:                              ;   in Loop: Header=BB6_130 Depth=2
	s_or_b32 exec_lo, exec_lo, s40
	s_and_b32 s13, s13, exec_lo
	s_or_saveexec_b32 s29, s29
	v_mov_b32_e32 v2, 0x7f800001
	s_xor_b32 exec_lo, exec_lo, s29
	s_cbranch_execnz .LBB6_2447
.LBB6_191:                              ;   in Loop: Header=BB6_130 Depth=2
	s_or_b32 exec_lo, exec_lo, s29
	s_and_saveexec_b32 s29, s13
	s_cbranch_execz .LBB6_193
.LBB6_192:                              ;   in Loop: Header=BB6_130 Depth=2
	v_and_b32_sdwa v2, v59, v36 dst_sel:DWORD dst_unused:UNUSED_PAD src0_sel:DWORD src1_sel:BYTE_1
	v_and_b32_e32 v3, 3, v2
	v_bfe_u32 v42, v2, 2, 5
	v_ffbh_u32_e32 v30, v3
	v_cmp_eq_u32_e32 vcc_lo, 0, v42
	v_min_u32_e32 v30, 32, v30
	v_subrev_nc_u32_e32 v40, 29, v30
	v_sub_nc_u32_e32 v30, 30, v30
	v_lshlrev_b32_e32 v2, v40, v2
	v_lshlrev_b32_e32 v40, 16, v36
	v_cndmask_b32_e32 v30, v42, v30, vcc_lo
	v_and_b32_e32 v2, 3, v2
	v_lshl_add_u32 v30, v30, 23, 0x37800000
	v_cndmask_b32_e32 v2, v3, v2, vcc_lo
	v_and_b32_e32 v3, 0x80000000, v40
	v_lshlrev_b32_e32 v2, 21, v2
	v_or3_b32 v2, v3, v30, v2
.LBB6_193:                              ;   in Loop: Header=BB6_130 Depth=2
	s_or_b32 exec_lo, exec_lo, s29
	v_max_f32_e32 v2, v2, v2
	v_max_f32_e32 v3, v119, v119
	v_min_f32_e32 v119, v3, v2
.LBB6_194:                              ;   in Loop: Header=BB6_130 Depth=2
	v_and_b32_e32 v2, 0x7f800000, v119
	v_mov_b32_e32 v72, 0x8000
	s_mov_b32 s29, exec_lo
	v_cmpx_ne_u32_e32 0x7f800000, v2
	s_cbranch_execz .LBB6_202
; %bb.195:                              ;   in Loop: Header=BB6_130 Depth=2
	v_mov_b32_e32 v72, 0
	s_mov_b32 s40, exec_lo
	v_cmpx_ne_u32_e32 0, v119
	s_cbranch_execz .LBB6_201
; %bb.196:                              ;   in Loop: Header=BB6_130 Depth=2
	v_bfe_u32 v2, v119, 23, 8
	v_and_b32_e32 v3, 0x7fffff, v119
	v_sub_nc_u32_e32 v30, 0x70, v2
	v_cmp_gt_u32_e32 vcc_lo, 0x71, v2
	v_or_b32_e32 v40, 0x800000, v3
	v_cndmask_b32_e32 v30, 0, v30, vcc_lo
	v_cmp_eq_u32_e32 vcc_lo, 0, v2
	v_add_nc_u32_e32 v2, 0xffffff91, v2
	v_cndmask_b32_e64 v30, v30, 0x6f, vcc_lo
	v_cndmask_b32_e32 v3, v40, v3, vcc_lo
	v_cndmask_b32_e64 v2, v2, 0xffffff92, vcc_lo
	v_lshl_add_u32 v42, 0x200000, v30, -1
	v_lshrrev_b32_e32 v40, v30, v3
	v_lshlrev_b32_e64 v73, v30, 0x100000
	v_add_nc_u32_e32 v2, v30, v2
	v_and_b32_e32 v3, v42, v3
	v_bfe_u32 v72, v40, 21, 1
	v_cmp_eq_u32_e64 s13, v3, v73
	v_add_nc_u32_e32 v42, -1, v72
	v_cndmask_b32_e64 v3, 0, v42, s13
	v_lshrrev_b32_e32 v42, 23, v40
	s_mov_b32 s13, exec_lo
	v_add_nc_u32_e32 v3, v3, v40
	v_and_b32_e32 v30, 0x1fffff, v3
	v_xor_b32_e32 v3, 1, v42
	v_add_nc_u32_e32 v40, v30, v40
                                        ; implicit-def: $vgpr30
	v_cmpx_ne_u32_e64 v2, v3
	s_xor_b32 s13, exec_lo, s13
; %bb.197:                              ;   in Loop: Header=BB6_130 Depth=2
	v_cmp_lt_u32_e32 vcc_lo, 0xffffff, v40
	v_sub_nc_u32_e32 v2, v2, v3
	v_cndmask_b32_e64 v3, 0, 1, vcc_lo
	v_add_co_ci_u32_e64 v30, null, 0, v2, vcc_lo
	v_lshrrev_b32_e32 v40, v3, v40
; %bb.198:                              ;   in Loop: Header=BB6_130 Depth=2
	s_andn2_saveexec_b32 s13, s13
; %bb.199:                              ;   in Loop: Header=BB6_130 Depth=2
	v_bfe_u32 v30, v40, 23, 1
; %bb.200:                              ;   in Loop: Header=BB6_130 Depth=2
	s_or_b32 exec_lo, exec_lo, s13
	v_lshrrev_b32_e32 v2, 21, v40
	v_min_i32_e32 v3, 31, v30
	v_cmp_gt_i32_e32 vcc_lo, 32, v30
	v_and_b32_sdwa v119, v119, v58 dst_sel:DWORD dst_unused:UNUSED_PAD src0_sel:BYTE_3 src1_sel:DWORD
	v_lshlrev_b32_e32 v3, 2, v3
	v_cndmask_b32_e32 v2, 3, v2, vcc_lo
	v_and_b32_e32 v3, 0xfc, v3
	v_and_b32_e32 v40, 3, v2
	v_or_b32_e32 v2, v30, v2
	v_or3_b32 v3, v119, v3, v40
	v_cmp_ne_u32_e32 vcc_lo, 0, v2
	v_lshlrev_b32_e32 v3, 8, v3
	v_cndmask_b32_e32 v72, 0, v3, vcc_lo
.LBB6_201:                              ;   in Loop: Header=BB6_130 Depth=2
	s_or_b32 exec_lo, exec_lo, s40
.LBB6_202:                              ;   in Loop: Header=BB6_130 Depth=2
	s_or_b32 exec_lo, exec_lo, s29
	v_and_b32_sdwa v119, v48, v60 dst_sel:DWORD dst_unused:UNUSED_PAD src0_sel:WORD_1 src1_sel:DWORD
	s_and_b32 vcc_lo, exec_lo, s28
	s_mov_b32 s29, -1
                                        ; implicit-def: $vgpr40
	v_cmp_lt_i16_e64 s13, 0x7f, v119
	s_cbranch_vccz .LBB6_216
; %bb.203:                              ;   in Loop: Header=BB6_130 Depth=2
	s_mov_b32 s29, 0
	s_and_saveexec_b32 s40, s13
	s_xor_b32 s13, exec_lo, s40
	s_cbranch_execz .LBB6_2448
; %bb.204:                              ;   in Loop: Header=BB6_130 Depth=2
	s_mov_b32 s29, -1
	s_mov_b32 s40, exec_lo
	v_cmpx_eq_u16_e32 0x80, v119
; %bb.205:                              ;   in Loop: Header=BB6_130 Depth=2
	s_xor_b32 s29, exec_lo, -1
; %bb.206:                              ;   in Loop: Header=BB6_130 Depth=2
	s_or_b32 exec_lo, exec_lo, s40
	s_and_b32 s29, s29, exec_lo
	s_or_saveexec_b32 s13, s13
	v_mov_b32_e32 v40, 0x7f800001
	s_xor_b32 exec_lo, exec_lo, s13
	s_cbranch_execnz .LBB6_2449
.LBB6_207:                              ;   in Loop: Header=BB6_130 Depth=2
	s_or_b32 exec_lo, exec_lo, s13
	s_and_saveexec_b32 s13, s29
	s_cbranch_execz .LBB6_209
.LBB6_208:                              ;   in Loop: Header=BB6_130 Depth=2
	v_bfe_u32 v2, v48, 16, 2
	v_bfe_u32 v40, v48, 18, 5
	v_lshlrev_b32_sdwa v42, v61, v48 dst_sel:DWORD dst_unused:UNUSED_PAD src0_sel:DWORD src1_sel:WORD_1
	v_ffbh_u32_e32 v3, v2
	v_cmp_eq_u32_e32 vcc_lo, 0, v40
	v_min_u32_e32 v3, 32, v3
	v_subrev_nc_u32_e32 v30, 29, v3
	v_sub_nc_u32_e32 v3, 30, v3
	v_lshlrev_b32_sdwa v30, v30, v48 dst_sel:DWORD dst_unused:UNUSED_PAD src0_sel:DWORD src1_sel:WORD_1
	v_cndmask_b32_e32 v3, v40, v3, vcc_lo
	v_and_b32_e32 v30, 3, v30
	v_lshl_add_u32 v3, v3, 23, 0x37800000
	v_cndmask_b32_e32 v2, v2, v30, vcc_lo
	v_and_b32_e32 v30, 0x80000000, v42
	v_lshlrev_b32_e32 v2, 21, v2
	v_or3_b32 v40, v30, v3, v2
.LBB6_209:                              ;   in Loop: Header=BB6_130 Depth=2
	s_or_b32 exec_lo, exec_lo, s13
	s_waitcnt vmcnt(3)
	v_and_b32_sdwa v3, v36, v60 dst_sel:DWORD dst_unused:UNUSED_PAD src0_sel:WORD_1 src1_sel:DWORD
	s_mov_b32 s13, 0
	s_mov_b32 s29, exec_lo
	v_cmpx_lt_i16_e32 0x7f, v3
	s_xor_b32 s29, exec_lo, s29
	s_cbranch_execz .LBB6_2450
; %bb.210:                              ;   in Loop: Header=BB6_130 Depth=2
	s_mov_b32 s13, -1
	s_mov_b32 s40, exec_lo
	v_cmpx_eq_u16_e32 0x80, v3
; %bb.211:                              ;   in Loop: Header=BB6_130 Depth=2
	s_xor_b32 s13, exec_lo, -1
; %bb.212:                              ;   in Loop: Header=BB6_130 Depth=2
	s_or_b32 exec_lo, exec_lo, s40
	s_and_b32 s13, s13, exec_lo
                                        ; implicit-def: $vgpr3
	s_or_saveexec_b32 s29, s29
	v_mov_b32_e32 v2, 0x7f800001
	s_xor_b32 exec_lo, exec_lo, s29
	s_cbranch_execnz .LBB6_2451
.LBB6_213:                              ;   in Loop: Header=BB6_130 Depth=2
	s_or_b32 exec_lo, exec_lo, s29
	s_and_saveexec_b32 s29, s13
	s_cbranch_execz .LBB6_215
.LBB6_214:                              ;   in Loop: Header=BB6_130 Depth=2
	v_bfe_u32 v2, v36, 16, 2
	v_bfe_u32 v42, v36, 18, 5
	v_lshlrev_b32_sdwa v73, v61, v36 dst_sel:DWORD dst_unused:UNUSED_PAD src0_sel:DWORD src1_sel:WORD_1
	v_ffbh_u32_e32 v3, v2
	v_cmp_eq_u32_e32 vcc_lo, 0, v42
	v_min_u32_e32 v3, 32, v3
	v_subrev_nc_u32_e32 v30, 29, v3
	v_sub_nc_u32_e32 v3, 30, v3
	v_lshlrev_b32_sdwa v30, v30, v36 dst_sel:DWORD dst_unused:UNUSED_PAD src0_sel:DWORD src1_sel:WORD_1
	v_cndmask_b32_e32 v3, v42, v3, vcc_lo
	v_and_b32_e32 v30, 3, v30
	v_lshl_add_u32 v3, v3, 23, 0x37800000
	v_cndmask_b32_e32 v2, v2, v30, vcc_lo
	v_and_b32_e32 v30, 0x80000000, v73
	v_lshlrev_b32_e32 v2, 21, v2
	v_or3_b32 v2, v30, v3, v2
.LBB6_215:                              ;   in Loop: Header=BB6_130 Depth=2
	s_or_b32 exec_lo, exec_lo, s29
	v_max_f32_e32 v2, v2, v2
	v_max_f32_e32 v3, v40, v40
	s_mov_b32 s29, 0
	v_max_f32_e32 v40, v3, v2
.LBB6_216:                              ;   in Loop: Header=BB6_130 Depth=2
	s_and_b32 vcc_lo, exec_lo, s29
	s_cbranch_vccz .LBB6_230
; %bb.217:                              ;   in Loop: Header=BB6_130 Depth=2
	s_mov_b32 s13, 0
	s_mov_b32 s29, exec_lo
	v_cmpx_lt_i16_e32 0x7f, v119
	s_xor_b32 s29, exec_lo, s29
	s_cbranch_execz .LBB6_2452
; %bb.218:                              ;   in Loop: Header=BB6_130 Depth=2
	s_mov_b32 s13, -1
	s_mov_b32 s40, exec_lo
	v_cmpx_eq_u16_e32 0x80, v119
; %bb.219:                              ;   in Loop: Header=BB6_130 Depth=2
	s_xor_b32 s13, exec_lo, -1
; %bb.220:                              ;   in Loop: Header=BB6_130 Depth=2
	s_or_b32 exec_lo, exec_lo, s40
	s_and_b32 s13, s13, exec_lo
                                        ; implicit-def: $vgpr119
	s_or_saveexec_b32 s29, s29
	v_mov_b32_e32 v40, 0x7f800001
	s_xor_b32 exec_lo, exec_lo, s29
	s_cbranch_execnz .LBB6_2453
.LBB6_221:                              ;   in Loop: Header=BB6_130 Depth=2
	s_or_b32 exec_lo, exec_lo, s29
	s_and_saveexec_b32 s29, s13
	s_cbranch_execz .LBB6_223
.LBB6_222:                              ;   in Loop: Header=BB6_130 Depth=2
	v_bfe_u32 v2, v48, 16, 2
	v_bfe_u32 v119, v48, 18, 5
	v_lshlrev_b32_sdwa v40, v61, v48 dst_sel:DWORD dst_unused:UNUSED_PAD src0_sel:DWORD src1_sel:WORD_1
	v_ffbh_u32_e32 v3, v2
	v_cmp_eq_u32_e32 vcc_lo, 0, v119
	v_min_u32_e32 v3, 32, v3
	v_subrev_nc_u32_e32 v30, 29, v3
	v_sub_nc_u32_e32 v3, 30, v3
	v_lshlrev_b32_sdwa v30, v30, v48 dst_sel:DWORD dst_unused:UNUSED_PAD src0_sel:DWORD src1_sel:WORD_1
	v_cndmask_b32_e32 v3, v119, v3, vcc_lo
	v_and_b32_e32 v30, 3, v30
	v_lshl_add_u32 v3, v3, 23, 0x37800000
	v_cndmask_b32_e32 v2, v2, v30, vcc_lo
	v_and_b32_e32 v30, 0x80000000, v40
	v_lshlrev_b32_e32 v2, 21, v2
	v_or3_b32 v40, v30, v3, v2
.LBB6_223:                              ;   in Loop: Header=BB6_130 Depth=2
	s_or_b32 exec_lo, exec_lo, s29
	s_waitcnt vmcnt(3)
	v_and_b32_sdwa v3, v36, v60 dst_sel:DWORD dst_unused:UNUSED_PAD src0_sel:WORD_1 src1_sel:DWORD
	s_mov_b32 s13, 0
	s_mov_b32 s29, exec_lo
	v_cmpx_lt_i16_e32 0x7f, v3
	s_xor_b32 s29, exec_lo, s29
	s_cbranch_execz .LBB6_2454
; %bb.224:                              ;   in Loop: Header=BB6_130 Depth=2
	s_mov_b32 s13, -1
	s_mov_b32 s40, exec_lo
	v_cmpx_eq_u16_e32 0x80, v3
; %bb.225:                              ;   in Loop: Header=BB6_130 Depth=2
	s_xor_b32 s13, exec_lo, -1
; %bb.226:                              ;   in Loop: Header=BB6_130 Depth=2
	s_or_b32 exec_lo, exec_lo, s40
	s_and_b32 s13, s13, exec_lo
                                        ; implicit-def: $vgpr3
	s_or_saveexec_b32 s29, s29
	v_mov_b32_e32 v2, 0x7f800001
	s_xor_b32 exec_lo, exec_lo, s29
	s_cbranch_execnz .LBB6_2455
.LBB6_227:                              ;   in Loop: Header=BB6_130 Depth=2
	s_or_b32 exec_lo, exec_lo, s29
	s_and_saveexec_b32 s29, s13
	s_cbranch_execz .LBB6_229
.LBB6_228:                              ;   in Loop: Header=BB6_130 Depth=2
	v_bfe_u32 v2, v36, 16, 2
	v_bfe_u32 v119, v36, 18, 5
	v_lshlrev_b32_sdwa v42, v61, v36 dst_sel:DWORD dst_unused:UNUSED_PAD src0_sel:DWORD src1_sel:WORD_1
	v_ffbh_u32_e32 v3, v2
	v_cmp_eq_u32_e32 vcc_lo, 0, v119
	v_min_u32_e32 v3, 32, v3
	v_subrev_nc_u32_e32 v30, 29, v3
	v_sub_nc_u32_e32 v3, 30, v3
	v_lshlrev_b32_sdwa v30, v30, v36 dst_sel:DWORD dst_unused:UNUSED_PAD src0_sel:DWORD src1_sel:WORD_1
	v_cndmask_b32_e32 v3, v119, v3, vcc_lo
	v_and_b32_e32 v30, 3, v30
	v_lshl_add_u32 v3, v3, 23, 0x37800000
	v_cndmask_b32_e32 v2, v2, v30, vcc_lo
	v_and_b32_e32 v30, 0x80000000, v42
	v_lshlrev_b32_e32 v2, 21, v2
	v_or3_b32 v2, v30, v3, v2
.LBB6_229:                              ;   in Loop: Header=BB6_130 Depth=2
	s_or_b32 exec_lo, exec_lo, s29
	v_max_f32_e32 v2, v2, v2
	v_max_f32_e32 v3, v40, v40
	v_min_f32_e32 v40, v3, v2
.LBB6_230:                              ;   in Loop: Header=BB6_130 Depth=2
	v_and_b32_e32 v2, 0x7f800000, v40
	v_mov_b32_e32 v73, 0x80
	s_mov_b32 s29, exec_lo
	v_cmpx_ne_u32_e32 0x7f800000, v2
	s_cbranch_execz .LBB6_238
; %bb.231:                              ;   in Loop: Header=BB6_130 Depth=2
	v_mov_b32_e32 v73, 0
	s_mov_b32 s40, exec_lo
	v_cmpx_ne_u32_e32 0, v40
	s_cbranch_execz .LBB6_237
; %bb.232:                              ;   in Loop: Header=BB6_130 Depth=2
	v_bfe_u32 v2, v40, 23, 8
	v_and_b32_e32 v3, 0x7fffff, v40
	v_sub_nc_u32_e32 v30, 0x70, v2
	v_cmp_gt_u32_e32 vcc_lo, 0x71, v2
	v_or_b32_e32 v119, 0x800000, v3
	v_cndmask_b32_e32 v30, 0, v30, vcc_lo
	v_cmp_eq_u32_e32 vcc_lo, 0, v2
	v_add_nc_u32_e32 v2, 0xffffff91, v2
	v_cndmask_b32_e64 v30, v30, 0x6f, vcc_lo
	v_cndmask_b32_e32 v3, v119, v3, vcc_lo
	v_cndmask_b32_e64 v2, v2, 0xffffff92, vcc_lo
	v_lshl_add_u32 v42, 0x200000, v30, -1
	v_lshrrev_b32_e32 v119, v30, v3
	v_lshlrev_b32_e64 v74, v30, 0x100000
	v_add_nc_u32_e32 v2, v30, v2
	v_and_b32_e32 v3, v42, v3
	v_bfe_u32 v73, v119, 21, 1
	v_cmp_eq_u32_e64 s13, v3, v74
	v_add_nc_u32_e32 v42, -1, v73
	v_cndmask_b32_e64 v3, 0, v42, s13
	v_lshrrev_b32_e32 v42, 23, v119
	s_mov_b32 s13, exec_lo
	v_add_nc_u32_e32 v3, v3, v119
	v_and_b32_e32 v30, 0x1fffff, v3
	v_xor_b32_e32 v3, 1, v42
	v_add_nc_u32_e32 v119, v30, v119
                                        ; implicit-def: $vgpr30
	v_cmpx_ne_u32_e64 v2, v3
	s_xor_b32 s13, exec_lo, s13
; %bb.233:                              ;   in Loop: Header=BB6_130 Depth=2
	v_cmp_lt_u32_e32 vcc_lo, 0xffffff, v119
	v_sub_nc_u32_e32 v2, v2, v3
	v_cndmask_b32_e64 v3, 0, 1, vcc_lo
	v_add_co_ci_u32_e64 v30, null, 0, v2, vcc_lo
	v_lshrrev_b32_e32 v119, v3, v119
; %bb.234:                              ;   in Loop: Header=BB6_130 Depth=2
	s_andn2_saveexec_b32 s13, s13
; %bb.235:                              ;   in Loop: Header=BB6_130 Depth=2
	v_bfe_u32 v30, v119, 23, 1
; %bb.236:                              ;   in Loop: Header=BB6_130 Depth=2
	s_or_b32 exec_lo, exec_lo, s13
	v_lshrrev_b32_e32 v2, 21, v119
	v_min_i32_e32 v3, 31, v30
	v_cmp_gt_i32_e32 vcc_lo, 32, v30
	v_and_b32_sdwa v119, v40, v58 dst_sel:DWORD dst_unused:UNUSED_PAD src0_sel:BYTE_3 src1_sel:DWORD
	v_lshlrev_b32_e32 v3, 2, v3
	v_cndmask_b32_e32 v2, 3, v2, vcc_lo
	v_and_b32_e32 v3, 0xfc, v3
	v_and_b32_e32 v40, 3, v2
	v_or_b32_e32 v2, v30, v2
	v_or3_b32 v3, v3, v119, v40
	v_cmp_ne_u32_e32 vcc_lo, 0, v2
	v_cndmask_b32_e32 v73, 0, v3, vcc_lo
.LBB6_237:                              ;   in Loop: Header=BB6_130 Depth=2
	s_or_b32 exec_lo, exec_lo, s40
.LBB6_238:                              ;   in Loop: Header=BB6_130 Depth=2
	s_or_b32 exec_lo, exec_lo, s29
	v_cmp_gt_i16_sdwa s29, v48, v57 src0_sel:BYTE_3 src1_sel:DWORD
	s_and_b32 vcc_lo, exec_lo, s28
	s_mov_b32 s13, -1
                                        ; implicit-def: $vgpr119
	s_cbranch_vccz .LBB6_252
; %bb.239:                              ;   in Loop: Header=BB6_130 Depth=2
	s_mov_b32 s13, 0
	s_and_saveexec_b32 s40, s29
	s_xor_b32 s29, exec_lo, s40
	s_cbranch_execz .LBB6_2456
; %bb.240:                              ;   in Loop: Header=BB6_130 Depth=2
	v_cmp_eq_u16_sdwa s41, v48, v58 src0_sel:BYTE_3 src1_sel:DWORD
	s_mov_b32 s13, -1
	s_and_saveexec_b32 s40, s41
; %bb.241:                              ;   in Loop: Header=BB6_130 Depth=2
	s_xor_b32 s13, exec_lo, -1
; %bb.242:                              ;   in Loop: Header=BB6_130 Depth=2
	s_or_b32 exec_lo, exec_lo, s40
	s_and_b32 s13, s13, exec_lo
	s_or_saveexec_b32 s29, s29
	v_mov_b32_e32 v119, 0x7f800001
	s_xor_b32 exec_lo, exec_lo, s29
	s_cbranch_execnz .LBB6_2457
.LBB6_243:                              ;   in Loop: Header=BB6_130 Depth=2
	s_or_b32 exec_lo, exec_lo, s29
	s_and_saveexec_b32 s29, s13
	s_cbranch_execz .LBB6_245
.LBB6_244:                              ;   in Loop: Header=BB6_130 Depth=2
	v_bfe_u32 v2, v48, 24, 2
	v_bfe_u32 v119, v48, 26, 5
	v_ffbh_u32_e32 v3, v2
	v_cmp_eq_u32_e32 vcc_lo, 0, v119
	v_min_u32_e32 v3, 32, v3
	v_subrev_nc_u32_e32 v30, 29, v3
	v_sub_nc_u32_e32 v3, 30, v3
	v_lshlrev_b32_sdwa v30, v30, v48 dst_sel:DWORD dst_unused:UNUSED_PAD src0_sel:DWORD src1_sel:BYTE_3
	v_cndmask_b32_e32 v3, v119, v3, vcc_lo
	v_and_b32_e32 v30, 3, v30
	v_lshl_add_u32 v3, v3, 23, 0x37800000
	v_cndmask_b32_e32 v2, v2, v30, vcc_lo
	v_and_b32_e32 v30, 0x80000000, v48
	v_lshlrev_b32_e32 v2, 21, v2
	v_or3_b32 v119, v30, v3, v2
.LBB6_245:                              ;   in Loop: Header=BB6_130 Depth=2
	s_or_b32 exec_lo, exec_lo, s29
	s_waitcnt vmcnt(3)
	v_cmp_gt_i16_sdwa s29, v36, v57 src0_sel:BYTE_3 src1_sel:DWORD
	s_mov_b32 s13, 0
	s_and_saveexec_b32 s40, s29
	s_xor_b32 s29, exec_lo, s40
	s_cbranch_execz .LBB6_2458
; %bb.246:                              ;   in Loop: Header=BB6_130 Depth=2
	v_cmp_eq_u16_sdwa s41, v36, v58 src0_sel:BYTE_3 src1_sel:DWORD
	s_mov_b32 s13, -1
	s_and_saveexec_b32 s40, s41
; %bb.247:                              ;   in Loop: Header=BB6_130 Depth=2
	s_xor_b32 s13, exec_lo, -1
; %bb.248:                              ;   in Loop: Header=BB6_130 Depth=2
	s_or_b32 exec_lo, exec_lo, s40
	s_and_b32 s13, s13, exec_lo
	s_or_saveexec_b32 s29, s29
	v_mov_b32_e32 v2, 0x7f800001
	s_xor_b32 exec_lo, exec_lo, s29
	s_cbranch_execnz .LBB6_2459
.LBB6_249:                              ;   in Loop: Header=BB6_130 Depth=2
	s_or_b32 exec_lo, exec_lo, s29
	s_and_saveexec_b32 s29, s13
	s_cbranch_execz .LBB6_251
.LBB6_250:                              ;   in Loop: Header=BB6_130 Depth=2
	v_bfe_u32 v2, v36, 24, 2
	v_bfe_u32 v40, v36, 26, 5
	v_ffbh_u32_e32 v3, v2
	v_cmp_eq_u32_e32 vcc_lo, 0, v40
	v_min_u32_e32 v3, 32, v3
	v_subrev_nc_u32_e32 v30, 29, v3
	v_sub_nc_u32_e32 v3, 30, v3
	v_lshlrev_b32_sdwa v30, v30, v36 dst_sel:DWORD dst_unused:UNUSED_PAD src0_sel:DWORD src1_sel:BYTE_3
	v_cndmask_b32_e32 v3, v40, v3, vcc_lo
	v_and_b32_e32 v30, 3, v30
	v_lshl_add_u32 v3, v3, 23, 0x37800000
	v_cndmask_b32_e32 v2, v2, v30, vcc_lo
	v_and_b32_e32 v30, 0x80000000, v36
	v_lshlrev_b32_e32 v2, 21, v2
	v_or3_b32 v2, v30, v3, v2
.LBB6_251:                              ;   in Loop: Header=BB6_130 Depth=2
	s_or_b32 exec_lo, exec_lo, s29
	v_max_f32_e32 v2, v2, v2
	v_max_f32_e32 v3, v119, v119
	s_mov_b32 s13, 0
	v_max_f32_e32 v119, v3, v2
.LBB6_252:                              ;   in Loop: Header=BB6_130 Depth=2
	s_and_b32 vcc_lo, exec_lo, s13
	s_cbranch_vccz .LBB6_266
; %bb.253:                              ;   in Loop: Header=BB6_130 Depth=2
	v_cmp_gt_i16_sdwa s29, v48, v57 src0_sel:BYTE_3 src1_sel:DWORD
	s_mov_b32 s13, 0
	s_and_saveexec_b32 s40, s29
	s_xor_b32 s29, exec_lo, s40
	s_cbranch_execz .LBB6_2460
; %bb.254:                              ;   in Loop: Header=BB6_130 Depth=2
	v_cmp_eq_u16_sdwa s41, v48, v58 src0_sel:BYTE_3 src1_sel:DWORD
	s_mov_b32 s13, -1
	s_and_saveexec_b32 s40, s41
; %bb.255:                              ;   in Loop: Header=BB6_130 Depth=2
	s_xor_b32 s13, exec_lo, -1
; %bb.256:                              ;   in Loop: Header=BB6_130 Depth=2
	s_or_b32 exec_lo, exec_lo, s40
	s_and_b32 s13, s13, exec_lo
	s_or_saveexec_b32 s29, s29
	v_mov_b32_e32 v119, 0x7f800001
	s_xor_b32 exec_lo, exec_lo, s29
	s_cbranch_execnz .LBB6_2461
.LBB6_257:                              ;   in Loop: Header=BB6_130 Depth=2
	s_or_b32 exec_lo, exec_lo, s29
	s_and_saveexec_b32 s29, s13
	s_cbranch_execz .LBB6_259
.LBB6_258:                              ;   in Loop: Header=BB6_130 Depth=2
	v_bfe_u32 v2, v48, 24, 2
	v_bfe_u32 v119, v48, 26, 5
	v_ffbh_u32_e32 v3, v2
	v_cmp_eq_u32_e32 vcc_lo, 0, v119
	v_min_u32_e32 v3, 32, v3
	v_subrev_nc_u32_e32 v30, 29, v3
	v_sub_nc_u32_e32 v3, 30, v3
	v_lshlrev_b32_sdwa v30, v30, v48 dst_sel:DWORD dst_unused:UNUSED_PAD src0_sel:DWORD src1_sel:BYTE_3
	v_cndmask_b32_e32 v3, v119, v3, vcc_lo
	v_and_b32_e32 v30, 3, v30
	v_lshl_add_u32 v3, v3, 23, 0x37800000
	v_cndmask_b32_e32 v2, v2, v30, vcc_lo
	v_and_b32_e32 v30, 0x80000000, v48
	v_lshlrev_b32_e32 v2, 21, v2
	v_or3_b32 v119, v30, v3, v2
.LBB6_259:                              ;   in Loop: Header=BB6_130 Depth=2
	s_or_b32 exec_lo, exec_lo, s29
	s_waitcnt vmcnt(3)
	v_cmp_gt_i16_sdwa s29, v36, v57 src0_sel:BYTE_3 src1_sel:DWORD
	s_mov_b32 s13, 0
	s_and_saveexec_b32 s40, s29
	s_xor_b32 s29, exec_lo, s40
	s_cbranch_execz .LBB6_2462
; %bb.260:                              ;   in Loop: Header=BB6_130 Depth=2
	v_cmp_eq_u16_sdwa s41, v36, v58 src0_sel:BYTE_3 src1_sel:DWORD
	s_mov_b32 s13, -1
	s_and_saveexec_b32 s40, s41
; %bb.261:                              ;   in Loop: Header=BB6_130 Depth=2
	s_xor_b32 s13, exec_lo, -1
; %bb.262:                              ;   in Loop: Header=BB6_130 Depth=2
	s_or_b32 exec_lo, exec_lo, s40
	s_and_b32 s13, s13, exec_lo
	s_or_saveexec_b32 s29, s29
	v_mov_b32_e32 v2, 0x7f800001
	s_xor_b32 exec_lo, exec_lo, s29
	s_cbranch_execnz .LBB6_2463
.LBB6_263:                              ;   in Loop: Header=BB6_130 Depth=2
	s_or_b32 exec_lo, exec_lo, s29
	s_and_saveexec_b32 s29, s13
	s_cbranch_execz .LBB6_265
.LBB6_264:                              ;   in Loop: Header=BB6_130 Depth=2
	v_bfe_u32 v2, v36, 24, 2
	v_bfe_u32 v48, v36, 26, 5
	v_ffbh_u32_e32 v3, v2
	v_cmp_eq_u32_e32 vcc_lo, 0, v48
	v_min_u32_e32 v3, 32, v3
	v_subrev_nc_u32_e32 v30, 29, v3
	v_sub_nc_u32_e32 v3, 30, v3
	v_lshlrev_b32_sdwa v30, v30, v36 dst_sel:DWORD dst_unused:UNUSED_PAD src0_sel:DWORD src1_sel:BYTE_3
	v_cndmask_b32_e32 v3, v48, v3, vcc_lo
	v_and_b32_e32 v30, 3, v30
	v_lshl_add_u32 v3, v3, 23, 0x37800000
	v_cndmask_b32_e32 v2, v2, v30, vcc_lo
	v_and_b32_e32 v30, 0x80000000, v36
	v_lshlrev_b32_e32 v2, 21, v2
	v_or3_b32 v2, v30, v3, v2
.LBB6_265:                              ;   in Loop: Header=BB6_130 Depth=2
	s_or_b32 exec_lo, exec_lo, s29
	v_max_f32_e32 v2, v2, v2
	v_max_f32_e32 v3, v119, v119
	v_min_f32_e32 v119, v3, v2
.LBB6_266:                              ;   in Loop: Header=BB6_130 Depth=2
	v_and_b32_e32 v2, 0x7f800000, v119
	s_waitcnt vmcnt(3)
	v_mov_b32_e32 v36, 0x8000
	s_mov_b32 s29, exec_lo
	v_cmpx_ne_u32_e32 0x7f800000, v2
	s_cbranch_execz .LBB6_274
; %bb.267:                              ;   in Loop: Header=BB6_130 Depth=2
	v_mov_b32_e32 v36, 0
	s_mov_b32 s40, exec_lo
	v_cmpx_ne_u32_e32 0, v119
	s_cbranch_execz .LBB6_273
; %bb.268:                              ;   in Loop: Header=BB6_130 Depth=2
	v_bfe_u32 v2, v119, 23, 8
	v_and_b32_e32 v3, 0x7fffff, v119
	v_sub_nc_u32_e32 v30, 0x70, v2
	v_cmp_gt_u32_e32 vcc_lo, 0x71, v2
	v_or_b32_e32 v36, 0x800000, v3
	v_cndmask_b32_e32 v30, 0, v30, vcc_lo
	v_cmp_eq_u32_e32 vcc_lo, 0, v2
	v_add_nc_u32_e32 v2, 0xffffff91, v2
	v_cndmask_b32_e64 v30, v30, 0x6f, vcc_lo
	v_cndmask_b32_e32 v3, v36, v3, vcc_lo
	v_cndmask_b32_e64 v2, v2, 0xffffff92, vcc_lo
	v_lshl_add_u32 v48, 0x200000, v30, -1
	v_lshrrev_b32_e32 v36, v30, v3
	v_lshlrev_b32_e64 v42, v30, 0x100000
	v_add_nc_u32_e32 v2, v30, v2
	v_and_b32_e32 v3, v48, v3
	v_bfe_u32 v40, v36, 21, 1
	v_cmp_eq_u32_e64 s13, v3, v42
	v_add_nc_u32_e32 v48, -1, v40
	v_cndmask_b32_e64 v3, 0, v48, s13
	v_lshrrev_b32_e32 v48, 23, v36
	s_mov_b32 s13, exec_lo
	v_add_nc_u32_e32 v3, v3, v36
	v_and_b32_e32 v30, 0x1fffff, v3
	v_xor_b32_e32 v3, 1, v48
	v_add_nc_u32_e32 v36, v30, v36
                                        ; implicit-def: $vgpr30
	v_cmpx_ne_u32_e64 v2, v3
	s_xor_b32 s13, exec_lo, s13
; %bb.269:                              ;   in Loop: Header=BB6_130 Depth=2
	v_cmp_lt_u32_e32 vcc_lo, 0xffffff, v36
	v_sub_nc_u32_e32 v2, v2, v3
	v_cndmask_b32_e64 v3, 0, 1, vcc_lo
	v_add_co_ci_u32_e64 v30, null, 0, v2, vcc_lo
	v_lshrrev_b32_e32 v36, v3, v36
; %bb.270:                              ;   in Loop: Header=BB6_130 Depth=2
	s_andn2_saveexec_b32 s13, s13
; %bb.271:                              ;   in Loop: Header=BB6_130 Depth=2
	v_bfe_u32 v30, v36, 23, 1
; %bb.272:                              ;   in Loop: Header=BB6_130 Depth=2
	s_or_b32 exec_lo, exec_lo, s13
	v_lshrrev_b32_e32 v2, 21, v36
	v_min_i32_e32 v3, 31, v30
	v_cmp_gt_i32_e32 vcc_lo, 32, v30
	v_and_b32_sdwa v36, v119, v58 dst_sel:DWORD dst_unused:UNUSED_PAD src0_sel:BYTE_3 src1_sel:DWORD
	v_lshlrev_b32_e32 v3, 2, v3
	v_cndmask_b32_e32 v2, 3, v2, vcc_lo
	v_and_b32_e32 v3, 0xfc, v3
	v_and_b32_e32 v48, 3, v2
	v_or_b32_e32 v2, v30, v2
	v_or3_b32 v3, v36, v3, v48
	v_cmp_ne_u32_e32 vcc_lo, 0, v2
	v_lshlrev_b32_e32 v3, 8, v3
	v_cndmask_b32_e32 v36, 0, v3, vcc_lo
.LBB6_273:                              ;   in Loop: Header=BB6_130 Depth=2
	s_or_b32 exec_lo, exec_lo, s40
.LBB6_274:                              ;   in Loop: Header=BB6_130 Depth=2
	s_or_b32 exec_lo, exec_lo, s29
	v_cmp_gt_i16_sdwa s29, v49, v57 src0_sel:BYTE_0 src1_sel:DWORD
	s_and_b32 vcc_lo, exec_lo, s28
	s_mov_b32 s13, -1
                                        ; implicit-def: $vgpr119
	s_cbranch_vccz .LBB6_288
; %bb.275:                              ;   in Loop: Header=BB6_130 Depth=2
	s_mov_b32 s13, 0
	s_and_saveexec_b32 s40, s29
	s_xor_b32 s29, exec_lo, s40
	s_cbranch_execz .LBB6_2464
; %bb.276:                              ;   in Loop: Header=BB6_130 Depth=2
	v_cmp_eq_u16_sdwa s41, v49, v58 src0_sel:BYTE_0 src1_sel:DWORD
	s_mov_b32 s13, -1
	s_and_saveexec_b32 s40, s41
; %bb.277:                              ;   in Loop: Header=BB6_130 Depth=2
	s_xor_b32 s13, exec_lo, -1
; %bb.278:                              ;   in Loop: Header=BB6_130 Depth=2
	s_or_b32 exec_lo, exec_lo, s40
	s_and_b32 s13, s13, exec_lo
	s_or_saveexec_b32 s29, s29
	v_mov_b32_e32 v48, 0x7f800001
	s_xor_b32 exec_lo, exec_lo, s29
	s_cbranch_execnz .LBB6_2465
.LBB6_279:                              ;   in Loop: Header=BB6_130 Depth=2
	s_or_b32 exec_lo, exec_lo, s29
	s_and_saveexec_b32 s29, s13
	s_cbranch_execz .LBB6_281
.LBB6_280:                              ;   in Loop: Header=BB6_130 Depth=2
	v_and_b32_e32 v2, 3, v49
	v_bfe_u32 v48, v49, 2, 5
	v_lshlrev_b32_e32 v119, 24, v49
	v_ffbh_u32_e32 v3, v2
	v_cmp_eq_u32_e32 vcc_lo, 0, v48
	v_min_u32_e32 v3, 32, v3
	v_subrev_nc_u32_e32 v30, 29, v3
	v_sub_nc_u32_e32 v3, 30, v3
	v_lshlrev_b32_e32 v30, v30, v49
	v_cndmask_b32_e32 v3, v48, v3, vcc_lo
	v_and_b32_e32 v30, 3, v30
	v_lshl_add_u32 v3, v3, 23, 0x37800000
	v_cndmask_b32_e32 v2, v2, v30, vcc_lo
	v_and_b32_e32 v30, 0x80000000, v119
	v_lshlrev_b32_e32 v2, 21, v2
	v_or3_b32 v48, v30, v3, v2
.LBB6_281:                              ;   in Loop: Header=BB6_130 Depth=2
	s_or_b32 exec_lo, exec_lo, s29
	v_cmp_gt_i16_sdwa s29, v37, v57 src0_sel:BYTE_0 src1_sel:DWORD
	s_mov_b32 s13, 0
	s_and_saveexec_b32 s40, s29
	s_xor_b32 s29, exec_lo, s40
	s_cbranch_execz .LBB6_2466
; %bb.282:                              ;   in Loop: Header=BB6_130 Depth=2
	v_cmp_eq_u16_sdwa s41, v37, v58 src0_sel:BYTE_0 src1_sel:DWORD
	s_mov_b32 s13, -1
	s_and_saveexec_b32 s40, s41
; %bb.283:                              ;   in Loop: Header=BB6_130 Depth=2
	s_xor_b32 s13, exec_lo, -1
; %bb.284:                              ;   in Loop: Header=BB6_130 Depth=2
	s_or_b32 exec_lo, exec_lo, s40
	s_and_b32 s13, s13, exec_lo
	s_or_saveexec_b32 s29, s29
	v_mov_b32_e32 v2, 0x7f800001
	s_xor_b32 exec_lo, exec_lo, s29
	s_cbranch_execnz .LBB6_2467
.LBB6_285:                              ;   in Loop: Header=BB6_130 Depth=2
	s_or_b32 exec_lo, exec_lo, s29
	s_and_saveexec_b32 s29, s13
	s_cbranch_execz .LBB6_287
.LBB6_286:                              ;   in Loop: Header=BB6_130 Depth=2
	v_and_b32_e32 v2, 3, v37
	v_bfe_u32 v119, v37, 2, 5
	v_lshlrev_b32_e32 v40, 24, v37
	v_ffbh_u32_e32 v3, v2
	v_cmp_eq_u32_e32 vcc_lo, 0, v119
	v_min_u32_e32 v3, 32, v3
	v_subrev_nc_u32_e32 v30, 29, v3
	v_sub_nc_u32_e32 v3, 30, v3
	v_lshlrev_b32_e32 v30, v30, v37
	v_cndmask_b32_e32 v3, v119, v3, vcc_lo
	v_and_b32_e32 v30, 3, v30
	v_lshl_add_u32 v3, v3, 23, 0x37800000
	v_cndmask_b32_e32 v2, v2, v30, vcc_lo
	v_and_b32_e32 v30, 0x80000000, v40
	v_lshlrev_b32_e32 v2, 21, v2
	v_or3_b32 v2, v30, v3, v2
.LBB6_287:                              ;   in Loop: Header=BB6_130 Depth=2
	s_or_b32 exec_lo, exec_lo, s29
	v_max_f32_e32 v2, v2, v2
	v_max_f32_e32 v3, v48, v48
	s_mov_b32 s13, 0
	v_max_f32_e32 v119, v3, v2
.LBB6_288:                              ;   in Loop: Header=BB6_130 Depth=2
	s_and_b32 vcc_lo, exec_lo, s13
	s_cbranch_vccz .LBB6_302
; %bb.289:                              ;   in Loop: Header=BB6_130 Depth=2
	v_cmp_gt_i16_sdwa s29, v49, v57 src0_sel:BYTE_0 src1_sel:DWORD
	s_mov_b32 s13, 0
	s_and_saveexec_b32 s40, s29
	s_xor_b32 s29, exec_lo, s40
	s_cbranch_execz .LBB6_2468
; %bb.290:                              ;   in Loop: Header=BB6_130 Depth=2
	v_cmp_eq_u16_sdwa s41, v49, v58 src0_sel:BYTE_0 src1_sel:DWORD
	s_mov_b32 s13, -1
	s_and_saveexec_b32 s40, s41
; %bb.291:                              ;   in Loop: Header=BB6_130 Depth=2
	s_xor_b32 s13, exec_lo, -1
; %bb.292:                              ;   in Loop: Header=BB6_130 Depth=2
	s_or_b32 exec_lo, exec_lo, s40
	s_and_b32 s13, s13, exec_lo
	s_or_saveexec_b32 s29, s29
	v_mov_b32_e32 v48, 0x7f800001
	s_xor_b32 exec_lo, exec_lo, s29
	s_cbranch_execnz .LBB6_2469
.LBB6_293:                              ;   in Loop: Header=BB6_130 Depth=2
	s_or_b32 exec_lo, exec_lo, s29
	s_and_saveexec_b32 s29, s13
	s_cbranch_execz .LBB6_295
.LBB6_294:                              ;   in Loop: Header=BB6_130 Depth=2
	v_and_b32_e32 v2, 3, v49
	v_bfe_u32 v48, v49, 2, 5
	v_lshlrev_b32_e32 v119, 24, v49
	v_ffbh_u32_e32 v3, v2
	v_cmp_eq_u32_e32 vcc_lo, 0, v48
	v_min_u32_e32 v3, 32, v3
	v_subrev_nc_u32_e32 v30, 29, v3
	v_sub_nc_u32_e32 v3, 30, v3
	v_lshlrev_b32_e32 v30, v30, v49
	v_cndmask_b32_e32 v3, v48, v3, vcc_lo
	v_and_b32_e32 v30, 3, v30
	v_lshl_add_u32 v3, v3, 23, 0x37800000
	v_cndmask_b32_e32 v2, v2, v30, vcc_lo
	v_and_b32_e32 v30, 0x80000000, v119
	v_lshlrev_b32_e32 v2, 21, v2
	v_or3_b32 v48, v30, v3, v2
.LBB6_295:                              ;   in Loop: Header=BB6_130 Depth=2
	s_or_b32 exec_lo, exec_lo, s29
	v_cmp_gt_i16_sdwa s29, v37, v57 src0_sel:BYTE_0 src1_sel:DWORD
	s_mov_b32 s13, 0
	s_and_saveexec_b32 s40, s29
	s_xor_b32 s29, exec_lo, s40
	s_cbranch_execz .LBB6_2470
; %bb.296:                              ;   in Loop: Header=BB6_130 Depth=2
	v_cmp_eq_u16_sdwa s41, v37, v58 src0_sel:BYTE_0 src1_sel:DWORD
	s_mov_b32 s13, -1
	s_and_saveexec_b32 s40, s41
; %bb.297:                              ;   in Loop: Header=BB6_130 Depth=2
	s_xor_b32 s13, exec_lo, -1
; %bb.298:                              ;   in Loop: Header=BB6_130 Depth=2
	s_or_b32 exec_lo, exec_lo, s40
	s_and_b32 s13, s13, exec_lo
	s_or_saveexec_b32 s29, s29
	v_mov_b32_e32 v2, 0x7f800001
	s_xor_b32 exec_lo, exec_lo, s29
	s_cbranch_execnz .LBB6_2471
.LBB6_299:                              ;   in Loop: Header=BB6_130 Depth=2
	s_or_b32 exec_lo, exec_lo, s29
	s_and_saveexec_b32 s29, s13
	s_cbranch_execz .LBB6_301
.LBB6_300:                              ;   in Loop: Header=BB6_130 Depth=2
	v_and_b32_e32 v2, 3, v37
	v_bfe_u32 v119, v37, 2, 5
	v_lshlrev_b32_e32 v40, 24, v37
	v_ffbh_u32_e32 v3, v2
	v_cmp_eq_u32_e32 vcc_lo, 0, v119
	v_min_u32_e32 v3, 32, v3
	v_subrev_nc_u32_e32 v30, 29, v3
	v_sub_nc_u32_e32 v3, 30, v3
	v_lshlrev_b32_e32 v30, v30, v37
	v_cndmask_b32_e32 v3, v119, v3, vcc_lo
	v_and_b32_e32 v30, 3, v30
	v_lshl_add_u32 v3, v3, 23, 0x37800000
	v_cndmask_b32_e32 v2, v2, v30, vcc_lo
	v_and_b32_e32 v30, 0x80000000, v40
	v_lshlrev_b32_e32 v2, 21, v2
	v_or3_b32 v2, v30, v3, v2
.LBB6_301:                              ;   in Loop: Header=BB6_130 Depth=2
	s_or_b32 exec_lo, exec_lo, s29
	v_max_f32_e32 v2, v2, v2
	v_max_f32_e32 v3, v48, v48
	v_min_f32_e32 v119, v3, v2
.LBB6_302:                              ;   in Loop: Header=BB6_130 Depth=2
	v_and_b32_e32 v2, 0x7f800000, v119
	v_mov_b32_e32 v48, 0x80
	s_mov_b32 s29, exec_lo
	v_cmpx_ne_u32_e32 0x7f800000, v2
	s_cbranch_execz .LBB6_310
; %bb.303:                              ;   in Loop: Header=BB6_130 Depth=2
	v_mov_b32_e32 v48, 0
	s_mov_b32 s40, exec_lo
	v_cmpx_ne_u32_e32 0, v119
	s_cbranch_execz .LBB6_309
; %bb.304:                              ;   in Loop: Header=BB6_130 Depth=2
	v_bfe_u32 v2, v119, 23, 8
	v_and_b32_e32 v3, 0x7fffff, v119
	v_sub_nc_u32_e32 v30, 0x70, v2
	v_cmp_gt_u32_e32 vcc_lo, 0x71, v2
	v_or_b32_e32 v48, 0x800000, v3
	v_cndmask_b32_e32 v30, 0, v30, vcc_lo
	v_cmp_eq_u32_e32 vcc_lo, 0, v2
	v_add_nc_u32_e32 v2, 0xffffff91, v2
	v_cndmask_b32_e64 v30, v30, 0x6f, vcc_lo
	v_cndmask_b32_e32 v3, v48, v3, vcc_lo
	v_cndmask_b32_e64 v2, v2, 0xffffff92, vcc_lo
	v_lshl_add_u32 v40, 0x200000, v30, -1
	v_lshrrev_b32_e32 v48, v30, v3
	v_lshlrev_b32_e64 v74, v30, 0x100000
	v_add_nc_u32_e32 v2, v30, v2
	v_and_b32_e32 v3, v40, v3
	v_bfe_u32 v42, v48, 21, 1
	v_cmp_eq_u32_e64 s13, v3, v74
	v_add_nc_u32_e32 v40, -1, v42
	v_cndmask_b32_e64 v3, 0, v40, s13
	v_lshrrev_b32_e32 v40, 23, v48
	s_mov_b32 s13, exec_lo
	v_add_nc_u32_e32 v3, v3, v48
	v_and_b32_e32 v30, 0x1fffff, v3
	v_xor_b32_e32 v3, 1, v40
	v_add_nc_u32_e32 v48, v30, v48
                                        ; implicit-def: $vgpr30
	v_cmpx_ne_u32_e64 v2, v3
	s_xor_b32 s13, exec_lo, s13
; %bb.305:                              ;   in Loop: Header=BB6_130 Depth=2
	v_cmp_lt_u32_e32 vcc_lo, 0xffffff, v48
	v_sub_nc_u32_e32 v2, v2, v3
	v_cndmask_b32_e64 v3, 0, 1, vcc_lo
	v_add_co_ci_u32_e64 v30, null, 0, v2, vcc_lo
	v_lshrrev_b32_e32 v48, v3, v48
; %bb.306:                              ;   in Loop: Header=BB6_130 Depth=2
	s_andn2_saveexec_b32 s13, s13
; %bb.307:                              ;   in Loop: Header=BB6_130 Depth=2
	v_bfe_u32 v30, v48, 23, 1
; %bb.308:                              ;   in Loop: Header=BB6_130 Depth=2
	s_or_b32 exec_lo, exec_lo, s13
	v_lshrrev_b32_e32 v2, 21, v48
	v_min_i32_e32 v3, 31, v30
	v_cmp_gt_i32_e32 vcc_lo, 32, v30
	v_and_b32_sdwa v48, v119, v58 dst_sel:DWORD dst_unused:UNUSED_PAD src0_sel:BYTE_3 src1_sel:DWORD
	v_lshlrev_b32_e32 v3, 2, v3
	v_cndmask_b32_e32 v2, 3, v2, vcc_lo
	v_and_b32_e32 v3, 0xfc, v3
	v_and_b32_e32 v119, 3, v2
	v_or_b32_e32 v2, v30, v2
	v_or3_b32 v3, v3, v48, v119
	v_cmp_ne_u32_e32 vcc_lo, 0, v2
	v_cndmask_b32_e32 v48, 0, v3, vcc_lo
.LBB6_309:                              ;   in Loop: Header=BB6_130 Depth=2
	s_or_b32 exec_lo, exec_lo, s40
.LBB6_310:                              ;   in Loop: Header=BB6_130 Depth=2
	s_or_b32 exec_lo, exec_lo, s29
	v_cmp_gt_i16_sdwa s29, v49, v57 src0_sel:BYTE_1 src1_sel:DWORD
	s_and_b32 vcc_lo, exec_lo, s28
	s_mov_b32 s13, -1
                                        ; implicit-def: $vgpr119
	s_cbranch_vccz .LBB6_324
; %bb.311:                              ;   in Loop: Header=BB6_130 Depth=2
	s_mov_b32 s13, 0
	s_and_saveexec_b32 s40, s29
	s_xor_b32 s29, exec_lo, s40
	s_cbranch_execz .LBB6_2472
; %bb.312:                              ;   in Loop: Header=BB6_130 Depth=2
	v_cmp_eq_u16_sdwa s41, v49, v58 src0_sel:BYTE_1 src1_sel:DWORD
	s_mov_b32 s13, -1
	s_and_saveexec_b32 s40, s41
; %bb.313:                              ;   in Loop: Header=BB6_130 Depth=2
	s_xor_b32 s13, exec_lo, -1
; %bb.314:                              ;   in Loop: Header=BB6_130 Depth=2
	s_or_b32 exec_lo, exec_lo, s40
	s_and_b32 s13, s13, exec_lo
	s_or_saveexec_b32 s29, s29
	v_mov_b32_e32 v119, 0x7f800001
	s_xor_b32 exec_lo, exec_lo, s29
	s_cbranch_execnz .LBB6_2473
.LBB6_315:                              ;   in Loop: Header=BB6_130 Depth=2
	s_or_b32 exec_lo, exec_lo, s29
	s_and_saveexec_b32 s29, s13
	s_cbranch_execz .LBB6_317
.LBB6_316:                              ;   in Loop: Header=BB6_130 Depth=2
	v_and_b32_sdwa v2, v59, v49 dst_sel:DWORD dst_unused:UNUSED_PAD src0_sel:DWORD src1_sel:BYTE_1
	v_and_b32_e32 v3, 3, v2
	v_bfe_u32 v40, v2, 2, 5
	v_ffbh_u32_e32 v30, v3
	v_cmp_eq_u32_e32 vcc_lo, 0, v40
	v_min_u32_e32 v30, 32, v30
	v_subrev_nc_u32_e32 v119, 29, v30
	v_sub_nc_u32_e32 v30, 30, v30
	v_lshlrev_b32_e32 v2, v119, v2
	v_lshlrev_b32_e32 v119, 16, v49
	v_cndmask_b32_e32 v30, v40, v30, vcc_lo
	v_and_b32_e32 v2, 3, v2
	v_lshl_add_u32 v30, v30, 23, 0x37800000
	v_cndmask_b32_e32 v2, v3, v2, vcc_lo
	v_and_b32_e32 v3, 0x80000000, v119
	v_lshlrev_b32_e32 v2, 21, v2
	v_or3_b32 v119, v3, v30, v2
.LBB6_317:                              ;   in Loop: Header=BB6_130 Depth=2
	s_or_b32 exec_lo, exec_lo, s29
	v_cmp_gt_i16_sdwa s29, v37, v57 src0_sel:BYTE_1 src1_sel:DWORD
	s_mov_b32 s13, 0
	s_and_saveexec_b32 s40, s29
	s_xor_b32 s29, exec_lo, s40
	s_cbranch_execz .LBB6_2474
; %bb.318:                              ;   in Loop: Header=BB6_130 Depth=2
	v_cmp_eq_u16_sdwa s41, v37, v58 src0_sel:BYTE_1 src1_sel:DWORD
	s_mov_b32 s13, -1
	s_and_saveexec_b32 s40, s41
; %bb.319:                              ;   in Loop: Header=BB6_130 Depth=2
	s_xor_b32 s13, exec_lo, -1
; %bb.320:                              ;   in Loop: Header=BB6_130 Depth=2
	s_or_b32 exec_lo, exec_lo, s40
	s_and_b32 s13, s13, exec_lo
	s_or_saveexec_b32 s29, s29
	v_mov_b32_e32 v2, 0x7f800001
	s_xor_b32 exec_lo, exec_lo, s29
	s_cbranch_execnz .LBB6_2475
.LBB6_321:                              ;   in Loop: Header=BB6_130 Depth=2
	s_or_b32 exec_lo, exec_lo, s29
	s_and_saveexec_b32 s29, s13
	s_cbranch_execz .LBB6_323
.LBB6_322:                              ;   in Loop: Header=BB6_130 Depth=2
	v_and_b32_sdwa v2, v59, v37 dst_sel:DWORD dst_unused:UNUSED_PAD src0_sel:DWORD src1_sel:BYTE_1
	v_and_b32_e32 v3, 3, v2
	v_bfe_u32 v42, v2, 2, 5
	v_ffbh_u32_e32 v30, v3
	v_cmp_eq_u32_e32 vcc_lo, 0, v42
	v_min_u32_e32 v30, 32, v30
	v_subrev_nc_u32_e32 v40, 29, v30
	v_sub_nc_u32_e32 v30, 30, v30
	v_lshlrev_b32_e32 v2, v40, v2
	v_lshlrev_b32_e32 v40, 16, v37
	v_cndmask_b32_e32 v30, v42, v30, vcc_lo
	v_and_b32_e32 v2, 3, v2
	v_lshl_add_u32 v30, v30, 23, 0x37800000
	v_cndmask_b32_e32 v2, v3, v2, vcc_lo
	v_and_b32_e32 v3, 0x80000000, v40
	v_lshlrev_b32_e32 v2, 21, v2
	v_or3_b32 v2, v3, v30, v2
.LBB6_323:                              ;   in Loop: Header=BB6_130 Depth=2
	s_or_b32 exec_lo, exec_lo, s29
	v_max_f32_e32 v2, v2, v2
	v_max_f32_e32 v3, v119, v119
	s_mov_b32 s13, 0
	v_max_f32_e32 v119, v3, v2
.LBB6_324:                              ;   in Loop: Header=BB6_130 Depth=2
	s_and_b32 vcc_lo, exec_lo, s13
	s_cbranch_vccz .LBB6_338
; %bb.325:                              ;   in Loop: Header=BB6_130 Depth=2
	v_cmp_gt_i16_sdwa s29, v49, v57 src0_sel:BYTE_1 src1_sel:DWORD
	s_mov_b32 s13, 0
	s_and_saveexec_b32 s40, s29
	s_xor_b32 s29, exec_lo, s40
	s_cbranch_execz .LBB6_2476
; %bb.326:                              ;   in Loop: Header=BB6_130 Depth=2
	v_cmp_eq_u16_sdwa s41, v49, v58 src0_sel:BYTE_1 src1_sel:DWORD
	s_mov_b32 s13, -1
	s_and_saveexec_b32 s40, s41
; %bb.327:                              ;   in Loop: Header=BB6_130 Depth=2
	s_xor_b32 s13, exec_lo, -1
; %bb.328:                              ;   in Loop: Header=BB6_130 Depth=2
	s_or_b32 exec_lo, exec_lo, s40
	s_and_b32 s13, s13, exec_lo
	s_or_saveexec_b32 s29, s29
	v_mov_b32_e32 v119, 0x7f800001
	s_xor_b32 exec_lo, exec_lo, s29
	s_cbranch_execnz .LBB6_2477
.LBB6_329:                              ;   in Loop: Header=BB6_130 Depth=2
	s_or_b32 exec_lo, exec_lo, s29
	s_and_saveexec_b32 s29, s13
	s_cbranch_execz .LBB6_331
.LBB6_330:                              ;   in Loop: Header=BB6_130 Depth=2
	v_and_b32_sdwa v2, v59, v49 dst_sel:DWORD dst_unused:UNUSED_PAD src0_sel:DWORD src1_sel:BYTE_1
	v_and_b32_e32 v3, 3, v2
	v_bfe_u32 v40, v2, 2, 5
	v_ffbh_u32_e32 v30, v3
	v_cmp_eq_u32_e32 vcc_lo, 0, v40
	v_min_u32_e32 v30, 32, v30
	v_subrev_nc_u32_e32 v119, 29, v30
	v_sub_nc_u32_e32 v30, 30, v30
	v_lshlrev_b32_e32 v2, v119, v2
	v_lshlrev_b32_e32 v119, 16, v49
	v_cndmask_b32_e32 v30, v40, v30, vcc_lo
	v_and_b32_e32 v2, 3, v2
	v_lshl_add_u32 v30, v30, 23, 0x37800000
	v_cndmask_b32_e32 v2, v3, v2, vcc_lo
	v_and_b32_e32 v3, 0x80000000, v119
	v_lshlrev_b32_e32 v2, 21, v2
	v_or3_b32 v119, v3, v30, v2
.LBB6_331:                              ;   in Loop: Header=BB6_130 Depth=2
	s_or_b32 exec_lo, exec_lo, s29
	v_cmp_gt_i16_sdwa s29, v37, v57 src0_sel:BYTE_1 src1_sel:DWORD
	s_mov_b32 s13, 0
	s_and_saveexec_b32 s40, s29
	s_xor_b32 s29, exec_lo, s40
	s_cbranch_execz .LBB6_2478
; %bb.332:                              ;   in Loop: Header=BB6_130 Depth=2
	v_cmp_eq_u16_sdwa s41, v37, v58 src0_sel:BYTE_1 src1_sel:DWORD
	s_mov_b32 s13, -1
	s_and_saveexec_b32 s40, s41
; %bb.333:                              ;   in Loop: Header=BB6_130 Depth=2
	s_xor_b32 s13, exec_lo, -1
; %bb.334:                              ;   in Loop: Header=BB6_130 Depth=2
	s_or_b32 exec_lo, exec_lo, s40
	s_and_b32 s13, s13, exec_lo
	s_or_saveexec_b32 s29, s29
	v_mov_b32_e32 v2, 0x7f800001
	s_xor_b32 exec_lo, exec_lo, s29
	s_cbranch_execnz .LBB6_2479
.LBB6_335:                              ;   in Loop: Header=BB6_130 Depth=2
	s_or_b32 exec_lo, exec_lo, s29
	s_and_saveexec_b32 s29, s13
	s_cbranch_execz .LBB6_337
.LBB6_336:                              ;   in Loop: Header=BB6_130 Depth=2
	v_and_b32_sdwa v2, v59, v37 dst_sel:DWORD dst_unused:UNUSED_PAD src0_sel:DWORD src1_sel:BYTE_1
	v_and_b32_e32 v3, 3, v2
	v_bfe_u32 v42, v2, 2, 5
	v_ffbh_u32_e32 v30, v3
	v_cmp_eq_u32_e32 vcc_lo, 0, v42
	v_min_u32_e32 v30, 32, v30
	v_subrev_nc_u32_e32 v40, 29, v30
	v_sub_nc_u32_e32 v30, 30, v30
	v_lshlrev_b32_e32 v2, v40, v2
	v_lshlrev_b32_e32 v40, 16, v37
	v_cndmask_b32_e32 v30, v42, v30, vcc_lo
	v_and_b32_e32 v2, 3, v2
	v_lshl_add_u32 v30, v30, 23, 0x37800000
	v_cndmask_b32_e32 v2, v3, v2, vcc_lo
	v_and_b32_e32 v3, 0x80000000, v40
	v_lshlrev_b32_e32 v2, 21, v2
	v_or3_b32 v2, v3, v30, v2
.LBB6_337:                              ;   in Loop: Header=BB6_130 Depth=2
	s_or_b32 exec_lo, exec_lo, s29
	v_max_f32_e32 v2, v2, v2
	v_max_f32_e32 v3, v119, v119
	v_min_f32_e32 v119, v3, v2
.LBB6_338:                              ;   in Loop: Header=BB6_130 Depth=2
	v_and_b32_e32 v2, 0x7f800000, v119
	v_mov_b32_e32 v74, 0x8000
	s_mov_b32 s29, exec_lo
	v_cmpx_ne_u32_e32 0x7f800000, v2
	s_cbranch_execz .LBB6_346
; %bb.339:                              ;   in Loop: Header=BB6_130 Depth=2
	v_mov_b32_e32 v74, 0
	s_mov_b32 s40, exec_lo
	v_cmpx_ne_u32_e32 0, v119
	s_cbranch_execz .LBB6_345
; %bb.340:                              ;   in Loop: Header=BB6_130 Depth=2
	v_bfe_u32 v2, v119, 23, 8
	v_and_b32_e32 v3, 0x7fffff, v119
	v_sub_nc_u32_e32 v30, 0x70, v2
	v_cmp_gt_u32_e32 vcc_lo, 0x71, v2
	v_or_b32_e32 v40, 0x800000, v3
	v_cndmask_b32_e32 v30, 0, v30, vcc_lo
	v_cmp_eq_u32_e32 vcc_lo, 0, v2
	v_add_nc_u32_e32 v2, 0xffffff91, v2
	v_cndmask_b32_e64 v30, v30, 0x6f, vcc_lo
	v_cndmask_b32_e32 v3, v40, v3, vcc_lo
	v_cndmask_b32_e64 v2, v2, 0xffffff92, vcc_lo
	v_lshl_add_u32 v42, 0x200000, v30, -1
	v_lshrrev_b32_e32 v40, v30, v3
	v_lshlrev_b32_e64 v75, v30, 0x100000
	v_add_nc_u32_e32 v2, v30, v2
	v_and_b32_e32 v3, v42, v3
	v_bfe_u32 v74, v40, 21, 1
	v_cmp_eq_u32_e64 s13, v3, v75
	v_add_nc_u32_e32 v42, -1, v74
	v_cndmask_b32_e64 v3, 0, v42, s13
	v_lshrrev_b32_e32 v42, 23, v40
	s_mov_b32 s13, exec_lo
	v_add_nc_u32_e32 v3, v3, v40
	v_and_b32_e32 v30, 0x1fffff, v3
	v_xor_b32_e32 v3, 1, v42
	v_add_nc_u32_e32 v40, v30, v40
                                        ; implicit-def: $vgpr30
	v_cmpx_ne_u32_e64 v2, v3
	s_xor_b32 s13, exec_lo, s13
; %bb.341:                              ;   in Loop: Header=BB6_130 Depth=2
	v_cmp_lt_u32_e32 vcc_lo, 0xffffff, v40
	v_sub_nc_u32_e32 v2, v2, v3
	v_cndmask_b32_e64 v3, 0, 1, vcc_lo
	v_add_co_ci_u32_e64 v30, null, 0, v2, vcc_lo
	v_lshrrev_b32_e32 v40, v3, v40
; %bb.342:                              ;   in Loop: Header=BB6_130 Depth=2
	s_andn2_saveexec_b32 s13, s13
; %bb.343:                              ;   in Loop: Header=BB6_130 Depth=2
	v_bfe_u32 v30, v40, 23, 1
; %bb.344:                              ;   in Loop: Header=BB6_130 Depth=2
	s_or_b32 exec_lo, exec_lo, s13
	v_lshrrev_b32_e32 v2, 21, v40
	v_min_i32_e32 v3, 31, v30
	v_cmp_gt_i32_e32 vcc_lo, 32, v30
	v_and_b32_sdwa v119, v119, v58 dst_sel:DWORD dst_unused:UNUSED_PAD src0_sel:BYTE_3 src1_sel:DWORD
	v_lshlrev_b32_e32 v3, 2, v3
	v_cndmask_b32_e32 v2, 3, v2, vcc_lo
	v_and_b32_e32 v3, 0xfc, v3
	v_and_b32_e32 v40, 3, v2
	v_or_b32_e32 v2, v30, v2
	v_or3_b32 v3, v119, v3, v40
	v_cmp_ne_u32_e32 vcc_lo, 0, v2
	v_lshlrev_b32_e32 v3, 8, v3
	v_cndmask_b32_e32 v74, 0, v3, vcc_lo
.LBB6_345:                              ;   in Loop: Header=BB6_130 Depth=2
	s_or_b32 exec_lo, exec_lo, s40
.LBB6_346:                              ;   in Loop: Header=BB6_130 Depth=2
	s_or_b32 exec_lo, exec_lo, s29
	v_and_b32_sdwa v119, v49, v60 dst_sel:DWORD dst_unused:UNUSED_PAD src0_sel:WORD_1 src1_sel:DWORD
	s_and_b32 vcc_lo, exec_lo, s28
	s_mov_b32 s29, -1
                                        ; implicit-def: $vgpr40
	v_cmp_lt_i16_e64 s13, 0x7f, v119
	s_cbranch_vccz .LBB6_360
; %bb.347:                              ;   in Loop: Header=BB6_130 Depth=2
	s_mov_b32 s29, 0
	s_and_saveexec_b32 s40, s13
	s_xor_b32 s13, exec_lo, s40
	s_cbranch_execz .LBB6_2480
; %bb.348:                              ;   in Loop: Header=BB6_130 Depth=2
	s_mov_b32 s29, -1
	s_mov_b32 s40, exec_lo
	v_cmpx_eq_u16_e32 0x80, v119
; %bb.349:                              ;   in Loop: Header=BB6_130 Depth=2
	s_xor_b32 s29, exec_lo, -1
; %bb.350:                              ;   in Loop: Header=BB6_130 Depth=2
	s_or_b32 exec_lo, exec_lo, s40
	s_and_b32 s29, s29, exec_lo
	s_or_saveexec_b32 s13, s13
	v_mov_b32_e32 v40, 0x7f800001
	s_xor_b32 exec_lo, exec_lo, s13
	s_cbranch_execnz .LBB6_2481
.LBB6_351:                              ;   in Loop: Header=BB6_130 Depth=2
	s_or_b32 exec_lo, exec_lo, s13
	s_and_saveexec_b32 s13, s29
	s_cbranch_execz .LBB6_353
.LBB6_352:                              ;   in Loop: Header=BB6_130 Depth=2
	v_bfe_u32 v2, v49, 16, 2
	v_bfe_u32 v40, v49, 18, 5
	v_lshlrev_b32_sdwa v42, v61, v49 dst_sel:DWORD dst_unused:UNUSED_PAD src0_sel:DWORD src1_sel:WORD_1
	v_ffbh_u32_e32 v3, v2
	v_cmp_eq_u32_e32 vcc_lo, 0, v40
	v_min_u32_e32 v3, 32, v3
	v_subrev_nc_u32_e32 v30, 29, v3
	v_sub_nc_u32_e32 v3, 30, v3
	v_lshlrev_b32_sdwa v30, v30, v49 dst_sel:DWORD dst_unused:UNUSED_PAD src0_sel:DWORD src1_sel:WORD_1
	v_cndmask_b32_e32 v3, v40, v3, vcc_lo
	v_and_b32_e32 v30, 3, v30
	v_lshl_add_u32 v3, v3, 23, 0x37800000
	v_cndmask_b32_e32 v2, v2, v30, vcc_lo
	v_and_b32_e32 v30, 0x80000000, v42
	v_lshlrev_b32_e32 v2, 21, v2
	v_or3_b32 v40, v30, v3, v2
.LBB6_353:                              ;   in Loop: Header=BB6_130 Depth=2
	s_or_b32 exec_lo, exec_lo, s13
	v_and_b32_sdwa v3, v37, v60 dst_sel:DWORD dst_unused:UNUSED_PAD src0_sel:WORD_1 src1_sel:DWORD
	s_mov_b32 s13, 0
	s_mov_b32 s29, exec_lo
	v_cmpx_lt_i16_e32 0x7f, v3
	s_xor_b32 s29, exec_lo, s29
	s_cbranch_execz .LBB6_2482
; %bb.354:                              ;   in Loop: Header=BB6_130 Depth=2
	s_mov_b32 s13, -1
	s_mov_b32 s40, exec_lo
	v_cmpx_eq_u16_e32 0x80, v3
; %bb.355:                              ;   in Loop: Header=BB6_130 Depth=2
	s_xor_b32 s13, exec_lo, -1
; %bb.356:                              ;   in Loop: Header=BB6_130 Depth=2
	s_or_b32 exec_lo, exec_lo, s40
	s_and_b32 s13, s13, exec_lo
                                        ; implicit-def: $vgpr3
	s_or_saveexec_b32 s29, s29
	v_mov_b32_e32 v2, 0x7f800001
	s_xor_b32 exec_lo, exec_lo, s29
	s_cbranch_execnz .LBB6_2483
.LBB6_357:                              ;   in Loop: Header=BB6_130 Depth=2
	s_or_b32 exec_lo, exec_lo, s29
	s_and_saveexec_b32 s29, s13
	s_cbranch_execz .LBB6_359
.LBB6_358:                              ;   in Loop: Header=BB6_130 Depth=2
	v_bfe_u32 v2, v37, 16, 2
	v_bfe_u32 v42, v37, 18, 5
	v_lshlrev_b32_sdwa v75, v61, v37 dst_sel:DWORD dst_unused:UNUSED_PAD src0_sel:DWORD src1_sel:WORD_1
	v_ffbh_u32_e32 v3, v2
	v_cmp_eq_u32_e32 vcc_lo, 0, v42
	v_min_u32_e32 v3, 32, v3
	v_subrev_nc_u32_e32 v30, 29, v3
	v_sub_nc_u32_e32 v3, 30, v3
	v_lshlrev_b32_sdwa v30, v30, v37 dst_sel:DWORD dst_unused:UNUSED_PAD src0_sel:DWORD src1_sel:WORD_1
	v_cndmask_b32_e32 v3, v42, v3, vcc_lo
	v_and_b32_e32 v30, 3, v30
	v_lshl_add_u32 v3, v3, 23, 0x37800000
	v_cndmask_b32_e32 v2, v2, v30, vcc_lo
	v_and_b32_e32 v30, 0x80000000, v75
	v_lshlrev_b32_e32 v2, 21, v2
	v_or3_b32 v2, v30, v3, v2
.LBB6_359:                              ;   in Loop: Header=BB6_130 Depth=2
	s_or_b32 exec_lo, exec_lo, s29
	v_max_f32_e32 v2, v2, v2
	v_max_f32_e32 v3, v40, v40
	s_mov_b32 s29, 0
	v_max_f32_e32 v40, v3, v2
.LBB6_360:                              ;   in Loop: Header=BB6_130 Depth=2
	s_and_b32 vcc_lo, exec_lo, s29
	s_cbranch_vccz .LBB6_374
; %bb.361:                              ;   in Loop: Header=BB6_130 Depth=2
	s_mov_b32 s13, 0
	s_mov_b32 s29, exec_lo
	v_cmpx_lt_i16_e32 0x7f, v119
	s_xor_b32 s29, exec_lo, s29
	s_cbranch_execz .LBB6_2484
; %bb.362:                              ;   in Loop: Header=BB6_130 Depth=2
	s_mov_b32 s13, -1
	s_mov_b32 s40, exec_lo
	v_cmpx_eq_u16_e32 0x80, v119
; %bb.363:                              ;   in Loop: Header=BB6_130 Depth=2
	s_xor_b32 s13, exec_lo, -1
; %bb.364:                              ;   in Loop: Header=BB6_130 Depth=2
	s_or_b32 exec_lo, exec_lo, s40
	s_and_b32 s13, s13, exec_lo
                                        ; implicit-def: $vgpr119
	s_or_saveexec_b32 s29, s29
	v_mov_b32_e32 v40, 0x7f800001
	s_xor_b32 exec_lo, exec_lo, s29
	s_cbranch_execnz .LBB6_2485
.LBB6_365:                              ;   in Loop: Header=BB6_130 Depth=2
	s_or_b32 exec_lo, exec_lo, s29
	s_and_saveexec_b32 s29, s13
	s_cbranch_execz .LBB6_367
.LBB6_366:                              ;   in Loop: Header=BB6_130 Depth=2
	v_bfe_u32 v2, v49, 16, 2
	v_bfe_u32 v119, v49, 18, 5
	v_lshlrev_b32_sdwa v40, v61, v49 dst_sel:DWORD dst_unused:UNUSED_PAD src0_sel:DWORD src1_sel:WORD_1
	v_ffbh_u32_e32 v3, v2
	v_cmp_eq_u32_e32 vcc_lo, 0, v119
	v_min_u32_e32 v3, 32, v3
	v_subrev_nc_u32_e32 v30, 29, v3
	v_sub_nc_u32_e32 v3, 30, v3
	v_lshlrev_b32_sdwa v30, v30, v49 dst_sel:DWORD dst_unused:UNUSED_PAD src0_sel:DWORD src1_sel:WORD_1
	v_cndmask_b32_e32 v3, v119, v3, vcc_lo
	v_and_b32_e32 v30, 3, v30
	v_lshl_add_u32 v3, v3, 23, 0x37800000
	v_cndmask_b32_e32 v2, v2, v30, vcc_lo
	v_and_b32_e32 v30, 0x80000000, v40
	v_lshlrev_b32_e32 v2, 21, v2
	v_or3_b32 v40, v30, v3, v2
.LBB6_367:                              ;   in Loop: Header=BB6_130 Depth=2
	s_or_b32 exec_lo, exec_lo, s29
	v_and_b32_sdwa v3, v37, v60 dst_sel:DWORD dst_unused:UNUSED_PAD src0_sel:WORD_1 src1_sel:DWORD
	s_mov_b32 s13, 0
	s_mov_b32 s29, exec_lo
	v_cmpx_lt_i16_e32 0x7f, v3
	s_xor_b32 s29, exec_lo, s29
	s_cbranch_execz .LBB6_2486
; %bb.368:                              ;   in Loop: Header=BB6_130 Depth=2
	s_mov_b32 s13, -1
	s_mov_b32 s40, exec_lo
	v_cmpx_eq_u16_e32 0x80, v3
; %bb.369:                              ;   in Loop: Header=BB6_130 Depth=2
	s_xor_b32 s13, exec_lo, -1
; %bb.370:                              ;   in Loop: Header=BB6_130 Depth=2
	s_or_b32 exec_lo, exec_lo, s40
	s_and_b32 s13, s13, exec_lo
                                        ; implicit-def: $vgpr3
	s_or_saveexec_b32 s29, s29
	v_mov_b32_e32 v2, 0x7f800001
	s_xor_b32 exec_lo, exec_lo, s29
	s_cbranch_execnz .LBB6_2487
.LBB6_371:                              ;   in Loop: Header=BB6_130 Depth=2
	s_or_b32 exec_lo, exec_lo, s29
	s_and_saveexec_b32 s29, s13
	s_cbranch_execz .LBB6_373
.LBB6_372:                              ;   in Loop: Header=BB6_130 Depth=2
	v_bfe_u32 v2, v37, 16, 2
	v_bfe_u32 v119, v37, 18, 5
	v_lshlrev_b32_sdwa v42, v61, v37 dst_sel:DWORD dst_unused:UNUSED_PAD src0_sel:DWORD src1_sel:WORD_1
	v_ffbh_u32_e32 v3, v2
	v_cmp_eq_u32_e32 vcc_lo, 0, v119
	v_min_u32_e32 v3, 32, v3
	v_subrev_nc_u32_e32 v30, 29, v3
	v_sub_nc_u32_e32 v3, 30, v3
	v_lshlrev_b32_sdwa v30, v30, v37 dst_sel:DWORD dst_unused:UNUSED_PAD src0_sel:DWORD src1_sel:WORD_1
	v_cndmask_b32_e32 v3, v119, v3, vcc_lo
	v_and_b32_e32 v30, 3, v30
	v_lshl_add_u32 v3, v3, 23, 0x37800000
	v_cndmask_b32_e32 v2, v2, v30, vcc_lo
	v_and_b32_e32 v30, 0x80000000, v42
	v_lshlrev_b32_e32 v2, 21, v2
	v_or3_b32 v2, v30, v3, v2
.LBB6_373:                              ;   in Loop: Header=BB6_130 Depth=2
	s_or_b32 exec_lo, exec_lo, s29
	v_max_f32_e32 v2, v2, v2
	v_max_f32_e32 v3, v40, v40
	v_min_f32_e32 v40, v3, v2
.LBB6_374:                              ;   in Loop: Header=BB6_130 Depth=2
	v_and_b32_e32 v2, 0x7f800000, v40
	v_mov_b32_e32 v75, 0x80
	s_mov_b32 s29, exec_lo
	v_cmpx_ne_u32_e32 0x7f800000, v2
	s_cbranch_execz .LBB6_382
; %bb.375:                              ;   in Loop: Header=BB6_130 Depth=2
	v_mov_b32_e32 v75, 0
	s_mov_b32 s40, exec_lo
	v_cmpx_ne_u32_e32 0, v40
	s_cbranch_execz .LBB6_381
; %bb.376:                              ;   in Loop: Header=BB6_130 Depth=2
	v_bfe_u32 v2, v40, 23, 8
	v_and_b32_e32 v3, 0x7fffff, v40
	v_sub_nc_u32_e32 v30, 0x70, v2
	v_cmp_gt_u32_e32 vcc_lo, 0x71, v2
	v_or_b32_e32 v119, 0x800000, v3
	v_cndmask_b32_e32 v30, 0, v30, vcc_lo
	v_cmp_eq_u32_e32 vcc_lo, 0, v2
	v_add_nc_u32_e32 v2, 0xffffff91, v2
	v_cndmask_b32_e64 v30, v30, 0x6f, vcc_lo
	v_cndmask_b32_e32 v3, v119, v3, vcc_lo
	v_cndmask_b32_e64 v2, v2, 0xffffff92, vcc_lo
	v_lshl_add_u32 v42, 0x200000, v30, -1
	v_lshrrev_b32_e32 v119, v30, v3
	v_lshlrev_b32_e64 v76, v30, 0x100000
	v_add_nc_u32_e32 v2, v30, v2
	v_and_b32_e32 v3, v42, v3
	v_bfe_u32 v75, v119, 21, 1
	v_cmp_eq_u32_e64 s13, v3, v76
	v_add_nc_u32_e32 v42, -1, v75
	v_cndmask_b32_e64 v3, 0, v42, s13
	v_lshrrev_b32_e32 v42, 23, v119
	s_mov_b32 s13, exec_lo
	v_add_nc_u32_e32 v3, v3, v119
	v_and_b32_e32 v30, 0x1fffff, v3
	v_xor_b32_e32 v3, 1, v42
	v_add_nc_u32_e32 v119, v30, v119
                                        ; implicit-def: $vgpr30
	v_cmpx_ne_u32_e64 v2, v3
	s_xor_b32 s13, exec_lo, s13
; %bb.377:                              ;   in Loop: Header=BB6_130 Depth=2
	v_cmp_lt_u32_e32 vcc_lo, 0xffffff, v119
	v_sub_nc_u32_e32 v2, v2, v3
	v_cndmask_b32_e64 v3, 0, 1, vcc_lo
	v_add_co_ci_u32_e64 v30, null, 0, v2, vcc_lo
	v_lshrrev_b32_e32 v119, v3, v119
; %bb.378:                              ;   in Loop: Header=BB6_130 Depth=2
	s_andn2_saveexec_b32 s13, s13
; %bb.379:                              ;   in Loop: Header=BB6_130 Depth=2
	v_bfe_u32 v30, v119, 23, 1
; %bb.380:                              ;   in Loop: Header=BB6_130 Depth=2
	s_or_b32 exec_lo, exec_lo, s13
	v_lshrrev_b32_e32 v2, 21, v119
	v_min_i32_e32 v3, 31, v30
	v_cmp_gt_i32_e32 vcc_lo, 32, v30
	v_and_b32_sdwa v119, v40, v58 dst_sel:DWORD dst_unused:UNUSED_PAD src0_sel:BYTE_3 src1_sel:DWORD
	v_lshlrev_b32_e32 v3, 2, v3
	v_cndmask_b32_e32 v2, 3, v2, vcc_lo
	v_and_b32_e32 v3, 0xfc, v3
	v_and_b32_e32 v40, 3, v2
	v_or_b32_e32 v2, v30, v2
	v_or3_b32 v3, v3, v119, v40
	v_cmp_ne_u32_e32 vcc_lo, 0, v2
	v_cndmask_b32_e32 v75, 0, v3, vcc_lo
.LBB6_381:                              ;   in Loop: Header=BB6_130 Depth=2
	s_or_b32 exec_lo, exec_lo, s40
.LBB6_382:                              ;   in Loop: Header=BB6_130 Depth=2
	s_or_b32 exec_lo, exec_lo, s29
	v_cmp_gt_i16_sdwa s29, v49, v57 src0_sel:BYTE_3 src1_sel:DWORD
	s_and_b32 vcc_lo, exec_lo, s28
	s_mov_b32 s13, -1
                                        ; implicit-def: $vgpr119
	s_cbranch_vccz .LBB6_396
; %bb.383:                              ;   in Loop: Header=BB6_130 Depth=2
	s_mov_b32 s13, 0
	s_and_saveexec_b32 s40, s29
	s_xor_b32 s29, exec_lo, s40
	s_cbranch_execz .LBB6_2488
; %bb.384:                              ;   in Loop: Header=BB6_130 Depth=2
	v_cmp_eq_u16_sdwa s41, v49, v58 src0_sel:BYTE_3 src1_sel:DWORD
	s_mov_b32 s13, -1
	s_and_saveexec_b32 s40, s41
; %bb.385:                              ;   in Loop: Header=BB6_130 Depth=2
	s_xor_b32 s13, exec_lo, -1
; %bb.386:                              ;   in Loop: Header=BB6_130 Depth=2
	s_or_b32 exec_lo, exec_lo, s40
	s_and_b32 s13, s13, exec_lo
	s_or_saveexec_b32 s29, s29
	v_mov_b32_e32 v119, 0x7f800001
	s_xor_b32 exec_lo, exec_lo, s29
	s_cbranch_execnz .LBB6_2489
.LBB6_387:                              ;   in Loop: Header=BB6_130 Depth=2
	s_or_b32 exec_lo, exec_lo, s29
	s_and_saveexec_b32 s29, s13
	s_cbranch_execz .LBB6_389
.LBB6_388:                              ;   in Loop: Header=BB6_130 Depth=2
	v_bfe_u32 v2, v49, 24, 2
	v_bfe_u32 v119, v49, 26, 5
	v_ffbh_u32_e32 v3, v2
	v_cmp_eq_u32_e32 vcc_lo, 0, v119
	v_min_u32_e32 v3, 32, v3
	v_subrev_nc_u32_e32 v30, 29, v3
	v_sub_nc_u32_e32 v3, 30, v3
	v_lshlrev_b32_sdwa v30, v30, v49 dst_sel:DWORD dst_unused:UNUSED_PAD src0_sel:DWORD src1_sel:BYTE_3
	v_cndmask_b32_e32 v3, v119, v3, vcc_lo
	v_and_b32_e32 v30, 3, v30
	v_lshl_add_u32 v3, v3, 23, 0x37800000
	v_cndmask_b32_e32 v2, v2, v30, vcc_lo
	v_and_b32_e32 v30, 0x80000000, v49
	v_lshlrev_b32_e32 v2, 21, v2
	v_or3_b32 v119, v30, v3, v2
.LBB6_389:                              ;   in Loop: Header=BB6_130 Depth=2
	s_or_b32 exec_lo, exec_lo, s29
	v_cmp_gt_i16_sdwa s29, v37, v57 src0_sel:BYTE_3 src1_sel:DWORD
	s_mov_b32 s13, 0
	s_and_saveexec_b32 s40, s29
	s_xor_b32 s29, exec_lo, s40
	s_cbranch_execz .LBB6_2490
; %bb.390:                              ;   in Loop: Header=BB6_130 Depth=2
	v_cmp_eq_u16_sdwa s41, v37, v58 src0_sel:BYTE_3 src1_sel:DWORD
	s_mov_b32 s13, -1
	s_and_saveexec_b32 s40, s41
; %bb.391:                              ;   in Loop: Header=BB6_130 Depth=2
	s_xor_b32 s13, exec_lo, -1
; %bb.392:                              ;   in Loop: Header=BB6_130 Depth=2
	s_or_b32 exec_lo, exec_lo, s40
	s_and_b32 s13, s13, exec_lo
	s_or_saveexec_b32 s29, s29
	v_mov_b32_e32 v2, 0x7f800001
	s_xor_b32 exec_lo, exec_lo, s29
	s_cbranch_execnz .LBB6_2491
.LBB6_393:                              ;   in Loop: Header=BB6_130 Depth=2
	s_or_b32 exec_lo, exec_lo, s29
	s_and_saveexec_b32 s29, s13
	s_cbranch_execz .LBB6_395
.LBB6_394:                              ;   in Loop: Header=BB6_130 Depth=2
	v_bfe_u32 v2, v37, 24, 2
	v_bfe_u32 v40, v37, 26, 5
	v_ffbh_u32_e32 v3, v2
	v_cmp_eq_u32_e32 vcc_lo, 0, v40
	v_min_u32_e32 v3, 32, v3
	v_subrev_nc_u32_e32 v30, 29, v3
	v_sub_nc_u32_e32 v3, 30, v3
	v_lshlrev_b32_sdwa v30, v30, v37 dst_sel:DWORD dst_unused:UNUSED_PAD src0_sel:DWORD src1_sel:BYTE_3
	v_cndmask_b32_e32 v3, v40, v3, vcc_lo
	v_and_b32_e32 v30, 3, v30
	v_lshl_add_u32 v3, v3, 23, 0x37800000
	v_cndmask_b32_e32 v2, v2, v30, vcc_lo
	v_and_b32_e32 v30, 0x80000000, v37
	v_lshlrev_b32_e32 v2, 21, v2
	v_or3_b32 v2, v30, v3, v2
.LBB6_395:                              ;   in Loop: Header=BB6_130 Depth=2
	s_or_b32 exec_lo, exec_lo, s29
	v_max_f32_e32 v2, v2, v2
	v_max_f32_e32 v3, v119, v119
	s_mov_b32 s13, 0
	v_max_f32_e32 v119, v3, v2
.LBB6_396:                              ;   in Loop: Header=BB6_130 Depth=2
	s_and_b32 vcc_lo, exec_lo, s13
	s_cbranch_vccz .LBB6_410
; %bb.397:                              ;   in Loop: Header=BB6_130 Depth=2
	v_cmp_gt_i16_sdwa s29, v49, v57 src0_sel:BYTE_3 src1_sel:DWORD
	s_mov_b32 s13, 0
	s_and_saveexec_b32 s40, s29
	s_xor_b32 s29, exec_lo, s40
	s_cbranch_execz .LBB6_2492
; %bb.398:                              ;   in Loop: Header=BB6_130 Depth=2
	v_cmp_eq_u16_sdwa s41, v49, v58 src0_sel:BYTE_3 src1_sel:DWORD
	s_mov_b32 s13, -1
	s_and_saveexec_b32 s40, s41
; %bb.399:                              ;   in Loop: Header=BB6_130 Depth=2
	s_xor_b32 s13, exec_lo, -1
; %bb.400:                              ;   in Loop: Header=BB6_130 Depth=2
	s_or_b32 exec_lo, exec_lo, s40
	s_and_b32 s13, s13, exec_lo
	s_or_saveexec_b32 s29, s29
	v_mov_b32_e32 v119, 0x7f800001
	s_xor_b32 exec_lo, exec_lo, s29
	s_cbranch_execnz .LBB6_2493
.LBB6_401:                              ;   in Loop: Header=BB6_130 Depth=2
	s_or_b32 exec_lo, exec_lo, s29
	s_and_saveexec_b32 s29, s13
	s_cbranch_execz .LBB6_403
.LBB6_402:                              ;   in Loop: Header=BB6_130 Depth=2
	v_bfe_u32 v2, v49, 24, 2
	v_bfe_u32 v119, v49, 26, 5
	v_ffbh_u32_e32 v3, v2
	v_cmp_eq_u32_e32 vcc_lo, 0, v119
	v_min_u32_e32 v3, 32, v3
	v_subrev_nc_u32_e32 v30, 29, v3
	v_sub_nc_u32_e32 v3, 30, v3
	v_lshlrev_b32_sdwa v30, v30, v49 dst_sel:DWORD dst_unused:UNUSED_PAD src0_sel:DWORD src1_sel:BYTE_3
	v_cndmask_b32_e32 v3, v119, v3, vcc_lo
	v_and_b32_e32 v30, 3, v30
	v_lshl_add_u32 v3, v3, 23, 0x37800000
	v_cndmask_b32_e32 v2, v2, v30, vcc_lo
	v_and_b32_e32 v30, 0x80000000, v49
	v_lshlrev_b32_e32 v2, 21, v2
	v_or3_b32 v119, v30, v3, v2
.LBB6_403:                              ;   in Loop: Header=BB6_130 Depth=2
	s_or_b32 exec_lo, exec_lo, s29
	v_cmp_gt_i16_sdwa s29, v37, v57 src0_sel:BYTE_3 src1_sel:DWORD
	s_mov_b32 s13, 0
	s_and_saveexec_b32 s40, s29
	s_xor_b32 s29, exec_lo, s40
	s_cbranch_execz .LBB6_2494
; %bb.404:                              ;   in Loop: Header=BB6_130 Depth=2
	v_cmp_eq_u16_sdwa s41, v37, v58 src0_sel:BYTE_3 src1_sel:DWORD
	s_mov_b32 s13, -1
	s_and_saveexec_b32 s40, s41
; %bb.405:                              ;   in Loop: Header=BB6_130 Depth=2
	s_xor_b32 s13, exec_lo, -1
; %bb.406:                              ;   in Loop: Header=BB6_130 Depth=2
	s_or_b32 exec_lo, exec_lo, s40
	s_and_b32 s13, s13, exec_lo
	s_or_saveexec_b32 s29, s29
	v_mov_b32_e32 v2, 0x7f800001
	s_xor_b32 exec_lo, exec_lo, s29
	s_cbranch_execnz .LBB6_2495
.LBB6_407:                              ;   in Loop: Header=BB6_130 Depth=2
	s_or_b32 exec_lo, exec_lo, s29
	s_and_saveexec_b32 s29, s13
	s_cbranch_execz .LBB6_409
.LBB6_408:                              ;   in Loop: Header=BB6_130 Depth=2
	v_bfe_u32 v2, v37, 24, 2
	v_bfe_u32 v49, v37, 26, 5
	v_ffbh_u32_e32 v3, v2
	v_cmp_eq_u32_e32 vcc_lo, 0, v49
	v_min_u32_e32 v3, 32, v3
	v_subrev_nc_u32_e32 v30, 29, v3
	v_sub_nc_u32_e32 v3, 30, v3
	v_lshlrev_b32_sdwa v30, v30, v37 dst_sel:DWORD dst_unused:UNUSED_PAD src0_sel:DWORD src1_sel:BYTE_3
	v_cndmask_b32_e32 v3, v49, v3, vcc_lo
	v_and_b32_e32 v30, 3, v30
	v_lshl_add_u32 v3, v3, 23, 0x37800000
	v_cndmask_b32_e32 v2, v2, v30, vcc_lo
	v_and_b32_e32 v30, 0x80000000, v37
	v_lshlrev_b32_e32 v2, 21, v2
	v_or3_b32 v2, v30, v3, v2
.LBB6_409:                              ;   in Loop: Header=BB6_130 Depth=2
	s_or_b32 exec_lo, exec_lo, s29
	v_max_f32_e32 v2, v2, v2
	v_max_f32_e32 v3, v119, v119
	v_min_f32_e32 v119, v3, v2
.LBB6_410:                              ;   in Loop: Header=BB6_130 Depth=2
	v_and_b32_e32 v2, 0x7f800000, v119
	v_mov_b32_e32 v37, 0x8000
	s_mov_b32 s29, exec_lo
	v_cmpx_ne_u32_e32 0x7f800000, v2
	s_cbranch_execz .LBB6_418
; %bb.411:                              ;   in Loop: Header=BB6_130 Depth=2
	v_mov_b32_e32 v37, 0
	s_mov_b32 s40, exec_lo
	v_cmpx_ne_u32_e32 0, v119
	s_cbranch_execz .LBB6_417
; %bb.412:                              ;   in Loop: Header=BB6_130 Depth=2
	v_bfe_u32 v2, v119, 23, 8
	v_and_b32_e32 v3, 0x7fffff, v119
	v_sub_nc_u32_e32 v30, 0x70, v2
	v_cmp_gt_u32_e32 vcc_lo, 0x71, v2
	v_or_b32_e32 v37, 0x800000, v3
	v_cndmask_b32_e32 v30, 0, v30, vcc_lo
	v_cmp_eq_u32_e32 vcc_lo, 0, v2
	v_add_nc_u32_e32 v2, 0xffffff91, v2
	v_cndmask_b32_e64 v30, v30, 0x6f, vcc_lo
	v_cndmask_b32_e32 v3, v37, v3, vcc_lo
	v_cndmask_b32_e64 v2, v2, 0xffffff92, vcc_lo
	v_lshl_add_u32 v49, 0x200000, v30, -1
	v_lshrrev_b32_e32 v37, v30, v3
	v_lshlrev_b32_e64 v42, v30, 0x100000
	v_add_nc_u32_e32 v2, v30, v2
	v_and_b32_e32 v3, v49, v3
	v_bfe_u32 v40, v37, 21, 1
	v_cmp_eq_u32_e64 s13, v3, v42
	v_add_nc_u32_e32 v49, -1, v40
	v_cndmask_b32_e64 v3, 0, v49, s13
	v_lshrrev_b32_e32 v49, 23, v37
	s_mov_b32 s13, exec_lo
	v_add_nc_u32_e32 v3, v3, v37
	v_and_b32_e32 v30, 0x1fffff, v3
	v_xor_b32_e32 v3, 1, v49
	v_add_nc_u32_e32 v37, v30, v37
                                        ; implicit-def: $vgpr30
	v_cmpx_ne_u32_e64 v2, v3
	s_xor_b32 s13, exec_lo, s13
; %bb.413:                              ;   in Loop: Header=BB6_130 Depth=2
	v_cmp_lt_u32_e32 vcc_lo, 0xffffff, v37
	v_sub_nc_u32_e32 v2, v2, v3
	v_cndmask_b32_e64 v3, 0, 1, vcc_lo
	v_add_co_ci_u32_e64 v30, null, 0, v2, vcc_lo
	v_lshrrev_b32_e32 v37, v3, v37
; %bb.414:                              ;   in Loop: Header=BB6_130 Depth=2
	s_andn2_saveexec_b32 s13, s13
; %bb.415:                              ;   in Loop: Header=BB6_130 Depth=2
	v_bfe_u32 v30, v37, 23, 1
; %bb.416:                              ;   in Loop: Header=BB6_130 Depth=2
	s_or_b32 exec_lo, exec_lo, s13
	v_lshrrev_b32_e32 v2, 21, v37
	v_min_i32_e32 v3, 31, v30
	v_cmp_gt_i32_e32 vcc_lo, 32, v30
	v_and_b32_sdwa v37, v119, v58 dst_sel:DWORD dst_unused:UNUSED_PAD src0_sel:BYTE_3 src1_sel:DWORD
	v_lshlrev_b32_e32 v3, 2, v3
	v_cndmask_b32_e32 v2, 3, v2, vcc_lo
	v_and_b32_e32 v3, 0xfc, v3
	v_and_b32_e32 v49, 3, v2
	v_or_b32_e32 v2, v30, v2
	v_or3_b32 v3, v37, v3, v49
	v_cmp_ne_u32_e32 vcc_lo, 0, v2
	v_lshlrev_b32_e32 v3, 8, v3
	v_cndmask_b32_e32 v37, 0, v3, vcc_lo
.LBB6_417:                              ;   in Loop: Header=BB6_130 Depth=2
	s_or_b32 exec_lo, exec_lo, s40
.LBB6_418:                              ;   in Loop: Header=BB6_130 Depth=2
	s_or_b32 exec_lo, exec_lo, s29
	v_cmp_gt_i16_sdwa s29, v50, v57 src0_sel:BYTE_0 src1_sel:DWORD
	s_and_b32 vcc_lo, exec_lo, s28
	s_mov_b32 s13, -1
                                        ; implicit-def: $vgpr119
	s_cbranch_vccz .LBB6_432
; %bb.419:                              ;   in Loop: Header=BB6_130 Depth=2
	s_mov_b32 s13, 0
	s_and_saveexec_b32 s40, s29
	s_xor_b32 s29, exec_lo, s40
	s_cbranch_execz .LBB6_2496
; %bb.420:                              ;   in Loop: Header=BB6_130 Depth=2
	v_cmp_eq_u16_sdwa s41, v50, v58 src0_sel:BYTE_0 src1_sel:DWORD
	s_mov_b32 s13, -1
	s_and_saveexec_b32 s40, s41
; %bb.421:                              ;   in Loop: Header=BB6_130 Depth=2
	s_xor_b32 s13, exec_lo, -1
; %bb.422:                              ;   in Loop: Header=BB6_130 Depth=2
	s_or_b32 exec_lo, exec_lo, s40
	s_and_b32 s13, s13, exec_lo
	s_or_saveexec_b32 s29, s29
	v_mov_b32_e32 v49, 0x7f800001
	s_xor_b32 exec_lo, exec_lo, s29
	s_cbranch_execnz .LBB6_2497
.LBB6_423:                              ;   in Loop: Header=BB6_130 Depth=2
	s_or_b32 exec_lo, exec_lo, s29
	s_and_saveexec_b32 s29, s13
	s_cbranch_execz .LBB6_425
.LBB6_424:                              ;   in Loop: Header=BB6_130 Depth=2
	v_and_b32_e32 v2, 3, v50
	v_bfe_u32 v49, v50, 2, 5
	v_lshlrev_b32_e32 v119, 24, v50
	v_ffbh_u32_e32 v3, v2
	v_cmp_eq_u32_e32 vcc_lo, 0, v49
	v_min_u32_e32 v3, 32, v3
	v_subrev_nc_u32_e32 v30, 29, v3
	v_sub_nc_u32_e32 v3, 30, v3
	v_lshlrev_b32_e32 v30, v30, v50
	v_cndmask_b32_e32 v3, v49, v3, vcc_lo
	v_and_b32_e32 v30, 3, v30
	v_lshl_add_u32 v3, v3, 23, 0x37800000
	v_cndmask_b32_e32 v2, v2, v30, vcc_lo
	v_and_b32_e32 v30, 0x80000000, v119
	v_lshlrev_b32_e32 v2, 21, v2
	v_or3_b32 v49, v30, v3, v2
.LBB6_425:                              ;   in Loop: Header=BB6_130 Depth=2
	s_or_b32 exec_lo, exec_lo, s29
	v_cmp_gt_i16_sdwa s29, v38, v57 src0_sel:BYTE_0 src1_sel:DWORD
	s_mov_b32 s13, 0
	s_and_saveexec_b32 s40, s29
	s_xor_b32 s29, exec_lo, s40
	s_cbranch_execz .LBB6_2498
; %bb.426:                              ;   in Loop: Header=BB6_130 Depth=2
	v_cmp_eq_u16_sdwa s41, v38, v58 src0_sel:BYTE_0 src1_sel:DWORD
	s_mov_b32 s13, -1
	s_and_saveexec_b32 s40, s41
; %bb.427:                              ;   in Loop: Header=BB6_130 Depth=2
	s_xor_b32 s13, exec_lo, -1
; %bb.428:                              ;   in Loop: Header=BB6_130 Depth=2
	s_or_b32 exec_lo, exec_lo, s40
	s_and_b32 s13, s13, exec_lo
	s_or_saveexec_b32 s29, s29
	v_mov_b32_e32 v2, 0x7f800001
	s_xor_b32 exec_lo, exec_lo, s29
	s_cbranch_execnz .LBB6_2499
.LBB6_429:                              ;   in Loop: Header=BB6_130 Depth=2
	s_or_b32 exec_lo, exec_lo, s29
	s_and_saveexec_b32 s29, s13
	s_cbranch_execz .LBB6_431
.LBB6_430:                              ;   in Loop: Header=BB6_130 Depth=2
	v_and_b32_e32 v2, 3, v38
	v_bfe_u32 v119, v38, 2, 5
	v_lshlrev_b32_e32 v40, 24, v38
	v_ffbh_u32_e32 v3, v2
	v_cmp_eq_u32_e32 vcc_lo, 0, v119
	v_min_u32_e32 v3, 32, v3
	v_subrev_nc_u32_e32 v30, 29, v3
	v_sub_nc_u32_e32 v3, 30, v3
	v_lshlrev_b32_e32 v30, v30, v38
	v_cndmask_b32_e32 v3, v119, v3, vcc_lo
	v_and_b32_e32 v30, 3, v30
	v_lshl_add_u32 v3, v3, 23, 0x37800000
	v_cndmask_b32_e32 v2, v2, v30, vcc_lo
	v_and_b32_e32 v30, 0x80000000, v40
	v_lshlrev_b32_e32 v2, 21, v2
	v_or3_b32 v2, v30, v3, v2
.LBB6_431:                              ;   in Loop: Header=BB6_130 Depth=2
	s_or_b32 exec_lo, exec_lo, s29
	v_max_f32_e32 v2, v2, v2
	v_max_f32_e32 v3, v49, v49
	s_mov_b32 s13, 0
	v_max_f32_e32 v119, v3, v2
.LBB6_432:                              ;   in Loop: Header=BB6_130 Depth=2
	s_and_b32 vcc_lo, exec_lo, s13
	s_cbranch_vccz .LBB6_446
; %bb.433:                              ;   in Loop: Header=BB6_130 Depth=2
	v_cmp_gt_i16_sdwa s29, v50, v57 src0_sel:BYTE_0 src1_sel:DWORD
	s_mov_b32 s13, 0
	s_and_saveexec_b32 s40, s29
	s_xor_b32 s29, exec_lo, s40
	s_cbranch_execz .LBB6_2500
; %bb.434:                              ;   in Loop: Header=BB6_130 Depth=2
	v_cmp_eq_u16_sdwa s41, v50, v58 src0_sel:BYTE_0 src1_sel:DWORD
	s_mov_b32 s13, -1
	s_and_saveexec_b32 s40, s41
; %bb.435:                              ;   in Loop: Header=BB6_130 Depth=2
	s_xor_b32 s13, exec_lo, -1
; %bb.436:                              ;   in Loop: Header=BB6_130 Depth=2
	s_or_b32 exec_lo, exec_lo, s40
	s_and_b32 s13, s13, exec_lo
	s_or_saveexec_b32 s29, s29
	v_mov_b32_e32 v49, 0x7f800001
	s_xor_b32 exec_lo, exec_lo, s29
	s_cbranch_execnz .LBB6_2501
.LBB6_437:                              ;   in Loop: Header=BB6_130 Depth=2
	s_or_b32 exec_lo, exec_lo, s29
	s_and_saveexec_b32 s29, s13
	s_cbranch_execz .LBB6_439
.LBB6_438:                              ;   in Loop: Header=BB6_130 Depth=2
	v_and_b32_e32 v2, 3, v50
	v_bfe_u32 v49, v50, 2, 5
	v_lshlrev_b32_e32 v119, 24, v50
	v_ffbh_u32_e32 v3, v2
	v_cmp_eq_u32_e32 vcc_lo, 0, v49
	v_min_u32_e32 v3, 32, v3
	v_subrev_nc_u32_e32 v30, 29, v3
	v_sub_nc_u32_e32 v3, 30, v3
	v_lshlrev_b32_e32 v30, v30, v50
	v_cndmask_b32_e32 v3, v49, v3, vcc_lo
	v_and_b32_e32 v30, 3, v30
	v_lshl_add_u32 v3, v3, 23, 0x37800000
	v_cndmask_b32_e32 v2, v2, v30, vcc_lo
	v_and_b32_e32 v30, 0x80000000, v119
	v_lshlrev_b32_e32 v2, 21, v2
	v_or3_b32 v49, v30, v3, v2
.LBB6_439:                              ;   in Loop: Header=BB6_130 Depth=2
	s_or_b32 exec_lo, exec_lo, s29
	v_cmp_gt_i16_sdwa s29, v38, v57 src0_sel:BYTE_0 src1_sel:DWORD
	s_mov_b32 s13, 0
	s_and_saveexec_b32 s40, s29
	s_xor_b32 s29, exec_lo, s40
	s_cbranch_execz .LBB6_2502
; %bb.440:                              ;   in Loop: Header=BB6_130 Depth=2
	v_cmp_eq_u16_sdwa s41, v38, v58 src0_sel:BYTE_0 src1_sel:DWORD
	s_mov_b32 s13, -1
	s_and_saveexec_b32 s40, s41
; %bb.441:                              ;   in Loop: Header=BB6_130 Depth=2
	s_xor_b32 s13, exec_lo, -1
; %bb.442:                              ;   in Loop: Header=BB6_130 Depth=2
	s_or_b32 exec_lo, exec_lo, s40
	s_and_b32 s13, s13, exec_lo
	s_or_saveexec_b32 s29, s29
	v_mov_b32_e32 v2, 0x7f800001
	s_xor_b32 exec_lo, exec_lo, s29
	s_cbranch_execnz .LBB6_2503
.LBB6_443:                              ;   in Loop: Header=BB6_130 Depth=2
	s_or_b32 exec_lo, exec_lo, s29
	s_and_saveexec_b32 s29, s13
	s_cbranch_execz .LBB6_445
.LBB6_444:                              ;   in Loop: Header=BB6_130 Depth=2
	v_and_b32_e32 v2, 3, v38
	v_bfe_u32 v119, v38, 2, 5
	v_lshlrev_b32_e32 v40, 24, v38
	v_ffbh_u32_e32 v3, v2
	v_cmp_eq_u32_e32 vcc_lo, 0, v119
	v_min_u32_e32 v3, 32, v3
	v_subrev_nc_u32_e32 v30, 29, v3
	v_sub_nc_u32_e32 v3, 30, v3
	v_lshlrev_b32_e32 v30, v30, v38
	v_cndmask_b32_e32 v3, v119, v3, vcc_lo
	v_and_b32_e32 v30, 3, v30
	v_lshl_add_u32 v3, v3, 23, 0x37800000
	v_cndmask_b32_e32 v2, v2, v30, vcc_lo
	v_and_b32_e32 v30, 0x80000000, v40
	v_lshlrev_b32_e32 v2, 21, v2
	v_or3_b32 v2, v30, v3, v2
.LBB6_445:                              ;   in Loop: Header=BB6_130 Depth=2
	s_or_b32 exec_lo, exec_lo, s29
	v_max_f32_e32 v2, v2, v2
	v_max_f32_e32 v3, v49, v49
	v_min_f32_e32 v119, v3, v2
.LBB6_446:                              ;   in Loop: Header=BB6_130 Depth=2
	v_and_b32_e32 v2, 0x7f800000, v119
	v_mov_b32_e32 v49, 0x80
	s_mov_b32 s29, exec_lo
	v_cmpx_ne_u32_e32 0x7f800000, v2
	s_cbranch_execz .LBB6_454
; %bb.447:                              ;   in Loop: Header=BB6_130 Depth=2
	v_mov_b32_e32 v49, 0
	s_mov_b32 s40, exec_lo
	v_cmpx_ne_u32_e32 0, v119
	s_cbranch_execz .LBB6_453
; %bb.448:                              ;   in Loop: Header=BB6_130 Depth=2
	v_bfe_u32 v2, v119, 23, 8
	v_and_b32_e32 v3, 0x7fffff, v119
	v_sub_nc_u32_e32 v30, 0x70, v2
	v_cmp_gt_u32_e32 vcc_lo, 0x71, v2
	v_or_b32_e32 v49, 0x800000, v3
	v_cndmask_b32_e32 v30, 0, v30, vcc_lo
	v_cmp_eq_u32_e32 vcc_lo, 0, v2
	v_add_nc_u32_e32 v2, 0xffffff91, v2
	v_cndmask_b32_e64 v30, v30, 0x6f, vcc_lo
	v_cndmask_b32_e32 v3, v49, v3, vcc_lo
	v_cndmask_b32_e64 v2, v2, 0xffffff92, vcc_lo
	v_lshl_add_u32 v40, 0x200000, v30, -1
	v_lshrrev_b32_e32 v49, v30, v3
	v_lshlrev_b32_e64 v76, v30, 0x100000
	v_add_nc_u32_e32 v2, v30, v2
	v_and_b32_e32 v3, v40, v3
	v_bfe_u32 v42, v49, 21, 1
	v_cmp_eq_u32_e64 s13, v3, v76
	v_add_nc_u32_e32 v40, -1, v42
	v_cndmask_b32_e64 v3, 0, v40, s13
	v_lshrrev_b32_e32 v40, 23, v49
	s_mov_b32 s13, exec_lo
	v_add_nc_u32_e32 v3, v3, v49
	v_and_b32_e32 v30, 0x1fffff, v3
	v_xor_b32_e32 v3, 1, v40
	v_add_nc_u32_e32 v49, v30, v49
                                        ; implicit-def: $vgpr30
	v_cmpx_ne_u32_e64 v2, v3
	s_xor_b32 s13, exec_lo, s13
; %bb.449:                              ;   in Loop: Header=BB6_130 Depth=2
	v_cmp_lt_u32_e32 vcc_lo, 0xffffff, v49
	v_sub_nc_u32_e32 v2, v2, v3
	v_cndmask_b32_e64 v3, 0, 1, vcc_lo
	v_add_co_ci_u32_e64 v30, null, 0, v2, vcc_lo
	v_lshrrev_b32_e32 v49, v3, v49
; %bb.450:                              ;   in Loop: Header=BB6_130 Depth=2
	s_andn2_saveexec_b32 s13, s13
; %bb.451:                              ;   in Loop: Header=BB6_130 Depth=2
	v_bfe_u32 v30, v49, 23, 1
; %bb.452:                              ;   in Loop: Header=BB6_130 Depth=2
	s_or_b32 exec_lo, exec_lo, s13
	v_lshrrev_b32_e32 v2, 21, v49
	v_min_i32_e32 v3, 31, v30
	v_cmp_gt_i32_e32 vcc_lo, 32, v30
	v_and_b32_sdwa v49, v119, v58 dst_sel:DWORD dst_unused:UNUSED_PAD src0_sel:BYTE_3 src1_sel:DWORD
	v_lshlrev_b32_e32 v3, 2, v3
	v_cndmask_b32_e32 v2, 3, v2, vcc_lo
	v_and_b32_e32 v3, 0xfc, v3
	v_and_b32_e32 v119, 3, v2
	v_or_b32_e32 v2, v30, v2
	v_or3_b32 v3, v3, v49, v119
	v_cmp_ne_u32_e32 vcc_lo, 0, v2
	v_cndmask_b32_e32 v49, 0, v3, vcc_lo
.LBB6_453:                              ;   in Loop: Header=BB6_130 Depth=2
	s_or_b32 exec_lo, exec_lo, s40
.LBB6_454:                              ;   in Loop: Header=BB6_130 Depth=2
	s_or_b32 exec_lo, exec_lo, s29
	v_cmp_gt_i16_sdwa s29, v50, v57 src0_sel:BYTE_1 src1_sel:DWORD
	s_and_b32 vcc_lo, exec_lo, s28
	s_mov_b32 s13, -1
                                        ; implicit-def: $vgpr119
	s_cbranch_vccz .LBB6_468
; %bb.455:                              ;   in Loop: Header=BB6_130 Depth=2
	s_mov_b32 s13, 0
	s_and_saveexec_b32 s40, s29
	s_xor_b32 s29, exec_lo, s40
	s_cbranch_execz .LBB6_2504
; %bb.456:                              ;   in Loop: Header=BB6_130 Depth=2
	v_cmp_eq_u16_sdwa s41, v50, v58 src0_sel:BYTE_1 src1_sel:DWORD
	s_mov_b32 s13, -1
	s_and_saveexec_b32 s40, s41
; %bb.457:                              ;   in Loop: Header=BB6_130 Depth=2
	s_xor_b32 s13, exec_lo, -1
; %bb.458:                              ;   in Loop: Header=BB6_130 Depth=2
	s_or_b32 exec_lo, exec_lo, s40
	s_and_b32 s13, s13, exec_lo
	s_or_saveexec_b32 s29, s29
	v_mov_b32_e32 v119, 0x7f800001
	s_xor_b32 exec_lo, exec_lo, s29
	s_cbranch_execnz .LBB6_2505
.LBB6_459:                              ;   in Loop: Header=BB6_130 Depth=2
	s_or_b32 exec_lo, exec_lo, s29
	s_and_saveexec_b32 s29, s13
	s_cbranch_execz .LBB6_461
.LBB6_460:                              ;   in Loop: Header=BB6_130 Depth=2
	v_and_b32_sdwa v2, v59, v50 dst_sel:DWORD dst_unused:UNUSED_PAD src0_sel:DWORD src1_sel:BYTE_1
	v_and_b32_e32 v3, 3, v2
	v_bfe_u32 v40, v2, 2, 5
	v_ffbh_u32_e32 v30, v3
	v_cmp_eq_u32_e32 vcc_lo, 0, v40
	v_min_u32_e32 v30, 32, v30
	v_subrev_nc_u32_e32 v119, 29, v30
	v_sub_nc_u32_e32 v30, 30, v30
	v_lshlrev_b32_e32 v2, v119, v2
	v_lshlrev_b32_e32 v119, 16, v50
	v_cndmask_b32_e32 v30, v40, v30, vcc_lo
	v_and_b32_e32 v2, 3, v2
	v_lshl_add_u32 v30, v30, 23, 0x37800000
	v_cndmask_b32_e32 v2, v3, v2, vcc_lo
	v_and_b32_e32 v3, 0x80000000, v119
	v_lshlrev_b32_e32 v2, 21, v2
	v_or3_b32 v119, v3, v30, v2
.LBB6_461:                              ;   in Loop: Header=BB6_130 Depth=2
	s_or_b32 exec_lo, exec_lo, s29
	v_cmp_gt_i16_sdwa s29, v38, v57 src0_sel:BYTE_1 src1_sel:DWORD
	s_mov_b32 s13, 0
	s_and_saveexec_b32 s40, s29
	s_xor_b32 s29, exec_lo, s40
	s_cbranch_execz .LBB6_2506
; %bb.462:                              ;   in Loop: Header=BB6_130 Depth=2
	v_cmp_eq_u16_sdwa s41, v38, v58 src0_sel:BYTE_1 src1_sel:DWORD
	s_mov_b32 s13, -1
	s_and_saveexec_b32 s40, s41
; %bb.463:                              ;   in Loop: Header=BB6_130 Depth=2
	s_xor_b32 s13, exec_lo, -1
; %bb.464:                              ;   in Loop: Header=BB6_130 Depth=2
	s_or_b32 exec_lo, exec_lo, s40
	s_and_b32 s13, s13, exec_lo
	s_or_saveexec_b32 s29, s29
	v_mov_b32_e32 v2, 0x7f800001
	s_xor_b32 exec_lo, exec_lo, s29
	s_cbranch_execnz .LBB6_2507
.LBB6_465:                              ;   in Loop: Header=BB6_130 Depth=2
	s_or_b32 exec_lo, exec_lo, s29
	s_and_saveexec_b32 s29, s13
	s_cbranch_execz .LBB6_467
.LBB6_466:                              ;   in Loop: Header=BB6_130 Depth=2
	v_and_b32_sdwa v2, v59, v38 dst_sel:DWORD dst_unused:UNUSED_PAD src0_sel:DWORD src1_sel:BYTE_1
	v_and_b32_e32 v3, 3, v2
	v_bfe_u32 v42, v2, 2, 5
	v_ffbh_u32_e32 v30, v3
	v_cmp_eq_u32_e32 vcc_lo, 0, v42
	v_min_u32_e32 v30, 32, v30
	v_subrev_nc_u32_e32 v40, 29, v30
	v_sub_nc_u32_e32 v30, 30, v30
	v_lshlrev_b32_e32 v2, v40, v2
	v_lshlrev_b32_e32 v40, 16, v38
	v_cndmask_b32_e32 v30, v42, v30, vcc_lo
	v_and_b32_e32 v2, 3, v2
	v_lshl_add_u32 v30, v30, 23, 0x37800000
	v_cndmask_b32_e32 v2, v3, v2, vcc_lo
	v_and_b32_e32 v3, 0x80000000, v40
	v_lshlrev_b32_e32 v2, 21, v2
	v_or3_b32 v2, v3, v30, v2
.LBB6_467:                              ;   in Loop: Header=BB6_130 Depth=2
	s_or_b32 exec_lo, exec_lo, s29
	v_max_f32_e32 v2, v2, v2
	v_max_f32_e32 v3, v119, v119
	s_mov_b32 s13, 0
	v_max_f32_e32 v119, v3, v2
.LBB6_468:                              ;   in Loop: Header=BB6_130 Depth=2
	s_and_b32 vcc_lo, exec_lo, s13
	s_cbranch_vccz .LBB6_482
; %bb.469:                              ;   in Loop: Header=BB6_130 Depth=2
	v_cmp_gt_i16_sdwa s29, v50, v57 src0_sel:BYTE_1 src1_sel:DWORD
	s_mov_b32 s13, 0
	s_and_saveexec_b32 s40, s29
	s_xor_b32 s29, exec_lo, s40
	s_cbranch_execz .LBB6_2508
; %bb.470:                              ;   in Loop: Header=BB6_130 Depth=2
	v_cmp_eq_u16_sdwa s41, v50, v58 src0_sel:BYTE_1 src1_sel:DWORD
	s_mov_b32 s13, -1
	s_and_saveexec_b32 s40, s41
; %bb.471:                              ;   in Loop: Header=BB6_130 Depth=2
	s_xor_b32 s13, exec_lo, -1
; %bb.472:                              ;   in Loop: Header=BB6_130 Depth=2
	s_or_b32 exec_lo, exec_lo, s40
	s_and_b32 s13, s13, exec_lo
	s_or_saveexec_b32 s29, s29
	v_mov_b32_e32 v119, 0x7f800001
	s_xor_b32 exec_lo, exec_lo, s29
	s_cbranch_execnz .LBB6_2509
.LBB6_473:                              ;   in Loop: Header=BB6_130 Depth=2
	s_or_b32 exec_lo, exec_lo, s29
	s_and_saveexec_b32 s29, s13
	s_cbranch_execz .LBB6_475
.LBB6_474:                              ;   in Loop: Header=BB6_130 Depth=2
	v_and_b32_sdwa v2, v59, v50 dst_sel:DWORD dst_unused:UNUSED_PAD src0_sel:DWORD src1_sel:BYTE_1
	v_and_b32_e32 v3, 3, v2
	v_bfe_u32 v40, v2, 2, 5
	v_ffbh_u32_e32 v30, v3
	v_cmp_eq_u32_e32 vcc_lo, 0, v40
	v_min_u32_e32 v30, 32, v30
	v_subrev_nc_u32_e32 v119, 29, v30
	v_sub_nc_u32_e32 v30, 30, v30
	v_lshlrev_b32_e32 v2, v119, v2
	v_lshlrev_b32_e32 v119, 16, v50
	v_cndmask_b32_e32 v30, v40, v30, vcc_lo
	v_and_b32_e32 v2, 3, v2
	v_lshl_add_u32 v30, v30, 23, 0x37800000
	v_cndmask_b32_e32 v2, v3, v2, vcc_lo
	v_and_b32_e32 v3, 0x80000000, v119
	v_lshlrev_b32_e32 v2, 21, v2
	v_or3_b32 v119, v3, v30, v2
.LBB6_475:                              ;   in Loop: Header=BB6_130 Depth=2
	s_or_b32 exec_lo, exec_lo, s29
	v_cmp_gt_i16_sdwa s29, v38, v57 src0_sel:BYTE_1 src1_sel:DWORD
	s_mov_b32 s13, 0
	s_and_saveexec_b32 s40, s29
	s_xor_b32 s29, exec_lo, s40
	s_cbranch_execz .LBB6_2510
; %bb.476:                              ;   in Loop: Header=BB6_130 Depth=2
	v_cmp_eq_u16_sdwa s41, v38, v58 src0_sel:BYTE_1 src1_sel:DWORD
	s_mov_b32 s13, -1
	s_and_saveexec_b32 s40, s41
; %bb.477:                              ;   in Loop: Header=BB6_130 Depth=2
	s_xor_b32 s13, exec_lo, -1
; %bb.478:                              ;   in Loop: Header=BB6_130 Depth=2
	s_or_b32 exec_lo, exec_lo, s40
	s_and_b32 s13, s13, exec_lo
	s_or_saveexec_b32 s29, s29
	v_mov_b32_e32 v2, 0x7f800001
	s_xor_b32 exec_lo, exec_lo, s29
	s_cbranch_execnz .LBB6_2511
.LBB6_479:                              ;   in Loop: Header=BB6_130 Depth=2
	s_or_b32 exec_lo, exec_lo, s29
	s_and_saveexec_b32 s29, s13
	s_cbranch_execz .LBB6_481
.LBB6_480:                              ;   in Loop: Header=BB6_130 Depth=2
	v_and_b32_sdwa v2, v59, v38 dst_sel:DWORD dst_unused:UNUSED_PAD src0_sel:DWORD src1_sel:BYTE_1
	v_and_b32_e32 v3, 3, v2
	v_bfe_u32 v42, v2, 2, 5
	v_ffbh_u32_e32 v30, v3
	v_cmp_eq_u32_e32 vcc_lo, 0, v42
	v_min_u32_e32 v30, 32, v30
	v_subrev_nc_u32_e32 v40, 29, v30
	v_sub_nc_u32_e32 v30, 30, v30
	v_lshlrev_b32_e32 v2, v40, v2
	v_lshlrev_b32_e32 v40, 16, v38
	v_cndmask_b32_e32 v30, v42, v30, vcc_lo
	v_and_b32_e32 v2, 3, v2
	v_lshl_add_u32 v30, v30, 23, 0x37800000
	v_cndmask_b32_e32 v2, v3, v2, vcc_lo
	v_and_b32_e32 v3, 0x80000000, v40
	v_lshlrev_b32_e32 v2, 21, v2
	v_or3_b32 v2, v3, v30, v2
.LBB6_481:                              ;   in Loop: Header=BB6_130 Depth=2
	s_or_b32 exec_lo, exec_lo, s29
	v_max_f32_e32 v2, v2, v2
	v_max_f32_e32 v3, v119, v119
	v_min_f32_e32 v119, v3, v2
.LBB6_482:                              ;   in Loop: Header=BB6_130 Depth=2
	v_and_b32_e32 v2, 0x7f800000, v119
	v_mov_b32_e32 v76, 0x8000
	s_mov_b32 s29, exec_lo
	v_cmpx_ne_u32_e32 0x7f800000, v2
	s_cbranch_execz .LBB6_490
; %bb.483:                              ;   in Loop: Header=BB6_130 Depth=2
	v_mov_b32_e32 v76, 0
	s_mov_b32 s40, exec_lo
	v_cmpx_ne_u32_e32 0, v119
	s_cbranch_execz .LBB6_489
; %bb.484:                              ;   in Loop: Header=BB6_130 Depth=2
	v_bfe_u32 v2, v119, 23, 8
	v_and_b32_e32 v3, 0x7fffff, v119
	v_sub_nc_u32_e32 v30, 0x70, v2
	v_cmp_gt_u32_e32 vcc_lo, 0x71, v2
	v_or_b32_e32 v40, 0x800000, v3
	v_cndmask_b32_e32 v30, 0, v30, vcc_lo
	v_cmp_eq_u32_e32 vcc_lo, 0, v2
	v_add_nc_u32_e32 v2, 0xffffff91, v2
	v_cndmask_b32_e64 v30, v30, 0x6f, vcc_lo
	v_cndmask_b32_e32 v3, v40, v3, vcc_lo
	v_cndmask_b32_e64 v2, v2, 0xffffff92, vcc_lo
	v_lshl_add_u32 v42, 0x200000, v30, -1
	v_lshrrev_b32_e32 v40, v30, v3
	v_lshlrev_b32_e64 v77, v30, 0x100000
	v_add_nc_u32_e32 v2, v30, v2
	v_and_b32_e32 v3, v42, v3
	v_bfe_u32 v76, v40, 21, 1
	v_cmp_eq_u32_e64 s13, v3, v77
	v_add_nc_u32_e32 v42, -1, v76
	v_cndmask_b32_e64 v3, 0, v42, s13
	v_lshrrev_b32_e32 v42, 23, v40
	s_mov_b32 s13, exec_lo
	v_add_nc_u32_e32 v3, v3, v40
	v_and_b32_e32 v30, 0x1fffff, v3
	v_xor_b32_e32 v3, 1, v42
	v_add_nc_u32_e32 v40, v30, v40
                                        ; implicit-def: $vgpr30
	v_cmpx_ne_u32_e64 v2, v3
	s_xor_b32 s13, exec_lo, s13
; %bb.485:                              ;   in Loop: Header=BB6_130 Depth=2
	v_cmp_lt_u32_e32 vcc_lo, 0xffffff, v40
	v_sub_nc_u32_e32 v2, v2, v3
	v_cndmask_b32_e64 v3, 0, 1, vcc_lo
	v_add_co_ci_u32_e64 v30, null, 0, v2, vcc_lo
	v_lshrrev_b32_e32 v40, v3, v40
; %bb.486:                              ;   in Loop: Header=BB6_130 Depth=2
	s_andn2_saveexec_b32 s13, s13
; %bb.487:                              ;   in Loop: Header=BB6_130 Depth=2
	v_bfe_u32 v30, v40, 23, 1
; %bb.488:                              ;   in Loop: Header=BB6_130 Depth=2
	s_or_b32 exec_lo, exec_lo, s13
	v_lshrrev_b32_e32 v2, 21, v40
	v_min_i32_e32 v3, 31, v30
	v_cmp_gt_i32_e32 vcc_lo, 32, v30
	v_and_b32_sdwa v119, v119, v58 dst_sel:DWORD dst_unused:UNUSED_PAD src0_sel:BYTE_3 src1_sel:DWORD
	v_lshlrev_b32_e32 v3, 2, v3
	v_cndmask_b32_e32 v2, 3, v2, vcc_lo
	v_and_b32_e32 v3, 0xfc, v3
	v_and_b32_e32 v40, 3, v2
	v_or_b32_e32 v2, v30, v2
	v_or3_b32 v3, v119, v3, v40
	v_cmp_ne_u32_e32 vcc_lo, 0, v2
	v_lshlrev_b32_e32 v3, 8, v3
	v_cndmask_b32_e32 v76, 0, v3, vcc_lo
.LBB6_489:                              ;   in Loop: Header=BB6_130 Depth=2
	s_or_b32 exec_lo, exec_lo, s40
.LBB6_490:                              ;   in Loop: Header=BB6_130 Depth=2
	s_or_b32 exec_lo, exec_lo, s29
	v_and_b32_sdwa v119, v50, v60 dst_sel:DWORD dst_unused:UNUSED_PAD src0_sel:WORD_1 src1_sel:DWORD
	s_and_b32 vcc_lo, exec_lo, s28
	s_mov_b32 s29, -1
                                        ; implicit-def: $vgpr40
	v_cmp_lt_i16_e64 s13, 0x7f, v119
	s_cbranch_vccz .LBB6_504
; %bb.491:                              ;   in Loop: Header=BB6_130 Depth=2
	s_mov_b32 s29, 0
	s_and_saveexec_b32 s40, s13
	s_xor_b32 s13, exec_lo, s40
	s_cbranch_execz .LBB6_2512
; %bb.492:                              ;   in Loop: Header=BB6_130 Depth=2
	s_mov_b32 s29, -1
	s_mov_b32 s40, exec_lo
	v_cmpx_eq_u16_e32 0x80, v119
; %bb.493:                              ;   in Loop: Header=BB6_130 Depth=2
	s_xor_b32 s29, exec_lo, -1
; %bb.494:                              ;   in Loop: Header=BB6_130 Depth=2
	s_or_b32 exec_lo, exec_lo, s40
	s_and_b32 s29, s29, exec_lo
	s_or_saveexec_b32 s13, s13
	v_mov_b32_e32 v40, 0x7f800001
	s_xor_b32 exec_lo, exec_lo, s13
	s_cbranch_execnz .LBB6_2513
.LBB6_495:                              ;   in Loop: Header=BB6_130 Depth=2
	s_or_b32 exec_lo, exec_lo, s13
	s_and_saveexec_b32 s13, s29
	s_cbranch_execz .LBB6_497
.LBB6_496:                              ;   in Loop: Header=BB6_130 Depth=2
	v_bfe_u32 v2, v50, 16, 2
	v_bfe_u32 v40, v50, 18, 5
	v_lshlrev_b32_sdwa v42, v61, v50 dst_sel:DWORD dst_unused:UNUSED_PAD src0_sel:DWORD src1_sel:WORD_1
	v_ffbh_u32_e32 v3, v2
	v_cmp_eq_u32_e32 vcc_lo, 0, v40
	v_min_u32_e32 v3, 32, v3
	v_subrev_nc_u32_e32 v30, 29, v3
	v_sub_nc_u32_e32 v3, 30, v3
	v_lshlrev_b32_sdwa v30, v30, v50 dst_sel:DWORD dst_unused:UNUSED_PAD src0_sel:DWORD src1_sel:WORD_1
	v_cndmask_b32_e32 v3, v40, v3, vcc_lo
	v_and_b32_e32 v30, 3, v30
	v_lshl_add_u32 v3, v3, 23, 0x37800000
	v_cndmask_b32_e32 v2, v2, v30, vcc_lo
	v_and_b32_e32 v30, 0x80000000, v42
	v_lshlrev_b32_e32 v2, 21, v2
	v_or3_b32 v40, v30, v3, v2
.LBB6_497:                              ;   in Loop: Header=BB6_130 Depth=2
	s_or_b32 exec_lo, exec_lo, s13
	v_and_b32_sdwa v3, v38, v60 dst_sel:DWORD dst_unused:UNUSED_PAD src0_sel:WORD_1 src1_sel:DWORD
	s_mov_b32 s13, 0
	s_mov_b32 s29, exec_lo
	v_cmpx_lt_i16_e32 0x7f, v3
	s_xor_b32 s29, exec_lo, s29
	s_cbranch_execz .LBB6_2514
; %bb.498:                              ;   in Loop: Header=BB6_130 Depth=2
	s_mov_b32 s13, -1
	s_mov_b32 s40, exec_lo
	v_cmpx_eq_u16_e32 0x80, v3
; %bb.499:                              ;   in Loop: Header=BB6_130 Depth=2
	s_xor_b32 s13, exec_lo, -1
; %bb.500:                              ;   in Loop: Header=BB6_130 Depth=2
	s_or_b32 exec_lo, exec_lo, s40
	s_and_b32 s13, s13, exec_lo
                                        ; implicit-def: $vgpr3
	s_or_saveexec_b32 s29, s29
	v_mov_b32_e32 v2, 0x7f800001
	s_xor_b32 exec_lo, exec_lo, s29
	s_cbranch_execnz .LBB6_2515
.LBB6_501:                              ;   in Loop: Header=BB6_130 Depth=2
	s_or_b32 exec_lo, exec_lo, s29
	s_and_saveexec_b32 s29, s13
	s_cbranch_execz .LBB6_503
.LBB6_502:                              ;   in Loop: Header=BB6_130 Depth=2
	v_bfe_u32 v2, v38, 16, 2
	v_bfe_u32 v42, v38, 18, 5
	v_lshlrev_b32_sdwa v77, v61, v38 dst_sel:DWORD dst_unused:UNUSED_PAD src0_sel:DWORD src1_sel:WORD_1
	v_ffbh_u32_e32 v3, v2
	v_cmp_eq_u32_e32 vcc_lo, 0, v42
	v_min_u32_e32 v3, 32, v3
	v_subrev_nc_u32_e32 v30, 29, v3
	v_sub_nc_u32_e32 v3, 30, v3
	v_lshlrev_b32_sdwa v30, v30, v38 dst_sel:DWORD dst_unused:UNUSED_PAD src0_sel:DWORD src1_sel:WORD_1
	v_cndmask_b32_e32 v3, v42, v3, vcc_lo
	v_and_b32_e32 v30, 3, v30
	v_lshl_add_u32 v3, v3, 23, 0x37800000
	v_cndmask_b32_e32 v2, v2, v30, vcc_lo
	v_and_b32_e32 v30, 0x80000000, v77
	v_lshlrev_b32_e32 v2, 21, v2
	v_or3_b32 v2, v30, v3, v2
.LBB6_503:                              ;   in Loop: Header=BB6_130 Depth=2
	s_or_b32 exec_lo, exec_lo, s29
	v_max_f32_e32 v2, v2, v2
	v_max_f32_e32 v3, v40, v40
	s_mov_b32 s29, 0
	v_max_f32_e32 v40, v3, v2
.LBB6_504:                              ;   in Loop: Header=BB6_130 Depth=2
	s_and_b32 vcc_lo, exec_lo, s29
	s_cbranch_vccz .LBB6_518
; %bb.505:                              ;   in Loop: Header=BB6_130 Depth=2
	s_mov_b32 s13, 0
	s_mov_b32 s29, exec_lo
	v_cmpx_lt_i16_e32 0x7f, v119
	s_xor_b32 s29, exec_lo, s29
	s_cbranch_execz .LBB6_2516
; %bb.506:                              ;   in Loop: Header=BB6_130 Depth=2
	s_mov_b32 s13, -1
	s_mov_b32 s40, exec_lo
	v_cmpx_eq_u16_e32 0x80, v119
; %bb.507:                              ;   in Loop: Header=BB6_130 Depth=2
	s_xor_b32 s13, exec_lo, -1
; %bb.508:                              ;   in Loop: Header=BB6_130 Depth=2
	s_or_b32 exec_lo, exec_lo, s40
	s_and_b32 s13, s13, exec_lo
                                        ; implicit-def: $vgpr119
	s_or_saveexec_b32 s29, s29
	v_mov_b32_e32 v40, 0x7f800001
	s_xor_b32 exec_lo, exec_lo, s29
	s_cbranch_execnz .LBB6_2517
.LBB6_509:                              ;   in Loop: Header=BB6_130 Depth=2
	s_or_b32 exec_lo, exec_lo, s29
	s_and_saveexec_b32 s29, s13
	s_cbranch_execz .LBB6_511
.LBB6_510:                              ;   in Loop: Header=BB6_130 Depth=2
	v_bfe_u32 v2, v50, 16, 2
	v_bfe_u32 v119, v50, 18, 5
	v_lshlrev_b32_sdwa v40, v61, v50 dst_sel:DWORD dst_unused:UNUSED_PAD src0_sel:DWORD src1_sel:WORD_1
	v_ffbh_u32_e32 v3, v2
	v_cmp_eq_u32_e32 vcc_lo, 0, v119
	v_min_u32_e32 v3, 32, v3
	v_subrev_nc_u32_e32 v30, 29, v3
	v_sub_nc_u32_e32 v3, 30, v3
	v_lshlrev_b32_sdwa v30, v30, v50 dst_sel:DWORD dst_unused:UNUSED_PAD src0_sel:DWORD src1_sel:WORD_1
	v_cndmask_b32_e32 v3, v119, v3, vcc_lo
	v_and_b32_e32 v30, 3, v30
	v_lshl_add_u32 v3, v3, 23, 0x37800000
	v_cndmask_b32_e32 v2, v2, v30, vcc_lo
	v_and_b32_e32 v30, 0x80000000, v40
	v_lshlrev_b32_e32 v2, 21, v2
	v_or3_b32 v40, v30, v3, v2
.LBB6_511:                              ;   in Loop: Header=BB6_130 Depth=2
	s_or_b32 exec_lo, exec_lo, s29
	v_and_b32_sdwa v3, v38, v60 dst_sel:DWORD dst_unused:UNUSED_PAD src0_sel:WORD_1 src1_sel:DWORD
	s_mov_b32 s13, 0
	s_mov_b32 s29, exec_lo
	v_cmpx_lt_i16_e32 0x7f, v3
	s_xor_b32 s29, exec_lo, s29
	s_cbranch_execz .LBB6_2518
; %bb.512:                              ;   in Loop: Header=BB6_130 Depth=2
	s_mov_b32 s13, -1
	s_mov_b32 s40, exec_lo
	v_cmpx_eq_u16_e32 0x80, v3
; %bb.513:                              ;   in Loop: Header=BB6_130 Depth=2
	s_xor_b32 s13, exec_lo, -1
; %bb.514:                              ;   in Loop: Header=BB6_130 Depth=2
	s_or_b32 exec_lo, exec_lo, s40
	s_and_b32 s13, s13, exec_lo
                                        ; implicit-def: $vgpr3
	s_or_saveexec_b32 s29, s29
	v_mov_b32_e32 v2, 0x7f800001
	s_xor_b32 exec_lo, exec_lo, s29
	s_cbranch_execnz .LBB6_2519
.LBB6_515:                              ;   in Loop: Header=BB6_130 Depth=2
	s_or_b32 exec_lo, exec_lo, s29
	s_and_saveexec_b32 s29, s13
	s_cbranch_execz .LBB6_517
.LBB6_516:                              ;   in Loop: Header=BB6_130 Depth=2
	v_bfe_u32 v2, v38, 16, 2
	v_bfe_u32 v119, v38, 18, 5
	v_lshlrev_b32_sdwa v42, v61, v38 dst_sel:DWORD dst_unused:UNUSED_PAD src0_sel:DWORD src1_sel:WORD_1
	v_ffbh_u32_e32 v3, v2
	v_cmp_eq_u32_e32 vcc_lo, 0, v119
	v_min_u32_e32 v3, 32, v3
	v_subrev_nc_u32_e32 v30, 29, v3
	v_sub_nc_u32_e32 v3, 30, v3
	v_lshlrev_b32_sdwa v30, v30, v38 dst_sel:DWORD dst_unused:UNUSED_PAD src0_sel:DWORD src1_sel:WORD_1
	v_cndmask_b32_e32 v3, v119, v3, vcc_lo
	v_and_b32_e32 v30, 3, v30
	v_lshl_add_u32 v3, v3, 23, 0x37800000
	v_cndmask_b32_e32 v2, v2, v30, vcc_lo
	v_and_b32_e32 v30, 0x80000000, v42
	v_lshlrev_b32_e32 v2, 21, v2
	v_or3_b32 v2, v30, v3, v2
.LBB6_517:                              ;   in Loop: Header=BB6_130 Depth=2
	s_or_b32 exec_lo, exec_lo, s29
	v_max_f32_e32 v2, v2, v2
	v_max_f32_e32 v3, v40, v40
	v_min_f32_e32 v40, v3, v2
.LBB6_518:                              ;   in Loop: Header=BB6_130 Depth=2
	v_and_b32_e32 v2, 0x7f800000, v40
	v_mov_b32_e32 v77, 0x80
	s_mov_b32 s29, exec_lo
	v_cmpx_ne_u32_e32 0x7f800000, v2
	s_cbranch_execz .LBB6_526
; %bb.519:                              ;   in Loop: Header=BB6_130 Depth=2
	v_mov_b32_e32 v77, 0
	s_mov_b32 s40, exec_lo
	v_cmpx_ne_u32_e32 0, v40
	s_cbranch_execz .LBB6_525
; %bb.520:                              ;   in Loop: Header=BB6_130 Depth=2
	v_bfe_u32 v2, v40, 23, 8
	v_and_b32_e32 v3, 0x7fffff, v40
	v_sub_nc_u32_e32 v30, 0x70, v2
	v_cmp_gt_u32_e32 vcc_lo, 0x71, v2
	v_or_b32_e32 v119, 0x800000, v3
	v_cndmask_b32_e32 v30, 0, v30, vcc_lo
	v_cmp_eq_u32_e32 vcc_lo, 0, v2
	v_add_nc_u32_e32 v2, 0xffffff91, v2
	v_cndmask_b32_e64 v30, v30, 0x6f, vcc_lo
	v_cndmask_b32_e32 v3, v119, v3, vcc_lo
	v_cndmask_b32_e64 v2, v2, 0xffffff92, vcc_lo
	v_lshl_add_u32 v42, 0x200000, v30, -1
	v_lshrrev_b32_e32 v119, v30, v3
	v_lshlrev_b32_e64 v78, v30, 0x100000
	v_add_nc_u32_e32 v2, v30, v2
	v_and_b32_e32 v3, v42, v3
	v_bfe_u32 v77, v119, 21, 1
	v_cmp_eq_u32_e64 s13, v3, v78
	v_add_nc_u32_e32 v42, -1, v77
	v_cndmask_b32_e64 v3, 0, v42, s13
	v_lshrrev_b32_e32 v42, 23, v119
	s_mov_b32 s13, exec_lo
	v_add_nc_u32_e32 v3, v3, v119
	v_and_b32_e32 v30, 0x1fffff, v3
	v_xor_b32_e32 v3, 1, v42
	v_add_nc_u32_e32 v119, v30, v119
                                        ; implicit-def: $vgpr30
	v_cmpx_ne_u32_e64 v2, v3
	s_xor_b32 s13, exec_lo, s13
; %bb.521:                              ;   in Loop: Header=BB6_130 Depth=2
	v_cmp_lt_u32_e32 vcc_lo, 0xffffff, v119
	v_sub_nc_u32_e32 v2, v2, v3
	v_cndmask_b32_e64 v3, 0, 1, vcc_lo
	v_add_co_ci_u32_e64 v30, null, 0, v2, vcc_lo
	v_lshrrev_b32_e32 v119, v3, v119
; %bb.522:                              ;   in Loop: Header=BB6_130 Depth=2
	s_andn2_saveexec_b32 s13, s13
; %bb.523:                              ;   in Loop: Header=BB6_130 Depth=2
	v_bfe_u32 v30, v119, 23, 1
; %bb.524:                              ;   in Loop: Header=BB6_130 Depth=2
	s_or_b32 exec_lo, exec_lo, s13
	v_lshrrev_b32_e32 v2, 21, v119
	v_min_i32_e32 v3, 31, v30
	v_cmp_gt_i32_e32 vcc_lo, 32, v30
	v_and_b32_sdwa v119, v40, v58 dst_sel:DWORD dst_unused:UNUSED_PAD src0_sel:BYTE_3 src1_sel:DWORD
	v_lshlrev_b32_e32 v3, 2, v3
	v_cndmask_b32_e32 v2, 3, v2, vcc_lo
	v_and_b32_e32 v3, 0xfc, v3
	v_and_b32_e32 v40, 3, v2
	v_or_b32_e32 v2, v30, v2
	v_or3_b32 v3, v3, v119, v40
	v_cmp_ne_u32_e32 vcc_lo, 0, v2
	v_cndmask_b32_e32 v77, 0, v3, vcc_lo
.LBB6_525:                              ;   in Loop: Header=BB6_130 Depth=2
	s_or_b32 exec_lo, exec_lo, s40
.LBB6_526:                              ;   in Loop: Header=BB6_130 Depth=2
	s_or_b32 exec_lo, exec_lo, s29
	v_cmp_gt_i16_sdwa s29, v50, v57 src0_sel:BYTE_3 src1_sel:DWORD
	s_and_b32 vcc_lo, exec_lo, s28
	s_mov_b32 s13, -1
                                        ; implicit-def: $vgpr119
	s_cbranch_vccz .LBB6_540
; %bb.527:                              ;   in Loop: Header=BB6_130 Depth=2
	s_mov_b32 s13, 0
	s_and_saveexec_b32 s40, s29
	s_xor_b32 s29, exec_lo, s40
	s_cbranch_execz .LBB6_2520
; %bb.528:                              ;   in Loop: Header=BB6_130 Depth=2
	v_cmp_eq_u16_sdwa s41, v50, v58 src0_sel:BYTE_3 src1_sel:DWORD
	s_mov_b32 s13, -1
	s_and_saveexec_b32 s40, s41
; %bb.529:                              ;   in Loop: Header=BB6_130 Depth=2
	s_xor_b32 s13, exec_lo, -1
; %bb.530:                              ;   in Loop: Header=BB6_130 Depth=2
	s_or_b32 exec_lo, exec_lo, s40
	s_and_b32 s13, s13, exec_lo
	s_or_saveexec_b32 s29, s29
	v_mov_b32_e32 v119, 0x7f800001
	s_xor_b32 exec_lo, exec_lo, s29
	s_cbranch_execnz .LBB6_2521
.LBB6_531:                              ;   in Loop: Header=BB6_130 Depth=2
	s_or_b32 exec_lo, exec_lo, s29
	s_and_saveexec_b32 s29, s13
	s_cbranch_execz .LBB6_533
.LBB6_532:                              ;   in Loop: Header=BB6_130 Depth=2
	v_bfe_u32 v2, v50, 24, 2
	v_bfe_u32 v119, v50, 26, 5
	v_ffbh_u32_e32 v3, v2
	v_cmp_eq_u32_e32 vcc_lo, 0, v119
	v_min_u32_e32 v3, 32, v3
	v_subrev_nc_u32_e32 v30, 29, v3
	v_sub_nc_u32_e32 v3, 30, v3
	v_lshlrev_b32_sdwa v30, v30, v50 dst_sel:DWORD dst_unused:UNUSED_PAD src0_sel:DWORD src1_sel:BYTE_3
	v_cndmask_b32_e32 v3, v119, v3, vcc_lo
	v_and_b32_e32 v30, 3, v30
	v_lshl_add_u32 v3, v3, 23, 0x37800000
	v_cndmask_b32_e32 v2, v2, v30, vcc_lo
	v_and_b32_e32 v30, 0x80000000, v50
	v_lshlrev_b32_e32 v2, 21, v2
	v_or3_b32 v119, v30, v3, v2
.LBB6_533:                              ;   in Loop: Header=BB6_130 Depth=2
	s_or_b32 exec_lo, exec_lo, s29
	v_cmp_gt_i16_sdwa s29, v38, v57 src0_sel:BYTE_3 src1_sel:DWORD
	s_mov_b32 s13, 0
	s_and_saveexec_b32 s40, s29
	s_xor_b32 s29, exec_lo, s40
	s_cbranch_execz .LBB6_2522
; %bb.534:                              ;   in Loop: Header=BB6_130 Depth=2
	v_cmp_eq_u16_sdwa s41, v38, v58 src0_sel:BYTE_3 src1_sel:DWORD
	s_mov_b32 s13, -1
	s_and_saveexec_b32 s40, s41
; %bb.535:                              ;   in Loop: Header=BB6_130 Depth=2
	s_xor_b32 s13, exec_lo, -1
; %bb.536:                              ;   in Loop: Header=BB6_130 Depth=2
	s_or_b32 exec_lo, exec_lo, s40
	s_and_b32 s13, s13, exec_lo
	s_or_saveexec_b32 s29, s29
	v_mov_b32_e32 v2, 0x7f800001
	s_xor_b32 exec_lo, exec_lo, s29
	s_cbranch_execnz .LBB6_2523
.LBB6_537:                              ;   in Loop: Header=BB6_130 Depth=2
	s_or_b32 exec_lo, exec_lo, s29
	s_and_saveexec_b32 s29, s13
	s_cbranch_execz .LBB6_539
.LBB6_538:                              ;   in Loop: Header=BB6_130 Depth=2
	v_bfe_u32 v2, v38, 24, 2
	v_bfe_u32 v40, v38, 26, 5
	v_ffbh_u32_e32 v3, v2
	v_cmp_eq_u32_e32 vcc_lo, 0, v40
	v_min_u32_e32 v3, 32, v3
	v_subrev_nc_u32_e32 v30, 29, v3
	v_sub_nc_u32_e32 v3, 30, v3
	v_lshlrev_b32_sdwa v30, v30, v38 dst_sel:DWORD dst_unused:UNUSED_PAD src0_sel:DWORD src1_sel:BYTE_3
	v_cndmask_b32_e32 v3, v40, v3, vcc_lo
	v_and_b32_e32 v30, 3, v30
	v_lshl_add_u32 v3, v3, 23, 0x37800000
	v_cndmask_b32_e32 v2, v2, v30, vcc_lo
	v_and_b32_e32 v30, 0x80000000, v38
	v_lshlrev_b32_e32 v2, 21, v2
	v_or3_b32 v2, v30, v3, v2
.LBB6_539:                              ;   in Loop: Header=BB6_130 Depth=2
	s_or_b32 exec_lo, exec_lo, s29
	v_max_f32_e32 v2, v2, v2
	v_max_f32_e32 v3, v119, v119
	s_mov_b32 s13, 0
	v_max_f32_e32 v119, v3, v2
.LBB6_540:                              ;   in Loop: Header=BB6_130 Depth=2
	s_and_b32 vcc_lo, exec_lo, s13
	s_cbranch_vccz .LBB6_554
; %bb.541:                              ;   in Loop: Header=BB6_130 Depth=2
	v_cmp_gt_i16_sdwa s29, v50, v57 src0_sel:BYTE_3 src1_sel:DWORD
	s_mov_b32 s13, 0
	s_and_saveexec_b32 s40, s29
	s_xor_b32 s29, exec_lo, s40
	s_cbranch_execz .LBB6_2524
; %bb.542:                              ;   in Loop: Header=BB6_130 Depth=2
	v_cmp_eq_u16_sdwa s41, v50, v58 src0_sel:BYTE_3 src1_sel:DWORD
	s_mov_b32 s13, -1
	s_and_saveexec_b32 s40, s41
; %bb.543:                              ;   in Loop: Header=BB6_130 Depth=2
	s_xor_b32 s13, exec_lo, -1
; %bb.544:                              ;   in Loop: Header=BB6_130 Depth=2
	s_or_b32 exec_lo, exec_lo, s40
	s_and_b32 s13, s13, exec_lo
	s_or_saveexec_b32 s29, s29
	v_mov_b32_e32 v119, 0x7f800001
	s_xor_b32 exec_lo, exec_lo, s29
	s_cbranch_execnz .LBB6_2525
.LBB6_545:                              ;   in Loop: Header=BB6_130 Depth=2
	s_or_b32 exec_lo, exec_lo, s29
	s_and_saveexec_b32 s29, s13
	s_cbranch_execz .LBB6_547
.LBB6_546:                              ;   in Loop: Header=BB6_130 Depth=2
	v_bfe_u32 v2, v50, 24, 2
	v_bfe_u32 v119, v50, 26, 5
	v_ffbh_u32_e32 v3, v2
	v_cmp_eq_u32_e32 vcc_lo, 0, v119
	v_min_u32_e32 v3, 32, v3
	v_subrev_nc_u32_e32 v30, 29, v3
	v_sub_nc_u32_e32 v3, 30, v3
	v_lshlrev_b32_sdwa v30, v30, v50 dst_sel:DWORD dst_unused:UNUSED_PAD src0_sel:DWORD src1_sel:BYTE_3
	v_cndmask_b32_e32 v3, v119, v3, vcc_lo
	v_and_b32_e32 v30, 3, v30
	v_lshl_add_u32 v3, v3, 23, 0x37800000
	v_cndmask_b32_e32 v2, v2, v30, vcc_lo
	v_and_b32_e32 v30, 0x80000000, v50
	v_lshlrev_b32_e32 v2, 21, v2
	v_or3_b32 v119, v30, v3, v2
.LBB6_547:                              ;   in Loop: Header=BB6_130 Depth=2
	s_or_b32 exec_lo, exec_lo, s29
	v_cmp_gt_i16_sdwa s29, v38, v57 src0_sel:BYTE_3 src1_sel:DWORD
	s_mov_b32 s13, 0
	s_and_saveexec_b32 s40, s29
	s_xor_b32 s29, exec_lo, s40
	s_cbranch_execz .LBB6_2526
; %bb.548:                              ;   in Loop: Header=BB6_130 Depth=2
	v_cmp_eq_u16_sdwa s41, v38, v58 src0_sel:BYTE_3 src1_sel:DWORD
	s_mov_b32 s13, -1
	s_and_saveexec_b32 s40, s41
; %bb.549:                              ;   in Loop: Header=BB6_130 Depth=2
	s_xor_b32 s13, exec_lo, -1
; %bb.550:                              ;   in Loop: Header=BB6_130 Depth=2
	s_or_b32 exec_lo, exec_lo, s40
	s_and_b32 s13, s13, exec_lo
	s_or_saveexec_b32 s29, s29
	v_mov_b32_e32 v2, 0x7f800001
	s_xor_b32 exec_lo, exec_lo, s29
	s_cbranch_execnz .LBB6_2527
.LBB6_551:                              ;   in Loop: Header=BB6_130 Depth=2
	s_or_b32 exec_lo, exec_lo, s29
	s_and_saveexec_b32 s29, s13
	s_cbranch_execz .LBB6_553
.LBB6_552:                              ;   in Loop: Header=BB6_130 Depth=2
	v_bfe_u32 v2, v38, 24, 2
	v_bfe_u32 v50, v38, 26, 5
	v_ffbh_u32_e32 v3, v2
	v_cmp_eq_u32_e32 vcc_lo, 0, v50
	v_min_u32_e32 v3, 32, v3
	v_subrev_nc_u32_e32 v30, 29, v3
	v_sub_nc_u32_e32 v3, 30, v3
	v_lshlrev_b32_sdwa v30, v30, v38 dst_sel:DWORD dst_unused:UNUSED_PAD src0_sel:DWORD src1_sel:BYTE_3
	v_cndmask_b32_e32 v3, v50, v3, vcc_lo
	v_and_b32_e32 v30, 3, v30
	v_lshl_add_u32 v3, v3, 23, 0x37800000
	v_cndmask_b32_e32 v2, v2, v30, vcc_lo
	v_and_b32_e32 v30, 0x80000000, v38
	v_lshlrev_b32_e32 v2, 21, v2
	v_or3_b32 v2, v30, v3, v2
.LBB6_553:                              ;   in Loop: Header=BB6_130 Depth=2
	s_or_b32 exec_lo, exec_lo, s29
	v_max_f32_e32 v2, v2, v2
	v_max_f32_e32 v3, v119, v119
	v_min_f32_e32 v119, v3, v2
.LBB6_554:                              ;   in Loop: Header=BB6_130 Depth=2
	v_and_b32_e32 v2, 0x7f800000, v119
	v_mov_b32_e32 v38, 0x8000
	s_mov_b32 s29, exec_lo
	v_cmpx_ne_u32_e32 0x7f800000, v2
	s_cbranch_execz .LBB6_562
; %bb.555:                              ;   in Loop: Header=BB6_130 Depth=2
	v_mov_b32_e32 v38, 0
	s_mov_b32 s40, exec_lo
	v_cmpx_ne_u32_e32 0, v119
	s_cbranch_execz .LBB6_561
; %bb.556:                              ;   in Loop: Header=BB6_130 Depth=2
	v_bfe_u32 v2, v119, 23, 8
	v_and_b32_e32 v3, 0x7fffff, v119
	v_sub_nc_u32_e32 v30, 0x70, v2
	v_cmp_gt_u32_e32 vcc_lo, 0x71, v2
	v_or_b32_e32 v38, 0x800000, v3
	v_cndmask_b32_e32 v30, 0, v30, vcc_lo
	v_cmp_eq_u32_e32 vcc_lo, 0, v2
	v_add_nc_u32_e32 v2, 0xffffff91, v2
	v_cndmask_b32_e64 v30, v30, 0x6f, vcc_lo
	v_cndmask_b32_e32 v3, v38, v3, vcc_lo
	v_cndmask_b32_e64 v2, v2, 0xffffff92, vcc_lo
	v_lshl_add_u32 v50, 0x200000, v30, -1
	v_lshrrev_b32_e32 v38, v30, v3
	v_lshlrev_b32_e64 v42, v30, 0x100000
	v_add_nc_u32_e32 v2, v30, v2
	v_and_b32_e32 v3, v50, v3
	v_bfe_u32 v40, v38, 21, 1
	v_cmp_eq_u32_e64 s13, v3, v42
	v_add_nc_u32_e32 v50, -1, v40
	v_cndmask_b32_e64 v3, 0, v50, s13
	v_lshrrev_b32_e32 v50, 23, v38
	s_mov_b32 s13, exec_lo
	v_add_nc_u32_e32 v3, v3, v38
	v_and_b32_e32 v30, 0x1fffff, v3
	v_xor_b32_e32 v3, 1, v50
	v_add_nc_u32_e32 v38, v30, v38
                                        ; implicit-def: $vgpr30
	v_cmpx_ne_u32_e64 v2, v3
	s_xor_b32 s13, exec_lo, s13
; %bb.557:                              ;   in Loop: Header=BB6_130 Depth=2
	v_cmp_lt_u32_e32 vcc_lo, 0xffffff, v38
	v_sub_nc_u32_e32 v2, v2, v3
	v_cndmask_b32_e64 v3, 0, 1, vcc_lo
	v_add_co_ci_u32_e64 v30, null, 0, v2, vcc_lo
	v_lshrrev_b32_e32 v38, v3, v38
; %bb.558:                              ;   in Loop: Header=BB6_130 Depth=2
	s_andn2_saveexec_b32 s13, s13
; %bb.559:                              ;   in Loop: Header=BB6_130 Depth=2
	v_bfe_u32 v30, v38, 23, 1
; %bb.560:                              ;   in Loop: Header=BB6_130 Depth=2
	s_or_b32 exec_lo, exec_lo, s13
	v_lshrrev_b32_e32 v2, 21, v38
	v_min_i32_e32 v3, 31, v30
	v_cmp_gt_i32_e32 vcc_lo, 32, v30
	v_and_b32_sdwa v38, v119, v58 dst_sel:DWORD dst_unused:UNUSED_PAD src0_sel:BYTE_3 src1_sel:DWORD
	v_lshlrev_b32_e32 v3, 2, v3
	v_cndmask_b32_e32 v2, 3, v2, vcc_lo
	v_and_b32_e32 v3, 0xfc, v3
	v_and_b32_e32 v50, 3, v2
	v_or_b32_e32 v2, v30, v2
	v_or3_b32 v3, v38, v3, v50
	v_cmp_ne_u32_e32 vcc_lo, 0, v2
	v_lshlrev_b32_e32 v3, 8, v3
	v_cndmask_b32_e32 v38, 0, v3, vcc_lo
.LBB6_561:                              ;   in Loop: Header=BB6_130 Depth=2
	s_or_b32 exec_lo, exec_lo, s40
.LBB6_562:                              ;   in Loop: Header=BB6_130 Depth=2
	s_or_b32 exec_lo, exec_lo, s29
	v_cmp_gt_i16_sdwa s29, v51, v57 src0_sel:BYTE_0 src1_sel:DWORD
	s_and_b32 vcc_lo, exec_lo, s28
	s_mov_b32 s13, -1
                                        ; implicit-def: $vgpr119
	s_cbranch_vccz .LBB6_576
; %bb.563:                              ;   in Loop: Header=BB6_130 Depth=2
	s_mov_b32 s13, 0
	s_and_saveexec_b32 s40, s29
	s_xor_b32 s29, exec_lo, s40
	s_cbranch_execz .LBB6_2528
; %bb.564:                              ;   in Loop: Header=BB6_130 Depth=2
	v_cmp_eq_u16_sdwa s41, v51, v58 src0_sel:BYTE_0 src1_sel:DWORD
	s_mov_b32 s13, -1
	s_and_saveexec_b32 s40, s41
; %bb.565:                              ;   in Loop: Header=BB6_130 Depth=2
	s_xor_b32 s13, exec_lo, -1
; %bb.566:                              ;   in Loop: Header=BB6_130 Depth=2
	s_or_b32 exec_lo, exec_lo, s40
	s_and_b32 s13, s13, exec_lo
	s_or_saveexec_b32 s29, s29
	v_mov_b32_e32 v50, 0x7f800001
	s_xor_b32 exec_lo, exec_lo, s29
	s_cbranch_execnz .LBB6_2529
.LBB6_567:                              ;   in Loop: Header=BB6_130 Depth=2
	s_or_b32 exec_lo, exec_lo, s29
	s_and_saveexec_b32 s29, s13
	s_cbranch_execz .LBB6_569
.LBB6_568:                              ;   in Loop: Header=BB6_130 Depth=2
	v_and_b32_e32 v2, 3, v51
	v_bfe_u32 v50, v51, 2, 5
	v_lshlrev_b32_e32 v119, 24, v51
	v_ffbh_u32_e32 v3, v2
	v_cmp_eq_u32_e32 vcc_lo, 0, v50
	v_min_u32_e32 v3, 32, v3
	v_subrev_nc_u32_e32 v30, 29, v3
	v_sub_nc_u32_e32 v3, 30, v3
	v_lshlrev_b32_e32 v30, v30, v51
	v_cndmask_b32_e32 v3, v50, v3, vcc_lo
	v_and_b32_e32 v30, 3, v30
	v_lshl_add_u32 v3, v3, 23, 0x37800000
	v_cndmask_b32_e32 v2, v2, v30, vcc_lo
	v_and_b32_e32 v30, 0x80000000, v119
	v_lshlrev_b32_e32 v2, 21, v2
	v_or3_b32 v50, v30, v3, v2
.LBB6_569:                              ;   in Loop: Header=BB6_130 Depth=2
	s_or_b32 exec_lo, exec_lo, s29
	v_cmp_gt_i16_sdwa s29, v39, v57 src0_sel:BYTE_0 src1_sel:DWORD
	s_mov_b32 s13, 0
	s_and_saveexec_b32 s40, s29
	s_xor_b32 s29, exec_lo, s40
	s_cbranch_execz .LBB6_2530
; %bb.570:                              ;   in Loop: Header=BB6_130 Depth=2
	v_cmp_eq_u16_sdwa s41, v39, v58 src0_sel:BYTE_0 src1_sel:DWORD
	s_mov_b32 s13, -1
	s_and_saveexec_b32 s40, s41
; %bb.571:                              ;   in Loop: Header=BB6_130 Depth=2
	s_xor_b32 s13, exec_lo, -1
; %bb.572:                              ;   in Loop: Header=BB6_130 Depth=2
	s_or_b32 exec_lo, exec_lo, s40
	s_and_b32 s13, s13, exec_lo
	s_or_saveexec_b32 s29, s29
	v_mov_b32_e32 v2, 0x7f800001
	s_xor_b32 exec_lo, exec_lo, s29
	s_cbranch_execnz .LBB6_2531
.LBB6_573:                              ;   in Loop: Header=BB6_130 Depth=2
	s_or_b32 exec_lo, exec_lo, s29
	s_and_saveexec_b32 s29, s13
	s_cbranch_execz .LBB6_575
.LBB6_574:                              ;   in Loop: Header=BB6_130 Depth=2
	v_and_b32_e32 v2, 3, v39
	v_bfe_u32 v119, v39, 2, 5
	v_lshlrev_b32_e32 v40, 24, v39
	v_ffbh_u32_e32 v3, v2
	v_cmp_eq_u32_e32 vcc_lo, 0, v119
	v_min_u32_e32 v3, 32, v3
	v_subrev_nc_u32_e32 v30, 29, v3
	v_sub_nc_u32_e32 v3, 30, v3
	v_lshlrev_b32_e32 v30, v30, v39
	v_cndmask_b32_e32 v3, v119, v3, vcc_lo
	v_and_b32_e32 v30, 3, v30
	v_lshl_add_u32 v3, v3, 23, 0x37800000
	v_cndmask_b32_e32 v2, v2, v30, vcc_lo
	v_and_b32_e32 v30, 0x80000000, v40
	v_lshlrev_b32_e32 v2, 21, v2
	v_or3_b32 v2, v30, v3, v2
.LBB6_575:                              ;   in Loop: Header=BB6_130 Depth=2
	s_or_b32 exec_lo, exec_lo, s29
	v_max_f32_e32 v2, v2, v2
	v_max_f32_e32 v3, v50, v50
	s_mov_b32 s13, 0
	v_max_f32_e32 v119, v3, v2
.LBB6_576:                              ;   in Loop: Header=BB6_130 Depth=2
	s_and_b32 vcc_lo, exec_lo, s13
	s_cbranch_vccz .LBB6_590
; %bb.577:                              ;   in Loop: Header=BB6_130 Depth=2
	v_cmp_gt_i16_sdwa s29, v51, v57 src0_sel:BYTE_0 src1_sel:DWORD
	s_mov_b32 s13, 0
	s_and_saveexec_b32 s40, s29
	s_xor_b32 s29, exec_lo, s40
	s_cbranch_execz .LBB6_2532
; %bb.578:                              ;   in Loop: Header=BB6_130 Depth=2
	v_cmp_eq_u16_sdwa s41, v51, v58 src0_sel:BYTE_0 src1_sel:DWORD
	s_mov_b32 s13, -1
	s_and_saveexec_b32 s40, s41
; %bb.579:                              ;   in Loop: Header=BB6_130 Depth=2
	s_xor_b32 s13, exec_lo, -1
; %bb.580:                              ;   in Loop: Header=BB6_130 Depth=2
	s_or_b32 exec_lo, exec_lo, s40
	s_and_b32 s13, s13, exec_lo
	s_or_saveexec_b32 s29, s29
	v_mov_b32_e32 v50, 0x7f800001
	s_xor_b32 exec_lo, exec_lo, s29
	s_cbranch_execnz .LBB6_2533
.LBB6_581:                              ;   in Loop: Header=BB6_130 Depth=2
	s_or_b32 exec_lo, exec_lo, s29
	s_and_saveexec_b32 s29, s13
	s_cbranch_execz .LBB6_583
.LBB6_582:                              ;   in Loop: Header=BB6_130 Depth=2
	v_and_b32_e32 v2, 3, v51
	v_bfe_u32 v50, v51, 2, 5
	v_lshlrev_b32_e32 v119, 24, v51
	v_ffbh_u32_e32 v3, v2
	v_cmp_eq_u32_e32 vcc_lo, 0, v50
	v_min_u32_e32 v3, 32, v3
	v_subrev_nc_u32_e32 v30, 29, v3
	v_sub_nc_u32_e32 v3, 30, v3
	v_lshlrev_b32_e32 v30, v30, v51
	v_cndmask_b32_e32 v3, v50, v3, vcc_lo
	v_and_b32_e32 v30, 3, v30
	v_lshl_add_u32 v3, v3, 23, 0x37800000
	v_cndmask_b32_e32 v2, v2, v30, vcc_lo
	v_and_b32_e32 v30, 0x80000000, v119
	v_lshlrev_b32_e32 v2, 21, v2
	v_or3_b32 v50, v30, v3, v2
.LBB6_583:                              ;   in Loop: Header=BB6_130 Depth=2
	s_or_b32 exec_lo, exec_lo, s29
	v_cmp_gt_i16_sdwa s29, v39, v57 src0_sel:BYTE_0 src1_sel:DWORD
	s_mov_b32 s13, 0
	s_and_saveexec_b32 s40, s29
	s_xor_b32 s29, exec_lo, s40
	s_cbranch_execz .LBB6_2534
; %bb.584:                              ;   in Loop: Header=BB6_130 Depth=2
	v_cmp_eq_u16_sdwa s41, v39, v58 src0_sel:BYTE_0 src1_sel:DWORD
	s_mov_b32 s13, -1
	s_and_saveexec_b32 s40, s41
; %bb.585:                              ;   in Loop: Header=BB6_130 Depth=2
	s_xor_b32 s13, exec_lo, -1
; %bb.586:                              ;   in Loop: Header=BB6_130 Depth=2
	s_or_b32 exec_lo, exec_lo, s40
	s_and_b32 s13, s13, exec_lo
	s_or_saveexec_b32 s29, s29
	v_mov_b32_e32 v2, 0x7f800001
	s_xor_b32 exec_lo, exec_lo, s29
	s_cbranch_execnz .LBB6_2535
.LBB6_587:                              ;   in Loop: Header=BB6_130 Depth=2
	s_or_b32 exec_lo, exec_lo, s29
	s_and_saveexec_b32 s29, s13
	s_cbranch_execz .LBB6_589
.LBB6_588:                              ;   in Loop: Header=BB6_130 Depth=2
	v_and_b32_e32 v2, 3, v39
	v_bfe_u32 v119, v39, 2, 5
	v_lshlrev_b32_e32 v40, 24, v39
	v_ffbh_u32_e32 v3, v2
	v_cmp_eq_u32_e32 vcc_lo, 0, v119
	v_min_u32_e32 v3, 32, v3
	v_subrev_nc_u32_e32 v30, 29, v3
	v_sub_nc_u32_e32 v3, 30, v3
	v_lshlrev_b32_e32 v30, v30, v39
	v_cndmask_b32_e32 v3, v119, v3, vcc_lo
	v_and_b32_e32 v30, 3, v30
	v_lshl_add_u32 v3, v3, 23, 0x37800000
	v_cndmask_b32_e32 v2, v2, v30, vcc_lo
	v_and_b32_e32 v30, 0x80000000, v40
	v_lshlrev_b32_e32 v2, 21, v2
	v_or3_b32 v2, v30, v3, v2
.LBB6_589:                              ;   in Loop: Header=BB6_130 Depth=2
	s_or_b32 exec_lo, exec_lo, s29
	v_max_f32_e32 v2, v2, v2
	v_max_f32_e32 v3, v50, v50
	v_min_f32_e32 v119, v3, v2
.LBB6_590:                              ;   in Loop: Header=BB6_130 Depth=2
	v_and_b32_e32 v2, 0x7f800000, v119
	v_mov_b32_e32 v50, 0x80
	s_mov_b32 s29, exec_lo
	v_cmpx_ne_u32_e32 0x7f800000, v2
	s_cbranch_execz .LBB6_598
; %bb.591:                              ;   in Loop: Header=BB6_130 Depth=2
	v_mov_b32_e32 v50, 0
	s_mov_b32 s40, exec_lo
	v_cmpx_ne_u32_e32 0, v119
	s_cbranch_execz .LBB6_597
; %bb.592:                              ;   in Loop: Header=BB6_130 Depth=2
	v_bfe_u32 v2, v119, 23, 8
	v_and_b32_e32 v3, 0x7fffff, v119
	v_sub_nc_u32_e32 v30, 0x70, v2
	v_cmp_gt_u32_e32 vcc_lo, 0x71, v2
	v_or_b32_e32 v50, 0x800000, v3
	v_cndmask_b32_e32 v30, 0, v30, vcc_lo
	v_cmp_eq_u32_e32 vcc_lo, 0, v2
	v_add_nc_u32_e32 v2, 0xffffff91, v2
	v_cndmask_b32_e64 v30, v30, 0x6f, vcc_lo
	v_cndmask_b32_e32 v3, v50, v3, vcc_lo
	v_cndmask_b32_e64 v2, v2, 0xffffff92, vcc_lo
	v_lshl_add_u32 v40, 0x200000, v30, -1
	v_lshrrev_b32_e32 v50, v30, v3
	v_lshlrev_b32_e64 v78, v30, 0x100000
	v_add_nc_u32_e32 v2, v30, v2
	v_and_b32_e32 v3, v40, v3
	v_bfe_u32 v42, v50, 21, 1
	v_cmp_eq_u32_e64 s13, v3, v78
	v_add_nc_u32_e32 v40, -1, v42
	v_cndmask_b32_e64 v3, 0, v40, s13
	v_lshrrev_b32_e32 v40, 23, v50
	s_mov_b32 s13, exec_lo
	v_add_nc_u32_e32 v3, v3, v50
	v_and_b32_e32 v30, 0x1fffff, v3
	v_xor_b32_e32 v3, 1, v40
	v_add_nc_u32_e32 v50, v30, v50
                                        ; implicit-def: $vgpr30
	v_cmpx_ne_u32_e64 v2, v3
	s_xor_b32 s13, exec_lo, s13
; %bb.593:                              ;   in Loop: Header=BB6_130 Depth=2
	v_cmp_lt_u32_e32 vcc_lo, 0xffffff, v50
	v_sub_nc_u32_e32 v2, v2, v3
	v_cndmask_b32_e64 v3, 0, 1, vcc_lo
	v_add_co_ci_u32_e64 v30, null, 0, v2, vcc_lo
	v_lshrrev_b32_e32 v50, v3, v50
; %bb.594:                              ;   in Loop: Header=BB6_130 Depth=2
	s_andn2_saveexec_b32 s13, s13
; %bb.595:                              ;   in Loop: Header=BB6_130 Depth=2
	v_bfe_u32 v30, v50, 23, 1
; %bb.596:                              ;   in Loop: Header=BB6_130 Depth=2
	s_or_b32 exec_lo, exec_lo, s13
	v_lshrrev_b32_e32 v2, 21, v50
	v_min_i32_e32 v3, 31, v30
	v_cmp_gt_i32_e32 vcc_lo, 32, v30
	v_and_b32_sdwa v50, v119, v58 dst_sel:DWORD dst_unused:UNUSED_PAD src0_sel:BYTE_3 src1_sel:DWORD
	v_lshlrev_b32_e32 v3, 2, v3
	v_cndmask_b32_e32 v2, 3, v2, vcc_lo
	v_and_b32_e32 v3, 0xfc, v3
	v_and_b32_e32 v119, 3, v2
	v_or_b32_e32 v2, v30, v2
	v_or3_b32 v3, v3, v50, v119
	v_cmp_ne_u32_e32 vcc_lo, 0, v2
	v_cndmask_b32_e32 v50, 0, v3, vcc_lo
.LBB6_597:                              ;   in Loop: Header=BB6_130 Depth=2
	s_or_b32 exec_lo, exec_lo, s40
.LBB6_598:                              ;   in Loop: Header=BB6_130 Depth=2
	s_or_b32 exec_lo, exec_lo, s29
	v_cmp_gt_i16_sdwa s29, v51, v57 src0_sel:BYTE_1 src1_sel:DWORD
	s_and_b32 vcc_lo, exec_lo, s28
	s_mov_b32 s13, -1
                                        ; implicit-def: $vgpr119
	s_cbranch_vccz .LBB6_612
; %bb.599:                              ;   in Loop: Header=BB6_130 Depth=2
	s_mov_b32 s13, 0
	s_and_saveexec_b32 s40, s29
	s_xor_b32 s29, exec_lo, s40
	s_cbranch_execz .LBB6_2536
; %bb.600:                              ;   in Loop: Header=BB6_130 Depth=2
	v_cmp_eq_u16_sdwa s41, v51, v58 src0_sel:BYTE_1 src1_sel:DWORD
	s_mov_b32 s13, -1
	s_and_saveexec_b32 s40, s41
; %bb.601:                              ;   in Loop: Header=BB6_130 Depth=2
	s_xor_b32 s13, exec_lo, -1
; %bb.602:                              ;   in Loop: Header=BB6_130 Depth=2
	s_or_b32 exec_lo, exec_lo, s40
	s_and_b32 s13, s13, exec_lo
	s_or_saveexec_b32 s29, s29
	v_mov_b32_e32 v119, 0x7f800001
	s_xor_b32 exec_lo, exec_lo, s29
	s_cbranch_execnz .LBB6_2537
.LBB6_603:                              ;   in Loop: Header=BB6_130 Depth=2
	s_or_b32 exec_lo, exec_lo, s29
	s_and_saveexec_b32 s29, s13
	s_cbranch_execz .LBB6_605
.LBB6_604:                              ;   in Loop: Header=BB6_130 Depth=2
	v_and_b32_sdwa v2, v59, v51 dst_sel:DWORD dst_unused:UNUSED_PAD src0_sel:DWORD src1_sel:BYTE_1
	v_and_b32_e32 v3, 3, v2
	v_bfe_u32 v40, v2, 2, 5
	v_ffbh_u32_e32 v30, v3
	v_cmp_eq_u32_e32 vcc_lo, 0, v40
	v_min_u32_e32 v30, 32, v30
	v_subrev_nc_u32_e32 v119, 29, v30
	v_sub_nc_u32_e32 v30, 30, v30
	v_lshlrev_b32_e32 v2, v119, v2
	v_lshlrev_b32_e32 v119, 16, v51
	v_cndmask_b32_e32 v30, v40, v30, vcc_lo
	v_and_b32_e32 v2, 3, v2
	v_lshl_add_u32 v30, v30, 23, 0x37800000
	v_cndmask_b32_e32 v2, v3, v2, vcc_lo
	v_and_b32_e32 v3, 0x80000000, v119
	v_lshlrev_b32_e32 v2, 21, v2
	v_or3_b32 v119, v3, v30, v2
.LBB6_605:                              ;   in Loop: Header=BB6_130 Depth=2
	s_or_b32 exec_lo, exec_lo, s29
	v_cmp_gt_i16_sdwa s29, v39, v57 src0_sel:BYTE_1 src1_sel:DWORD
	s_mov_b32 s13, 0
	s_and_saveexec_b32 s40, s29
	s_xor_b32 s29, exec_lo, s40
	s_cbranch_execz .LBB6_2538
; %bb.606:                              ;   in Loop: Header=BB6_130 Depth=2
	v_cmp_eq_u16_sdwa s41, v39, v58 src0_sel:BYTE_1 src1_sel:DWORD
	s_mov_b32 s13, -1
	s_and_saveexec_b32 s40, s41
; %bb.607:                              ;   in Loop: Header=BB6_130 Depth=2
	s_xor_b32 s13, exec_lo, -1
; %bb.608:                              ;   in Loop: Header=BB6_130 Depth=2
	s_or_b32 exec_lo, exec_lo, s40
	s_and_b32 s13, s13, exec_lo
	s_or_saveexec_b32 s29, s29
	v_mov_b32_e32 v2, 0x7f800001
	s_xor_b32 exec_lo, exec_lo, s29
	s_cbranch_execnz .LBB6_2539
.LBB6_609:                              ;   in Loop: Header=BB6_130 Depth=2
	s_or_b32 exec_lo, exec_lo, s29
	s_and_saveexec_b32 s29, s13
	s_cbranch_execz .LBB6_611
.LBB6_610:                              ;   in Loop: Header=BB6_130 Depth=2
	v_and_b32_sdwa v2, v59, v39 dst_sel:DWORD dst_unused:UNUSED_PAD src0_sel:DWORD src1_sel:BYTE_1
	v_and_b32_e32 v3, 3, v2
	v_bfe_u32 v42, v2, 2, 5
	v_ffbh_u32_e32 v30, v3
	v_cmp_eq_u32_e32 vcc_lo, 0, v42
	v_min_u32_e32 v30, 32, v30
	v_subrev_nc_u32_e32 v40, 29, v30
	v_sub_nc_u32_e32 v30, 30, v30
	v_lshlrev_b32_e32 v2, v40, v2
	v_lshlrev_b32_e32 v40, 16, v39
	v_cndmask_b32_e32 v30, v42, v30, vcc_lo
	v_and_b32_e32 v2, 3, v2
	v_lshl_add_u32 v30, v30, 23, 0x37800000
	v_cndmask_b32_e32 v2, v3, v2, vcc_lo
	v_and_b32_e32 v3, 0x80000000, v40
	v_lshlrev_b32_e32 v2, 21, v2
	v_or3_b32 v2, v3, v30, v2
.LBB6_611:                              ;   in Loop: Header=BB6_130 Depth=2
	s_or_b32 exec_lo, exec_lo, s29
	v_max_f32_e32 v2, v2, v2
	v_max_f32_e32 v3, v119, v119
	s_mov_b32 s13, 0
	v_max_f32_e32 v119, v3, v2
.LBB6_612:                              ;   in Loop: Header=BB6_130 Depth=2
	s_and_b32 vcc_lo, exec_lo, s13
	s_cbranch_vccz .LBB6_626
; %bb.613:                              ;   in Loop: Header=BB6_130 Depth=2
	v_cmp_gt_i16_sdwa s29, v51, v57 src0_sel:BYTE_1 src1_sel:DWORD
	s_mov_b32 s13, 0
	s_and_saveexec_b32 s40, s29
	s_xor_b32 s29, exec_lo, s40
	s_cbranch_execz .LBB6_2540
; %bb.614:                              ;   in Loop: Header=BB6_130 Depth=2
	v_cmp_eq_u16_sdwa s41, v51, v58 src0_sel:BYTE_1 src1_sel:DWORD
	s_mov_b32 s13, -1
	s_and_saveexec_b32 s40, s41
; %bb.615:                              ;   in Loop: Header=BB6_130 Depth=2
	s_xor_b32 s13, exec_lo, -1
; %bb.616:                              ;   in Loop: Header=BB6_130 Depth=2
	s_or_b32 exec_lo, exec_lo, s40
	s_and_b32 s13, s13, exec_lo
	s_or_saveexec_b32 s29, s29
	v_mov_b32_e32 v119, 0x7f800001
	s_xor_b32 exec_lo, exec_lo, s29
	s_cbranch_execnz .LBB6_2541
.LBB6_617:                              ;   in Loop: Header=BB6_130 Depth=2
	s_or_b32 exec_lo, exec_lo, s29
	s_and_saveexec_b32 s29, s13
	s_cbranch_execz .LBB6_619
.LBB6_618:                              ;   in Loop: Header=BB6_130 Depth=2
	v_and_b32_sdwa v2, v59, v51 dst_sel:DWORD dst_unused:UNUSED_PAD src0_sel:DWORD src1_sel:BYTE_1
	v_and_b32_e32 v3, 3, v2
	v_bfe_u32 v40, v2, 2, 5
	v_ffbh_u32_e32 v30, v3
	v_cmp_eq_u32_e32 vcc_lo, 0, v40
	v_min_u32_e32 v30, 32, v30
	v_subrev_nc_u32_e32 v119, 29, v30
	v_sub_nc_u32_e32 v30, 30, v30
	v_lshlrev_b32_e32 v2, v119, v2
	v_lshlrev_b32_e32 v119, 16, v51
	v_cndmask_b32_e32 v30, v40, v30, vcc_lo
	v_and_b32_e32 v2, 3, v2
	v_lshl_add_u32 v30, v30, 23, 0x37800000
	v_cndmask_b32_e32 v2, v3, v2, vcc_lo
	v_and_b32_e32 v3, 0x80000000, v119
	v_lshlrev_b32_e32 v2, 21, v2
	v_or3_b32 v119, v3, v30, v2
.LBB6_619:                              ;   in Loop: Header=BB6_130 Depth=2
	s_or_b32 exec_lo, exec_lo, s29
	v_cmp_gt_i16_sdwa s29, v39, v57 src0_sel:BYTE_1 src1_sel:DWORD
	s_mov_b32 s13, 0
	s_and_saveexec_b32 s40, s29
	s_xor_b32 s29, exec_lo, s40
	s_cbranch_execz .LBB6_2542
; %bb.620:                              ;   in Loop: Header=BB6_130 Depth=2
	v_cmp_eq_u16_sdwa s41, v39, v58 src0_sel:BYTE_1 src1_sel:DWORD
	s_mov_b32 s13, -1
	s_and_saveexec_b32 s40, s41
; %bb.621:                              ;   in Loop: Header=BB6_130 Depth=2
	s_xor_b32 s13, exec_lo, -1
; %bb.622:                              ;   in Loop: Header=BB6_130 Depth=2
	s_or_b32 exec_lo, exec_lo, s40
	s_and_b32 s13, s13, exec_lo
	s_or_saveexec_b32 s29, s29
	v_mov_b32_e32 v2, 0x7f800001
	s_xor_b32 exec_lo, exec_lo, s29
	s_cbranch_execnz .LBB6_2543
.LBB6_623:                              ;   in Loop: Header=BB6_130 Depth=2
	s_or_b32 exec_lo, exec_lo, s29
	s_and_saveexec_b32 s29, s13
	s_cbranch_execz .LBB6_625
.LBB6_624:                              ;   in Loop: Header=BB6_130 Depth=2
	v_and_b32_sdwa v2, v59, v39 dst_sel:DWORD dst_unused:UNUSED_PAD src0_sel:DWORD src1_sel:BYTE_1
	v_and_b32_e32 v3, 3, v2
	v_bfe_u32 v42, v2, 2, 5
	v_ffbh_u32_e32 v30, v3
	v_cmp_eq_u32_e32 vcc_lo, 0, v42
	v_min_u32_e32 v30, 32, v30
	v_subrev_nc_u32_e32 v40, 29, v30
	v_sub_nc_u32_e32 v30, 30, v30
	v_lshlrev_b32_e32 v2, v40, v2
	v_lshlrev_b32_e32 v40, 16, v39
	v_cndmask_b32_e32 v30, v42, v30, vcc_lo
	v_and_b32_e32 v2, 3, v2
	v_lshl_add_u32 v30, v30, 23, 0x37800000
	v_cndmask_b32_e32 v2, v3, v2, vcc_lo
	v_and_b32_e32 v3, 0x80000000, v40
	v_lshlrev_b32_e32 v2, 21, v2
	v_or3_b32 v2, v3, v30, v2
.LBB6_625:                              ;   in Loop: Header=BB6_130 Depth=2
	s_or_b32 exec_lo, exec_lo, s29
	v_max_f32_e32 v2, v2, v2
	v_max_f32_e32 v3, v119, v119
	v_min_f32_e32 v119, v3, v2
.LBB6_626:                              ;   in Loop: Header=BB6_130 Depth=2
	v_and_b32_e32 v2, 0x7f800000, v119
	v_mov_b32_e32 v78, 0x8000
	s_mov_b32 s29, exec_lo
	v_cmpx_ne_u32_e32 0x7f800000, v2
	s_cbranch_execz .LBB6_634
; %bb.627:                              ;   in Loop: Header=BB6_130 Depth=2
	v_mov_b32_e32 v78, 0
	s_mov_b32 s40, exec_lo
	v_cmpx_ne_u32_e32 0, v119
	s_cbranch_execz .LBB6_633
; %bb.628:                              ;   in Loop: Header=BB6_130 Depth=2
	v_bfe_u32 v2, v119, 23, 8
	v_and_b32_e32 v3, 0x7fffff, v119
	v_sub_nc_u32_e32 v30, 0x70, v2
	v_cmp_gt_u32_e32 vcc_lo, 0x71, v2
	v_or_b32_e32 v40, 0x800000, v3
	v_cndmask_b32_e32 v30, 0, v30, vcc_lo
	v_cmp_eq_u32_e32 vcc_lo, 0, v2
	v_add_nc_u32_e32 v2, 0xffffff91, v2
	v_cndmask_b32_e64 v30, v30, 0x6f, vcc_lo
	v_cndmask_b32_e32 v3, v40, v3, vcc_lo
	v_cndmask_b32_e64 v2, v2, 0xffffff92, vcc_lo
	v_lshl_add_u32 v42, 0x200000, v30, -1
	v_lshrrev_b32_e32 v40, v30, v3
	v_lshlrev_b32_e64 v79, v30, 0x100000
	v_add_nc_u32_e32 v2, v30, v2
	v_and_b32_e32 v3, v42, v3
	v_bfe_u32 v78, v40, 21, 1
	v_cmp_eq_u32_e64 s13, v3, v79
	v_add_nc_u32_e32 v42, -1, v78
	v_cndmask_b32_e64 v3, 0, v42, s13
	v_lshrrev_b32_e32 v42, 23, v40
	s_mov_b32 s13, exec_lo
	v_add_nc_u32_e32 v3, v3, v40
	v_and_b32_e32 v30, 0x1fffff, v3
	v_xor_b32_e32 v3, 1, v42
	v_add_nc_u32_e32 v40, v30, v40
                                        ; implicit-def: $vgpr30
	v_cmpx_ne_u32_e64 v2, v3
	s_xor_b32 s13, exec_lo, s13
; %bb.629:                              ;   in Loop: Header=BB6_130 Depth=2
	v_cmp_lt_u32_e32 vcc_lo, 0xffffff, v40
	v_sub_nc_u32_e32 v2, v2, v3
	v_cndmask_b32_e64 v3, 0, 1, vcc_lo
	v_add_co_ci_u32_e64 v30, null, 0, v2, vcc_lo
	v_lshrrev_b32_e32 v40, v3, v40
; %bb.630:                              ;   in Loop: Header=BB6_130 Depth=2
	s_andn2_saveexec_b32 s13, s13
; %bb.631:                              ;   in Loop: Header=BB6_130 Depth=2
	v_bfe_u32 v30, v40, 23, 1
; %bb.632:                              ;   in Loop: Header=BB6_130 Depth=2
	s_or_b32 exec_lo, exec_lo, s13
	v_lshrrev_b32_e32 v2, 21, v40
	v_min_i32_e32 v3, 31, v30
	v_cmp_gt_i32_e32 vcc_lo, 32, v30
	v_and_b32_sdwa v119, v119, v58 dst_sel:DWORD dst_unused:UNUSED_PAD src0_sel:BYTE_3 src1_sel:DWORD
	v_lshlrev_b32_e32 v3, 2, v3
	v_cndmask_b32_e32 v2, 3, v2, vcc_lo
	v_and_b32_e32 v3, 0xfc, v3
	v_and_b32_e32 v40, 3, v2
	v_or_b32_e32 v2, v30, v2
	v_or3_b32 v3, v119, v3, v40
	v_cmp_ne_u32_e32 vcc_lo, 0, v2
	v_lshlrev_b32_e32 v3, 8, v3
	v_cndmask_b32_e32 v78, 0, v3, vcc_lo
.LBB6_633:                              ;   in Loop: Header=BB6_130 Depth=2
	s_or_b32 exec_lo, exec_lo, s40
.LBB6_634:                              ;   in Loop: Header=BB6_130 Depth=2
	s_or_b32 exec_lo, exec_lo, s29
	v_and_b32_sdwa v119, v51, v60 dst_sel:DWORD dst_unused:UNUSED_PAD src0_sel:WORD_1 src1_sel:DWORD
	s_and_b32 vcc_lo, exec_lo, s28
	s_mov_b32 s29, -1
                                        ; implicit-def: $vgpr40
	v_cmp_lt_i16_e64 s13, 0x7f, v119
	s_cbranch_vccz .LBB6_648
; %bb.635:                              ;   in Loop: Header=BB6_130 Depth=2
	s_mov_b32 s29, 0
	s_and_saveexec_b32 s40, s13
	s_xor_b32 s13, exec_lo, s40
	s_cbranch_execz .LBB6_2544
; %bb.636:                              ;   in Loop: Header=BB6_130 Depth=2
	s_mov_b32 s29, -1
	s_mov_b32 s40, exec_lo
	v_cmpx_eq_u16_e32 0x80, v119
; %bb.637:                              ;   in Loop: Header=BB6_130 Depth=2
	s_xor_b32 s29, exec_lo, -1
; %bb.638:                              ;   in Loop: Header=BB6_130 Depth=2
	s_or_b32 exec_lo, exec_lo, s40
	s_and_b32 s29, s29, exec_lo
	s_or_saveexec_b32 s13, s13
	v_mov_b32_e32 v40, 0x7f800001
	s_xor_b32 exec_lo, exec_lo, s13
	s_cbranch_execnz .LBB6_2545
.LBB6_639:                              ;   in Loop: Header=BB6_130 Depth=2
	s_or_b32 exec_lo, exec_lo, s13
	s_and_saveexec_b32 s13, s29
	s_cbranch_execz .LBB6_641
.LBB6_640:                              ;   in Loop: Header=BB6_130 Depth=2
	v_bfe_u32 v2, v51, 16, 2
	v_bfe_u32 v40, v51, 18, 5
	v_lshlrev_b32_sdwa v42, v61, v51 dst_sel:DWORD dst_unused:UNUSED_PAD src0_sel:DWORD src1_sel:WORD_1
	v_ffbh_u32_e32 v3, v2
	v_cmp_eq_u32_e32 vcc_lo, 0, v40
	v_min_u32_e32 v3, 32, v3
	v_subrev_nc_u32_e32 v30, 29, v3
	v_sub_nc_u32_e32 v3, 30, v3
	v_lshlrev_b32_sdwa v30, v30, v51 dst_sel:DWORD dst_unused:UNUSED_PAD src0_sel:DWORD src1_sel:WORD_1
	v_cndmask_b32_e32 v3, v40, v3, vcc_lo
	v_and_b32_e32 v30, 3, v30
	v_lshl_add_u32 v3, v3, 23, 0x37800000
	v_cndmask_b32_e32 v2, v2, v30, vcc_lo
	v_and_b32_e32 v30, 0x80000000, v42
	v_lshlrev_b32_e32 v2, 21, v2
	v_or3_b32 v40, v30, v3, v2
.LBB6_641:                              ;   in Loop: Header=BB6_130 Depth=2
	s_or_b32 exec_lo, exec_lo, s13
	v_and_b32_sdwa v3, v39, v60 dst_sel:DWORD dst_unused:UNUSED_PAD src0_sel:WORD_1 src1_sel:DWORD
	s_mov_b32 s13, 0
	s_mov_b32 s29, exec_lo
	v_cmpx_lt_i16_e32 0x7f, v3
	s_xor_b32 s29, exec_lo, s29
	s_cbranch_execz .LBB6_2546
; %bb.642:                              ;   in Loop: Header=BB6_130 Depth=2
	s_mov_b32 s13, -1
	s_mov_b32 s40, exec_lo
	v_cmpx_eq_u16_e32 0x80, v3
; %bb.643:                              ;   in Loop: Header=BB6_130 Depth=2
	s_xor_b32 s13, exec_lo, -1
; %bb.644:                              ;   in Loop: Header=BB6_130 Depth=2
	s_or_b32 exec_lo, exec_lo, s40
	s_and_b32 s13, s13, exec_lo
                                        ; implicit-def: $vgpr3
	s_or_saveexec_b32 s29, s29
	v_mov_b32_e32 v2, 0x7f800001
	s_xor_b32 exec_lo, exec_lo, s29
	s_cbranch_execnz .LBB6_2547
.LBB6_645:                              ;   in Loop: Header=BB6_130 Depth=2
	s_or_b32 exec_lo, exec_lo, s29
	s_and_saveexec_b32 s29, s13
	s_cbranch_execz .LBB6_647
.LBB6_646:                              ;   in Loop: Header=BB6_130 Depth=2
	v_bfe_u32 v2, v39, 16, 2
	v_bfe_u32 v42, v39, 18, 5
	v_lshlrev_b32_sdwa v79, v61, v39 dst_sel:DWORD dst_unused:UNUSED_PAD src0_sel:DWORD src1_sel:WORD_1
	v_ffbh_u32_e32 v3, v2
	v_cmp_eq_u32_e32 vcc_lo, 0, v42
	v_min_u32_e32 v3, 32, v3
	v_subrev_nc_u32_e32 v30, 29, v3
	v_sub_nc_u32_e32 v3, 30, v3
	v_lshlrev_b32_sdwa v30, v30, v39 dst_sel:DWORD dst_unused:UNUSED_PAD src0_sel:DWORD src1_sel:WORD_1
	v_cndmask_b32_e32 v3, v42, v3, vcc_lo
	v_and_b32_e32 v30, 3, v30
	v_lshl_add_u32 v3, v3, 23, 0x37800000
	v_cndmask_b32_e32 v2, v2, v30, vcc_lo
	v_and_b32_e32 v30, 0x80000000, v79
	v_lshlrev_b32_e32 v2, 21, v2
	v_or3_b32 v2, v30, v3, v2
.LBB6_647:                              ;   in Loop: Header=BB6_130 Depth=2
	s_or_b32 exec_lo, exec_lo, s29
	v_max_f32_e32 v2, v2, v2
	v_max_f32_e32 v3, v40, v40
	s_mov_b32 s29, 0
	v_max_f32_e32 v40, v3, v2
.LBB6_648:                              ;   in Loop: Header=BB6_130 Depth=2
	s_and_b32 vcc_lo, exec_lo, s29
	s_cbranch_vccz .LBB6_662
; %bb.649:                              ;   in Loop: Header=BB6_130 Depth=2
	s_mov_b32 s13, 0
	s_mov_b32 s29, exec_lo
	v_cmpx_lt_i16_e32 0x7f, v119
	s_xor_b32 s29, exec_lo, s29
	s_cbranch_execz .LBB6_2548
; %bb.650:                              ;   in Loop: Header=BB6_130 Depth=2
	s_mov_b32 s13, -1
	s_mov_b32 s40, exec_lo
	v_cmpx_eq_u16_e32 0x80, v119
; %bb.651:                              ;   in Loop: Header=BB6_130 Depth=2
	s_xor_b32 s13, exec_lo, -1
; %bb.652:                              ;   in Loop: Header=BB6_130 Depth=2
	s_or_b32 exec_lo, exec_lo, s40
	s_and_b32 s13, s13, exec_lo
                                        ; implicit-def: $vgpr119
	s_or_saveexec_b32 s29, s29
	v_mov_b32_e32 v40, 0x7f800001
	s_xor_b32 exec_lo, exec_lo, s29
	s_cbranch_execnz .LBB6_2549
.LBB6_653:                              ;   in Loop: Header=BB6_130 Depth=2
	s_or_b32 exec_lo, exec_lo, s29
	s_and_saveexec_b32 s29, s13
	s_cbranch_execz .LBB6_655
.LBB6_654:                              ;   in Loop: Header=BB6_130 Depth=2
	v_bfe_u32 v2, v51, 16, 2
	v_bfe_u32 v119, v51, 18, 5
	v_lshlrev_b32_sdwa v40, v61, v51 dst_sel:DWORD dst_unused:UNUSED_PAD src0_sel:DWORD src1_sel:WORD_1
	v_ffbh_u32_e32 v3, v2
	v_cmp_eq_u32_e32 vcc_lo, 0, v119
	v_min_u32_e32 v3, 32, v3
	v_subrev_nc_u32_e32 v30, 29, v3
	v_sub_nc_u32_e32 v3, 30, v3
	v_lshlrev_b32_sdwa v30, v30, v51 dst_sel:DWORD dst_unused:UNUSED_PAD src0_sel:DWORD src1_sel:WORD_1
	v_cndmask_b32_e32 v3, v119, v3, vcc_lo
	v_and_b32_e32 v30, 3, v30
	v_lshl_add_u32 v3, v3, 23, 0x37800000
	v_cndmask_b32_e32 v2, v2, v30, vcc_lo
	v_and_b32_e32 v30, 0x80000000, v40
	v_lshlrev_b32_e32 v2, 21, v2
	v_or3_b32 v40, v30, v3, v2
.LBB6_655:                              ;   in Loop: Header=BB6_130 Depth=2
	s_or_b32 exec_lo, exec_lo, s29
	v_and_b32_sdwa v3, v39, v60 dst_sel:DWORD dst_unused:UNUSED_PAD src0_sel:WORD_1 src1_sel:DWORD
	s_mov_b32 s13, 0
	s_mov_b32 s29, exec_lo
	v_cmpx_lt_i16_e32 0x7f, v3
	s_xor_b32 s29, exec_lo, s29
	s_cbranch_execz .LBB6_2550
; %bb.656:                              ;   in Loop: Header=BB6_130 Depth=2
	s_mov_b32 s13, -1
	s_mov_b32 s40, exec_lo
	v_cmpx_eq_u16_e32 0x80, v3
; %bb.657:                              ;   in Loop: Header=BB6_130 Depth=2
	s_xor_b32 s13, exec_lo, -1
; %bb.658:                              ;   in Loop: Header=BB6_130 Depth=2
	s_or_b32 exec_lo, exec_lo, s40
	s_and_b32 s13, s13, exec_lo
                                        ; implicit-def: $vgpr3
	s_or_saveexec_b32 s29, s29
	v_mov_b32_e32 v2, 0x7f800001
	s_xor_b32 exec_lo, exec_lo, s29
	s_cbranch_execnz .LBB6_2551
.LBB6_659:                              ;   in Loop: Header=BB6_130 Depth=2
	s_or_b32 exec_lo, exec_lo, s29
	s_and_saveexec_b32 s29, s13
	s_cbranch_execz .LBB6_661
.LBB6_660:                              ;   in Loop: Header=BB6_130 Depth=2
	v_bfe_u32 v2, v39, 16, 2
	v_bfe_u32 v119, v39, 18, 5
	v_lshlrev_b32_sdwa v42, v61, v39 dst_sel:DWORD dst_unused:UNUSED_PAD src0_sel:DWORD src1_sel:WORD_1
	v_ffbh_u32_e32 v3, v2
	v_cmp_eq_u32_e32 vcc_lo, 0, v119
	v_min_u32_e32 v3, 32, v3
	v_subrev_nc_u32_e32 v30, 29, v3
	v_sub_nc_u32_e32 v3, 30, v3
	v_lshlrev_b32_sdwa v30, v30, v39 dst_sel:DWORD dst_unused:UNUSED_PAD src0_sel:DWORD src1_sel:WORD_1
	v_cndmask_b32_e32 v3, v119, v3, vcc_lo
	v_and_b32_e32 v30, 3, v30
	v_lshl_add_u32 v3, v3, 23, 0x37800000
	v_cndmask_b32_e32 v2, v2, v30, vcc_lo
	v_and_b32_e32 v30, 0x80000000, v42
	v_lshlrev_b32_e32 v2, 21, v2
	v_or3_b32 v2, v30, v3, v2
.LBB6_661:                              ;   in Loop: Header=BB6_130 Depth=2
	s_or_b32 exec_lo, exec_lo, s29
	v_max_f32_e32 v2, v2, v2
	v_max_f32_e32 v3, v40, v40
	v_min_f32_e32 v40, v3, v2
.LBB6_662:                              ;   in Loop: Header=BB6_130 Depth=2
	v_and_b32_e32 v2, 0x7f800000, v40
	v_mov_b32_e32 v79, 0x80
	s_mov_b32 s29, exec_lo
	v_cmpx_ne_u32_e32 0x7f800000, v2
	s_cbranch_execz .LBB6_670
; %bb.663:                              ;   in Loop: Header=BB6_130 Depth=2
	v_mov_b32_e32 v79, 0
	s_mov_b32 s40, exec_lo
	v_cmpx_ne_u32_e32 0, v40
	s_cbranch_execz .LBB6_669
; %bb.664:                              ;   in Loop: Header=BB6_130 Depth=2
	v_bfe_u32 v2, v40, 23, 8
	v_and_b32_e32 v3, 0x7fffff, v40
	v_sub_nc_u32_e32 v30, 0x70, v2
	v_cmp_gt_u32_e32 vcc_lo, 0x71, v2
	v_or_b32_e32 v119, 0x800000, v3
	v_cndmask_b32_e32 v30, 0, v30, vcc_lo
	v_cmp_eq_u32_e32 vcc_lo, 0, v2
	v_add_nc_u32_e32 v2, 0xffffff91, v2
	v_cndmask_b32_e64 v30, v30, 0x6f, vcc_lo
	v_cndmask_b32_e32 v3, v119, v3, vcc_lo
	v_cndmask_b32_e64 v2, v2, 0xffffff92, vcc_lo
	v_lshl_add_u32 v42, 0x200000, v30, -1
	v_lshrrev_b32_e32 v119, v30, v3
	v_lshlrev_b32_e64 v88, v30, 0x100000
	v_add_nc_u32_e32 v2, v30, v2
	v_and_b32_e32 v3, v42, v3
	v_bfe_u32 v79, v119, 21, 1
	v_cmp_eq_u32_e64 s13, v3, v88
	v_add_nc_u32_e32 v42, -1, v79
	v_cndmask_b32_e64 v3, 0, v42, s13
	v_lshrrev_b32_e32 v42, 23, v119
	s_mov_b32 s13, exec_lo
	v_add_nc_u32_e32 v3, v3, v119
	v_and_b32_e32 v30, 0x1fffff, v3
	v_xor_b32_e32 v3, 1, v42
	v_add_nc_u32_e32 v119, v30, v119
                                        ; implicit-def: $vgpr30
	v_cmpx_ne_u32_e64 v2, v3
	s_xor_b32 s13, exec_lo, s13
; %bb.665:                              ;   in Loop: Header=BB6_130 Depth=2
	v_cmp_lt_u32_e32 vcc_lo, 0xffffff, v119
	v_sub_nc_u32_e32 v2, v2, v3
	v_cndmask_b32_e64 v3, 0, 1, vcc_lo
	v_add_co_ci_u32_e64 v30, null, 0, v2, vcc_lo
	v_lshrrev_b32_e32 v119, v3, v119
; %bb.666:                              ;   in Loop: Header=BB6_130 Depth=2
	s_andn2_saveexec_b32 s13, s13
; %bb.667:                              ;   in Loop: Header=BB6_130 Depth=2
	v_bfe_u32 v30, v119, 23, 1
; %bb.668:                              ;   in Loop: Header=BB6_130 Depth=2
	s_or_b32 exec_lo, exec_lo, s13
	v_lshrrev_b32_e32 v2, 21, v119
	v_min_i32_e32 v3, 31, v30
	v_cmp_gt_i32_e32 vcc_lo, 32, v30
	v_and_b32_sdwa v119, v40, v58 dst_sel:DWORD dst_unused:UNUSED_PAD src0_sel:BYTE_3 src1_sel:DWORD
	v_lshlrev_b32_e32 v3, 2, v3
	v_cndmask_b32_e32 v2, 3, v2, vcc_lo
	v_and_b32_e32 v3, 0xfc, v3
	v_and_b32_e32 v40, 3, v2
	v_or_b32_e32 v2, v30, v2
	v_or3_b32 v3, v3, v119, v40
	v_cmp_ne_u32_e32 vcc_lo, 0, v2
	v_cndmask_b32_e32 v79, 0, v3, vcc_lo
.LBB6_669:                              ;   in Loop: Header=BB6_130 Depth=2
	s_or_b32 exec_lo, exec_lo, s40
.LBB6_670:                              ;   in Loop: Header=BB6_130 Depth=2
	s_or_b32 exec_lo, exec_lo, s29
	v_cmp_gt_i16_sdwa s29, v51, v57 src0_sel:BYTE_3 src1_sel:DWORD
	s_and_b32 vcc_lo, exec_lo, s28
	s_mov_b32 s13, -1
                                        ; implicit-def: $vgpr119
	s_cbranch_vccz .LBB6_684
; %bb.671:                              ;   in Loop: Header=BB6_130 Depth=2
	s_mov_b32 s13, 0
	s_and_saveexec_b32 s40, s29
	s_xor_b32 s29, exec_lo, s40
	s_cbranch_execz .LBB6_2552
; %bb.672:                              ;   in Loop: Header=BB6_130 Depth=2
	v_cmp_eq_u16_sdwa s41, v51, v58 src0_sel:BYTE_3 src1_sel:DWORD
	s_mov_b32 s13, -1
	s_and_saveexec_b32 s40, s41
; %bb.673:                              ;   in Loop: Header=BB6_130 Depth=2
	s_xor_b32 s13, exec_lo, -1
; %bb.674:                              ;   in Loop: Header=BB6_130 Depth=2
	s_or_b32 exec_lo, exec_lo, s40
	s_and_b32 s13, s13, exec_lo
	s_or_saveexec_b32 s29, s29
	v_mov_b32_e32 v119, 0x7f800001
	s_xor_b32 exec_lo, exec_lo, s29
	s_cbranch_execnz .LBB6_2553
.LBB6_675:                              ;   in Loop: Header=BB6_130 Depth=2
	s_or_b32 exec_lo, exec_lo, s29
	s_and_saveexec_b32 s29, s13
	s_cbranch_execz .LBB6_677
.LBB6_676:                              ;   in Loop: Header=BB6_130 Depth=2
	v_bfe_u32 v2, v51, 24, 2
	v_bfe_u32 v119, v51, 26, 5
	v_ffbh_u32_e32 v3, v2
	v_cmp_eq_u32_e32 vcc_lo, 0, v119
	v_min_u32_e32 v3, 32, v3
	v_subrev_nc_u32_e32 v30, 29, v3
	v_sub_nc_u32_e32 v3, 30, v3
	v_lshlrev_b32_sdwa v30, v30, v51 dst_sel:DWORD dst_unused:UNUSED_PAD src0_sel:DWORD src1_sel:BYTE_3
	v_cndmask_b32_e32 v3, v119, v3, vcc_lo
	v_and_b32_e32 v30, 3, v30
	v_lshl_add_u32 v3, v3, 23, 0x37800000
	v_cndmask_b32_e32 v2, v2, v30, vcc_lo
	v_and_b32_e32 v30, 0x80000000, v51
	v_lshlrev_b32_e32 v2, 21, v2
	v_or3_b32 v119, v30, v3, v2
.LBB6_677:                              ;   in Loop: Header=BB6_130 Depth=2
	s_or_b32 exec_lo, exec_lo, s29
	v_cmp_gt_i16_sdwa s29, v39, v57 src0_sel:BYTE_3 src1_sel:DWORD
	s_mov_b32 s13, 0
	s_and_saveexec_b32 s40, s29
	s_xor_b32 s29, exec_lo, s40
	s_cbranch_execz .LBB6_2554
; %bb.678:                              ;   in Loop: Header=BB6_130 Depth=2
	v_cmp_eq_u16_sdwa s41, v39, v58 src0_sel:BYTE_3 src1_sel:DWORD
	s_mov_b32 s13, -1
	s_and_saveexec_b32 s40, s41
; %bb.679:                              ;   in Loop: Header=BB6_130 Depth=2
	s_xor_b32 s13, exec_lo, -1
; %bb.680:                              ;   in Loop: Header=BB6_130 Depth=2
	s_or_b32 exec_lo, exec_lo, s40
	s_and_b32 s13, s13, exec_lo
	s_or_saveexec_b32 s29, s29
	v_mov_b32_e32 v2, 0x7f800001
	s_xor_b32 exec_lo, exec_lo, s29
	s_cbranch_execnz .LBB6_2555
.LBB6_681:                              ;   in Loop: Header=BB6_130 Depth=2
	s_or_b32 exec_lo, exec_lo, s29
	s_and_saveexec_b32 s29, s13
	s_cbranch_execz .LBB6_683
.LBB6_682:                              ;   in Loop: Header=BB6_130 Depth=2
	v_bfe_u32 v2, v39, 24, 2
	v_bfe_u32 v40, v39, 26, 5
	v_ffbh_u32_e32 v3, v2
	v_cmp_eq_u32_e32 vcc_lo, 0, v40
	v_min_u32_e32 v3, 32, v3
	v_subrev_nc_u32_e32 v30, 29, v3
	v_sub_nc_u32_e32 v3, 30, v3
	v_lshlrev_b32_sdwa v30, v30, v39 dst_sel:DWORD dst_unused:UNUSED_PAD src0_sel:DWORD src1_sel:BYTE_3
	v_cndmask_b32_e32 v3, v40, v3, vcc_lo
	v_and_b32_e32 v30, 3, v30
	v_lshl_add_u32 v3, v3, 23, 0x37800000
	v_cndmask_b32_e32 v2, v2, v30, vcc_lo
	v_and_b32_e32 v30, 0x80000000, v39
	v_lshlrev_b32_e32 v2, 21, v2
	v_or3_b32 v2, v30, v3, v2
.LBB6_683:                              ;   in Loop: Header=BB6_130 Depth=2
	s_or_b32 exec_lo, exec_lo, s29
	v_max_f32_e32 v2, v2, v2
	v_max_f32_e32 v3, v119, v119
	s_mov_b32 s13, 0
	v_max_f32_e32 v119, v3, v2
.LBB6_684:                              ;   in Loop: Header=BB6_130 Depth=2
	s_and_b32 vcc_lo, exec_lo, s13
	s_cbranch_vccz .LBB6_698
; %bb.685:                              ;   in Loop: Header=BB6_130 Depth=2
	v_cmp_gt_i16_sdwa s29, v51, v57 src0_sel:BYTE_3 src1_sel:DWORD
	s_mov_b32 s13, 0
	s_and_saveexec_b32 s40, s29
	s_xor_b32 s29, exec_lo, s40
	s_cbranch_execz .LBB6_2556
; %bb.686:                              ;   in Loop: Header=BB6_130 Depth=2
	v_cmp_eq_u16_sdwa s41, v51, v58 src0_sel:BYTE_3 src1_sel:DWORD
	s_mov_b32 s13, -1
	s_and_saveexec_b32 s40, s41
; %bb.687:                              ;   in Loop: Header=BB6_130 Depth=2
	s_xor_b32 s13, exec_lo, -1
; %bb.688:                              ;   in Loop: Header=BB6_130 Depth=2
	s_or_b32 exec_lo, exec_lo, s40
	s_and_b32 s13, s13, exec_lo
	s_or_saveexec_b32 s29, s29
	v_mov_b32_e32 v119, 0x7f800001
	s_xor_b32 exec_lo, exec_lo, s29
	s_cbranch_execnz .LBB6_2557
.LBB6_689:                              ;   in Loop: Header=BB6_130 Depth=2
	s_or_b32 exec_lo, exec_lo, s29
	s_and_saveexec_b32 s29, s13
	s_cbranch_execz .LBB6_691
.LBB6_690:                              ;   in Loop: Header=BB6_130 Depth=2
	v_bfe_u32 v2, v51, 24, 2
	v_bfe_u32 v119, v51, 26, 5
	v_ffbh_u32_e32 v3, v2
	v_cmp_eq_u32_e32 vcc_lo, 0, v119
	v_min_u32_e32 v3, 32, v3
	v_subrev_nc_u32_e32 v30, 29, v3
	v_sub_nc_u32_e32 v3, 30, v3
	v_lshlrev_b32_sdwa v30, v30, v51 dst_sel:DWORD dst_unused:UNUSED_PAD src0_sel:DWORD src1_sel:BYTE_3
	v_cndmask_b32_e32 v3, v119, v3, vcc_lo
	v_and_b32_e32 v30, 3, v30
	v_lshl_add_u32 v3, v3, 23, 0x37800000
	v_cndmask_b32_e32 v2, v2, v30, vcc_lo
	v_and_b32_e32 v30, 0x80000000, v51
	v_lshlrev_b32_e32 v2, 21, v2
	v_or3_b32 v119, v30, v3, v2
.LBB6_691:                              ;   in Loop: Header=BB6_130 Depth=2
	s_or_b32 exec_lo, exec_lo, s29
	v_cmp_gt_i16_sdwa s29, v39, v57 src0_sel:BYTE_3 src1_sel:DWORD
	s_mov_b32 s13, 0
	s_and_saveexec_b32 s40, s29
	s_xor_b32 s29, exec_lo, s40
	s_cbranch_execz .LBB6_2558
; %bb.692:                              ;   in Loop: Header=BB6_130 Depth=2
	v_cmp_eq_u16_sdwa s41, v39, v58 src0_sel:BYTE_3 src1_sel:DWORD
	s_mov_b32 s13, -1
	s_and_saveexec_b32 s40, s41
; %bb.693:                              ;   in Loop: Header=BB6_130 Depth=2
	s_xor_b32 s13, exec_lo, -1
; %bb.694:                              ;   in Loop: Header=BB6_130 Depth=2
	s_or_b32 exec_lo, exec_lo, s40
	s_and_b32 s13, s13, exec_lo
	s_or_saveexec_b32 s29, s29
	v_mov_b32_e32 v2, 0x7f800001
	s_xor_b32 exec_lo, exec_lo, s29
	s_cbranch_execnz .LBB6_2559
.LBB6_695:                              ;   in Loop: Header=BB6_130 Depth=2
	s_or_b32 exec_lo, exec_lo, s29
	s_and_saveexec_b32 s29, s13
	s_cbranch_execz .LBB6_697
.LBB6_696:                              ;   in Loop: Header=BB6_130 Depth=2
	v_bfe_u32 v2, v39, 24, 2
	v_bfe_u32 v51, v39, 26, 5
	v_ffbh_u32_e32 v3, v2
	v_cmp_eq_u32_e32 vcc_lo, 0, v51
	v_min_u32_e32 v3, 32, v3
	v_subrev_nc_u32_e32 v30, 29, v3
	v_sub_nc_u32_e32 v3, 30, v3
	v_lshlrev_b32_sdwa v30, v30, v39 dst_sel:DWORD dst_unused:UNUSED_PAD src0_sel:DWORD src1_sel:BYTE_3
	v_cndmask_b32_e32 v3, v51, v3, vcc_lo
	v_and_b32_e32 v30, 3, v30
	v_lshl_add_u32 v3, v3, 23, 0x37800000
	v_cndmask_b32_e32 v2, v2, v30, vcc_lo
	v_and_b32_e32 v30, 0x80000000, v39
	v_lshlrev_b32_e32 v2, 21, v2
	v_or3_b32 v2, v30, v3, v2
.LBB6_697:                              ;   in Loop: Header=BB6_130 Depth=2
	s_or_b32 exec_lo, exec_lo, s29
	v_max_f32_e32 v2, v2, v2
	v_max_f32_e32 v3, v119, v119
	v_min_f32_e32 v119, v3, v2
.LBB6_698:                              ;   in Loop: Header=BB6_130 Depth=2
	v_and_b32_e32 v2, 0x7f800000, v119
	v_mov_b32_e32 v39, 0x8000
	s_mov_b32 s29, exec_lo
	v_cmpx_ne_u32_e32 0x7f800000, v2
	s_cbranch_execz .LBB6_706
; %bb.699:                              ;   in Loop: Header=BB6_130 Depth=2
	v_mov_b32_e32 v39, 0
	s_mov_b32 s40, exec_lo
	v_cmpx_ne_u32_e32 0, v119
	s_cbranch_execz .LBB6_705
; %bb.700:                              ;   in Loop: Header=BB6_130 Depth=2
	v_bfe_u32 v2, v119, 23, 8
	v_and_b32_e32 v3, 0x7fffff, v119
	v_sub_nc_u32_e32 v30, 0x70, v2
	v_cmp_gt_u32_e32 vcc_lo, 0x71, v2
	v_or_b32_e32 v39, 0x800000, v3
	v_cndmask_b32_e32 v30, 0, v30, vcc_lo
	v_cmp_eq_u32_e32 vcc_lo, 0, v2
	v_add_nc_u32_e32 v2, 0xffffff91, v2
	v_cndmask_b32_e64 v30, v30, 0x6f, vcc_lo
	v_cndmask_b32_e32 v3, v39, v3, vcc_lo
	v_cndmask_b32_e64 v2, v2, 0xffffff92, vcc_lo
	v_lshl_add_u32 v51, 0x200000, v30, -1
	v_lshrrev_b32_e32 v39, v30, v3
	v_lshlrev_b32_e64 v42, v30, 0x100000
	v_add_nc_u32_e32 v2, v30, v2
	v_and_b32_e32 v3, v51, v3
	v_bfe_u32 v40, v39, 21, 1
	v_cmp_eq_u32_e64 s13, v3, v42
	v_add_nc_u32_e32 v51, -1, v40
	v_cndmask_b32_e64 v3, 0, v51, s13
	v_lshrrev_b32_e32 v51, 23, v39
	s_mov_b32 s13, exec_lo
	v_add_nc_u32_e32 v3, v3, v39
	v_and_b32_e32 v30, 0x1fffff, v3
	v_xor_b32_e32 v3, 1, v51
	v_add_nc_u32_e32 v39, v30, v39
                                        ; implicit-def: $vgpr30
	v_cmpx_ne_u32_e64 v2, v3
	s_xor_b32 s13, exec_lo, s13
; %bb.701:                              ;   in Loop: Header=BB6_130 Depth=2
	v_cmp_lt_u32_e32 vcc_lo, 0xffffff, v39
	v_sub_nc_u32_e32 v2, v2, v3
	v_cndmask_b32_e64 v3, 0, 1, vcc_lo
	v_add_co_ci_u32_e64 v30, null, 0, v2, vcc_lo
	v_lshrrev_b32_e32 v39, v3, v39
; %bb.702:                              ;   in Loop: Header=BB6_130 Depth=2
	s_andn2_saveexec_b32 s13, s13
; %bb.703:                              ;   in Loop: Header=BB6_130 Depth=2
	v_bfe_u32 v30, v39, 23, 1
; %bb.704:                              ;   in Loop: Header=BB6_130 Depth=2
	s_or_b32 exec_lo, exec_lo, s13
	v_lshrrev_b32_e32 v2, 21, v39
	v_min_i32_e32 v3, 31, v30
	v_cmp_gt_i32_e32 vcc_lo, 32, v30
	v_and_b32_sdwa v39, v119, v58 dst_sel:DWORD dst_unused:UNUSED_PAD src0_sel:BYTE_3 src1_sel:DWORD
	v_lshlrev_b32_e32 v3, 2, v3
	v_cndmask_b32_e32 v2, 3, v2, vcc_lo
	v_and_b32_e32 v3, 0xfc, v3
	v_and_b32_e32 v51, 3, v2
	v_or_b32_e32 v2, v30, v2
	v_or3_b32 v3, v39, v3, v51
	v_cmp_ne_u32_e32 vcc_lo, 0, v2
	v_lshlrev_b32_e32 v3, 8, v3
	v_cndmask_b32_e32 v39, 0, v3, vcc_lo
.LBB6_705:                              ;   in Loop: Header=BB6_130 Depth=2
	s_or_b32 exec_lo, exec_lo, s40
.LBB6_706:                              ;   in Loop: Header=BB6_130 Depth=2
	s_or_b32 exec_lo, exec_lo, s29
	v_cmp_gt_i16_sdwa s29, v32, v57 src0_sel:BYTE_0 src1_sel:DWORD
	s_andn2_b32 vcc_lo, exec_lo, s28
	s_mov_b32 s13, -1
                                        ; implicit-def: $vgpr119
	s_cbranch_vccnz .LBB6_720
; %bb.707:                              ;   in Loop: Header=BB6_130 Depth=2
	s_mov_b32 s13, 0
	s_and_saveexec_b32 s40, s29
	s_xor_b32 s29, exec_lo, s40
	s_cbranch_execz .LBB6_2560
; %bb.708:                              ;   in Loop: Header=BB6_130 Depth=2
	v_cmp_eq_u16_sdwa s41, v32, v58 src0_sel:BYTE_0 src1_sel:DWORD
	s_mov_b32 s13, -1
	s_and_saveexec_b32 s40, s41
; %bb.709:                              ;   in Loop: Header=BB6_130 Depth=2
	s_xor_b32 s13, exec_lo, -1
; %bb.710:                              ;   in Loop: Header=BB6_130 Depth=2
	s_or_b32 exec_lo, exec_lo, s40
	s_and_b32 s13, s13, exec_lo
	s_or_saveexec_b32 s29, s29
	v_mov_b32_e32 v51, 0x7f800001
	s_xor_b32 exec_lo, exec_lo, s29
	s_cbranch_execnz .LBB6_2561
.LBB6_711:                              ;   in Loop: Header=BB6_130 Depth=2
	s_or_b32 exec_lo, exec_lo, s29
	s_and_saveexec_b32 s29, s13
	s_cbranch_execz .LBB6_713
.LBB6_712:                              ;   in Loop: Header=BB6_130 Depth=2
	v_and_b32_e32 v2, 3, v32
	v_bfe_u32 v51, v32, 2, 5
	v_lshlrev_b32_e32 v119, 24, v32
	v_ffbh_u32_e32 v3, v2
	v_cmp_eq_u32_e32 vcc_lo, 0, v51
	v_min_u32_e32 v3, 32, v3
	v_subrev_nc_u32_e32 v30, 29, v3
	v_sub_nc_u32_e32 v3, 30, v3
	v_lshlrev_b32_e32 v30, v30, v32
	v_cndmask_b32_e32 v3, v51, v3, vcc_lo
	v_and_b32_e32 v30, 3, v30
	v_lshl_add_u32 v3, v3, 23, 0x37800000
	v_cndmask_b32_e32 v2, v2, v30, vcc_lo
	v_and_b32_e32 v30, 0x80000000, v119
	v_lshlrev_b32_e32 v2, 21, v2
	v_or3_b32 v51, v30, v3, v2
.LBB6_713:                              ;   in Loop: Header=BB6_130 Depth=2
	s_or_b32 exec_lo, exec_lo, s29
	s_waitcnt vmcnt(2)
	v_cmp_gt_i16_sdwa s29, v26, v57 src0_sel:BYTE_0 src1_sel:DWORD
	s_mov_b32 s13, 0
	s_and_saveexec_b32 s40, s29
	s_xor_b32 s29, exec_lo, s40
	s_cbranch_execz .LBB6_2562
; %bb.714:                              ;   in Loop: Header=BB6_130 Depth=2
	v_cmp_eq_u16_sdwa s41, v26, v58 src0_sel:BYTE_0 src1_sel:DWORD
	s_mov_b32 s13, -1
	s_and_saveexec_b32 s40, s41
; %bb.715:                              ;   in Loop: Header=BB6_130 Depth=2
	s_xor_b32 s13, exec_lo, -1
; %bb.716:                              ;   in Loop: Header=BB6_130 Depth=2
	s_or_b32 exec_lo, exec_lo, s40
	s_and_b32 s13, s13, exec_lo
	s_or_saveexec_b32 s29, s29
	v_mov_b32_e32 v2, 0x7f800001
	s_xor_b32 exec_lo, exec_lo, s29
	s_cbranch_execnz .LBB6_2563
.LBB6_717:                              ;   in Loop: Header=BB6_130 Depth=2
	s_or_b32 exec_lo, exec_lo, s29
	s_and_saveexec_b32 s29, s13
	s_cbranch_execz .LBB6_719
.LBB6_718:                              ;   in Loop: Header=BB6_130 Depth=2
	v_and_b32_e32 v2, 3, v26
	v_bfe_u32 v119, v26, 2, 5
	v_lshlrev_b32_e32 v40, 24, v26
	v_ffbh_u32_e32 v3, v2
	v_cmp_eq_u32_e32 vcc_lo, 0, v119
	v_min_u32_e32 v3, 32, v3
	v_subrev_nc_u32_e32 v30, 29, v3
	v_sub_nc_u32_e32 v3, 30, v3
	v_lshlrev_b32_e32 v30, v30, v26
	v_cndmask_b32_e32 v3, v119, v3, vcc_lo
	v_and_b32_e32 v30, 3, v30
	v_lshl_add_u32 v3, v3, 23, 0x37800000
	v_cndmask_b32_e32 v2, v2, v30, vcc_lo
	v_and_b32_e32 v30, 0x80000000, v40
	v_lshlrev_b32_e32 v2, 21, v2
	v_or3_b32 v2, v30, v3, v2
.LBB6_719:                              ;   in Loop: Header=BB6_130 Depth=2
	s_or_b32 exec_lo, exec_lo, s29
	v_max_f32_e32 v2, v2, v2
	v_max_f32_e32 v3, v51, v51
	s_mov_b32 s13, 0
	v_max_f32_e32 v119, v3, v2
.LBB6_720:                              ;   in Loop: Header=BB6_130 Depth=2
	s_and_b32 vcc_lo, exec_lo, s13
	s_cbranch_vccz .LBB6_734
; %bb.721:                              ;   in Loop: Header=BB6_130 Depth=2
	v_cmp_gt_i16_sdwa s29, v32, v57 src0_sel:BYTE_0 src1_sel:DWORD
	s_mov_b32 s13, 0
	s_and_saveexec_b32 s40, s29
	s_xor_b32 s29, exec_lo, s40
	s_cbranch_execz .LBB6_2564
; %bb.722:                              ;   in Loop: Header=BB6_130 Depth=2
	v_cmp_eq_u16_sdwa s41, v32, v58 src0_sel:BYTE_0 src1_sel:DWORD
	s_mov_b32 s13, -1
	s_and_saveexec_b32 s40, s41
; %bb.723:                              ;   in Loop: Header=BB6_130 Depth=2
	s_xor_b32 s13, exec_lo, -1
; %bb.724:                              ;   in Loop: Header=BB6_130 Depth=2
	s_or_b32 exec_lo, exec_lo, s40
	s_and_b32 s13, s13, exec_lo
	s_or_saveexec_b32 s29, s29
	v_mov_b32_e32 v51, 0x7f800001
	s_xor_b32 exec_lo, exec_lo, s29
	s_cbranch_execnz .LBB6_2565
.LBB6_725:                              ;   in Loop: Header=BB6_130 Depth=2
	s_or_b32 exec_lo, exec_lo, s29
	s_and_saveexec_b32 s29, s13
	s_cbranch_execz .LBB6_727
.LBB6_726:                              ;   in Loop: Header=BB6_130 Depth=2
	v_and_b32_e32 v2, 3, v32
	v_bfe_u32 v51, v32, 2, 5
	v_lshlrev_b32_e32 v119, 24, v32
	v_ffbh_u32_e32 v3, v2
	v_cmp_eq_u32_e32 vcc_lo, 0, v51
	v_min_u32_e32 v3, 32, v3
	v_subrev_nc_u32_e32 v30, 29, v3
	v_sub_nc_u32_e32 v3, 30, v3
	v_lshlrev_b32_e32 v30, v30, v32
	v_cndmask_b32_e32 v3, v51, v3, vcc_lo
	v_and_b32_e32 v30, 3, v30
	v_lshl_add_u32 v3, v3, 23, 0x37800000
	v_cndmask_b32_e32 v2, v2, v30, vcc_lo
	v_and_b32_e32 v30, 0x80000000, v119
	v_lshlrev_b32_e32 v2, 21, v2
	v_or3_b32 v51, v30, v3, v2
.LBB6_727:                              ;   in Loop: Header=BB6_130 Depth=2
	s_or_b32 exec_lo, exec_lo, s29
	s_waitcnt vmcnt(2)
	v_cmp_gt_i16_sdwa s29, v26, v57 src0_sel:BYTE_0 src1_sel:DWORD
	s_mov_b32 s13, 0
	s_and_saveexec_b32 s40, s29
	s_xor_b32 s29, exec_lo, s40
	s_cbranch_execz .LBB6_2566
; %bb.728:                              ;   in Loop: Header=BB6_130 Depth=2
	v_cmp_eq_u16_sdwa s41, v26, v58 src0_sel:BYTE_0 src1_sel:DWORD
	s_mov_b32 s13, -1
	s_and_saveexec_b32 s40, s41
; %bb.729:                              ;   in Loop: Header=BB6_130 Depth=2
	s_xor_b32 s13, exec_lo, -1
; %bb.730:                              ;   in Loop: Header=BB6_130 Depth=2
	s_or_b32 exec_lo, exec_lo, s40
	s_and_b32 s13, s13, exec_lo
	s_or_saveexec_b32 s29, s29
	v_mov_b32_e32 v2, 0x7f800001
	s_xor_b32 exec_lo, exec_lo, s29
	s_cbranch_execnz .LBB6_2567
.LBB6_731:                              ;   in Loop: Header=BB6_130 Depth=2
	s_or_b32 exec_lo, exec_lo, s29
	s_and_saveexec_b32 s29, s13
	s_cbranch_execz .LBB6_733
.LBB6_732:                              ;   in Loop: Header=BB6_130 Depth=2
	v_and_b32_e32 v2, 3, v26
	v_bfe_u32 v119, v26, 2, 5
	v_lshlrev_b32_e32 v40, 24, v26
	v_ffbh_u32_e32 v3, v2
	v_cmp_eq_u32_e32 vcc_lo, 0, v119
	v_min_u32_e32 v3, 32, v3
	v_subrev_nc_u32_e32 v30, 29, v3
	v_sub_nc_u32_e32 v3, 30, v3
	v_lshlrev_b32_e32 v30, v30, v26
	v_cndmask_b32_e32 v3, v119, v3, vcc_lo
	v_and_b32_e32 v30, 3, v30
	v_lshl_add_u32 v3, v3, 23, 0x37800000
	v_cndmask_b32_e32 v2, v2, v30, vcc_lo
	v_and_b32_e32 v30, 0x80000000, v40
	v_lshlrev_b32_e32 v2, 21, v2
	v_or3_b32 v2, v30, v3, v2
.LBB6_733:                              ;   in Loop: Header=BB6_130 Depth=2
	s_or_b32 exec_lo, exec_lo, s29
	v_max_f32_e32 v2, v2, v2
	v_max_f32_e32 v3, v51, v51
	v_min_f32_e32 v119, v3, v2
.LBB6_734:                              ;   in Loop: Header=BB6_130 Depth=2
	v_and_b32_e32 v2, 0x7f800000, v119
	v_mov_b32_e32 v51, 0x80
	s_mov_b32 s29, exec_lo
	v_cmpx_ne_u32_e32 0x7f800000, v2
	s_cbranch_execz .LBB6_742
; %bb.735:                              ;   in Loop: Header=BB6_130 Depth=2
	v_mov_b32_e32 v51, 0
	s_mov_b32 s40, exec_lo
	v_cmpx_ne_u32_e32 0, v119
	s_cbranch_execz .LBB6_741
; %bb.736:                              ;   in Loop: Header=BB6_130 Depth=2
	v_bfe_u32 v2, v119, 23, 8
	v_and_b32_e32 v3, 0x7fffff, v119
	v_sub_nc_u32_e32 v30, 0x70, v2
	v_cmp_gt_u32_e32 vcc_lo, 0x71, v2
	v_or_b32_e32 v51, 0x800000, v3
	v_cndmask_b32_e32 v30, 0, v30, vcc_lo
	v_cmp_eq_u32_e32 vcc_lo, 0, v2
	v_add_nc_u32_e32 v2, 0xffffff91, v2
	v_cndmask_b32_e64 v30, v30, 0x6f, vcc_lo
	v_cndmask_b32_e32 v3, v51, v3, vcc_lo
	v_cndmask_b32_e64 v2, v2, 0xffffff92, vcc_lo
	v_lshl_add_u32 v51, 0x200000, v30, -1
	v_lshrrev_b32_e32 v40, v30, v3
	v_lshlrev_b32_e64 v88, v30, 0x100000
	v_and_b32_e32 v3, v51, v3
	v_bfe_u32 v42, v40, 21, 1
	v_cmp_eq_u32_e64 s13, v3, v88
	v_add_nc_u32_e32 v51, -1, v42
	v_lshrrev_b32_e32 v42, 23, v40
	v_cndmask_b32_e64 v3, 0, v51, s13
	s_mov_b32 s13, exec_lo
	v_add_nc_u32_e32 v51, v3, v40
	v_add_nc_u32_e32 v3, v30, v2
                                        ; implicit-def: $vgpr30
	v_and_b32_e32 v2, 0x1fffff, v51
	v_xor_b32_e32 v51, 1, v42
	v_add_nc_u32_e32 v2, v2, v40
	v_cmpx_ne_u32_e64 v3, v51
	s_xor_b32 s13, exec_lo, s13
; %bb.737:                              ;   in Loop: Header=BB6_130 Depth=2
	v_cmp_lt_u32_e32 vcc_lo, 0xffffff, v2
	v_sub_nc_u32_e32 v3, v3, v51
	v_cndmask_b32_e64 v51, 0, 1, vcc_lo
	v_add_co_ci_u32_e64 v30, null, 0, v3, vcc_lo
	v_lshrrev_b32_e32 v2, v51, v2
; %bb.738:                              ;   in Loop: Header=BB6_130 Depth=2
	s_andn2_saveexec_b32 s13, s13
; %bb.739:                              ;   in Loop: Header=BB6_130 Depth=2
	v_bfe_u32 v30, v2, 23, 1
; %bb.740:                              ;   in Loop: Header=BB6_130 Depth=2
	s_or_b32 exec_lo, exec_lo, s13
	v_lshrrev_b32_e32 v2, 21, v2
	v_min_i32_e32 v3, 31, v30
	v_cmp_gt_i32_e32 vcc_lo, 32, v30
	v_and_b32_sdwa v51, v119, v58 dst_sel:DWORD dst_unused:UNUSED_PAD src0_sel:BYTE_3 src1_sel:DWORD
	v_lshlrev_b32_e32 v3, 2, v3
	v_cndmask_b32_e32 v2, 3, v2, vcc_lo
	v_and_b32_e32 v3, 0xfc, v3
	v_and_b32_e32 v119, 3, v2
	v_or_b32_e32 v2, v30, v2
	v_or3_b32 v3, v3, v51, v119
	v_cmp_ne_u32_e32 vcc_lo, 0, v2
	v_cndmask_b32_e32 v51, 0, v3, vcc_lo
.LBB6_741:                              ;   in Loop: Header=BB6_130 Depth=2
	s_or_b32 exec_lo, exec_lo, s40
.LBB6_742:                              ;   in Loop: Header=BB6_130 Depth=2
	s_or_b32 exec_lo, exec_lo, s29
	v_cmp_gt_i16_sdwa s29, v32, v57 src0_sel:BYTE_1 src1_sel:DWORD
	s_andn2_b32 vcc_lo, exec_lo, s28
	s_mov_b32 s13, -1
                                        ; implicit-def: $vgpr119
	s_cbranch_vccnz .LBB6_756
; %bb.743:                              ;   in Loop: Header=BB6_130 Depth=2
	s_mov_b32 s13, 0
	s_and_saveexec_b32 s40, s29
	s_xor_b32 s29, exec_lo, s40
	s_cbranch_execz .LBB6_2568
; %bb.744:                              ;   in Loop: Header=BB6_130 Depth=2
	v_cmp_eq_u16_sdwa s41, v32, v58 src0_sel:BYTE_1 src1_sel:DWORD
	s_mov_b32 s13, -1
	s_and_saveexec_b32 s40, s41
; %bb.745:                              ;   in Loop: Header=BB6_130 Depth=2
	s_xor_b32 s13, exec_lo, -1
; %bb.746:                              ;   in Loop: Header=BB6_130 Depth=2
	s_or_b32 exec_lo, exec_lo, s40
	s_and_b32 s13, s13, exec_lo
	s_or_saveexec_b32 s29, s29
	v_mov_b32_e32 v119, 0x7f800001
	s_xor_b32 exec_lo, exec_lo, s29
	s_cbranch_execnz .LBB6_2569
.LBB6_747:                              ;   in Loop: Header=BB6_130 Depth=2
	s_or_b32 exec_lo, exec_lo, s29
	s_and_saveexec_b32 s29, s13
	s_cbranch_execz .LBB6_749
.LBB6_748:                              ;   in Loop: Header=BB6_130 Depth=2
	v_and_b32_sdwa v2, v59, v32 dst_sel:DWORD dst_unused:UNUSED_PAD src0_sel:DWORD src1_sel:BYTE_1
	v_and_b32_e32 v3, 3, v2
	v_bfe_u32 v40, v2, 2, 5
	v_ffbh_u32_e32 v30, v3
	v_cmp_eq_u32_e32 vcc_lo, 0, v40
	v_min_u32_e32 v30, 32, v30
	v_subrev_nc_u32_e32 v119, 29, v30
	v_sub_nc_u32_e32 v30, 30, v30
	v_lshlrev_b32_e32 v2, v119, v2
	v_lshlrev_b32_e32 v119, 16, v32
	v_cndmask_b32_e32 v30, v40, v30, vcc_lo
	v_and_b32_e32 v2, 3, v2
	v_lshl_add_u32 v30, v30, 23, 0x37800000
	v_cndmask_b32_e32 v2, v3, v2, vcc_lo
	v_and_b32_e32 v3, 0x80000000, v119
	v_lshlrev_b32_e32 v2, 21, v2
	v_or3_b32 v119, v3, v30, v2
.LBB6_749:                              ;   in Loop: Header=BB6_130 Depth=2
	s_or_b32 exec_lo, exec_lo, s29
	s_waitcnt vmcnt(2)
	v_cmp_gt_i16_sdwa s29, v26, v57 src0_sel:BYTE_1 src1_sel:DWORD
	s_mov_b32 s13, 0
	s_and_saveexec_b32 s40, s29
	s_xor_b32 s29, exec_lo, s40
	s_cbranch_execz .LBB6_2570
; %bb.750:                              ;   in Loop: Header=BB6_130 Depth=2
	v_cmp_eq_u16_sdwa s41, v26, v58 src0_sel:BYTE_1 src1_sel:DWORD
	s_mov_b32 s13, -1
	s_and_saveexec_b32 s40, s41
; %bb.751:                              ;   in Loop: Header=BB6_130 Depth=2
	s_xor_b32 s13, exec_lo, -1
; %bb.752:                              ;   in Loop: Header=BB6_130 Depth=2
	s_or_b32 exec_lo, exec_lo, s40
	s_and_b32 s13, s13, exec_lo
	s_or_saveexec_b32 s29, s29
	v_mov_b32_e32 v2, 0x7f800001
	s_xor_b32 exec_lo, exec_lo, s29
	s_cbranch_execnz .LBB6_2571
.LBB6_753:                              ;   in Loop: Header=BB6_130 Depth=2
	s_or_b32 exec_lo, exec_lo, s29
	s_and_saveexec_b32 s29, s13
	s_cbranch_execz .LBB6_755
.LBB6_754:                              ;   in Loop: Header=BB6_130 Depth=2
	v_and_b32_sdwa v2, v59, v26 dst_sel:DWORD dst_unused:UNUSED_PAD src0_sel:DWORD src1_sel:BYTE_1
	v_and_b32_e32 v3, 3, v2
	v_bfe_u32 v42, v2, 2, 5
	v_ffbh_u32_e32 v30, v3
	v_cmp_eq_u32_e32 vcc_lo, 0, v42
	v_min_u32_e32 v30, 32, v30
	v_subrev_nc_u32_e32 v40, 29, v30
	v_sub_nc_u32_e32 v30, 30, v30
	v_lshlrev_b32_e32 v2, v40, v2
	v_lshlrev_b32_e32 v40, 16, v26
	v_cndmask_b32_e32 v30, v42, v30, vcc_lo
	v_and_b32_e32 v2, 3, v2
	v_lshl_add_u32 v30, v30, 23, 0x37800000
	v_cndmask_b32_e32 v2, v3, v2, vcc_lo
	v_and_b32_e32 v3, 0x80000000, v40
	v_lshlrev_b32_e32 v2, 21, v2
	v_or3_b32 v2, v3, v30, v2
.LBB6_755:                              ;   in Loop: Header=BB6_130 Depth=2
	s_or_b32 exec_lo, exec_lo, s29
	v_max_f32_e32 v2, v2, v2
	v_max_f32_e32 v3, v119, v119
	s_mov_b32 s13, 0
	v_max_f32_e32 v119, v3, v2
.LBB6_756:                              ;   in Loop: Header=BB6_130 Depth=2
	s_and_b32 vcc_lo, exec_lo, s13
	s_cbranch_vccz .LBB6_770
; %bb.757:                              ;   in Loop: Header=BB6_130 Depth=2
	v_cmp_gt_i16_sdwa s29, v32, v57 src0_sel:BYTE_1 src1_sel:DWORD
	s_mov_b32 s13, 0
	s_and_saveexec_b32 s40, s29
	s_xor_b32 s29, exec_lo, s40
	s_cbranch_execz .LBB6_2572
; %bb.758:                              ;   in Loop: Header=BB6_130 Depth=2
	v_cmp_eq_u16_sdwa s41, v32, v58 src0_sel:BYTE_1 src1_sel:DWORD
	s_mov_b32 s13, -1
	s_and_saveexec_b32 s40, s41
; %bb.759:                              ;   in Loop: Header=BB6_130 Depth=2
	s_xor_b32 s13, exec_lo, -1
; %bb.760:                              ;   in Loop: Header=BB6_130 Depth=2
	s_or_b32 exec_lo, exec_lo, s40
	s_and_b32 s13, s13, exec_lo
	s_or_saveexec_b32 s29, s29
	v_mov_b32_e32 v119, 0x7f800001
	s_xor_b32 exec_lo, exec_lo, s29
	s_cbranch_execnz .LBB6_2573
.LBB6_761:                              ;   in Loop: Header=BB6_130 Depth=2
	s_or_b32 exec_lo, exec_lo, s29
	s_and_saveexec_b32 s29, s13
	s_cbranch_execz .LBB6_763
.LBB6_762:                              ;   in Loop: Header=BB6_130 Depth=2
	v_and_b32_sdwa v2, v59, v32 dst_sel:DWORD dst_unused:UNUSED_PAD src0_sel:DWORD src1_sel:BYTE_1
	v_and_b32_e32 v3, 3, v2
	v_bfe_u32 v40, v2, 2, 5
	v_ffbh_u32_e32 v30, v3
	v_cmp_eq_u32_e32 vcc_lo, 0, v40
	v_min_u32_e32 v30, 32, v30
	v_subrev_nc_u32_e32 v119, 29, v30
	v_sub_nc_u32_e32 v30, 30, v30
	v_lshlrev_b32_e32 v2, v119, v2
	v_lshlrev_b32_e32 v119, 16, v32
	v_cndmask_b32_e32 v30, v40, v30, vcc_lo
	v_and_b32_e32 v2, 3, v2
	v_lshl_add_u32 v30, v30, 23, 0x37800000
	v_cndmask_b32_e32 v2, v3, v2, vcc_lo
	v_and_b32_e32 v3, 0x80000000, v119
	v_lshlrev_b32_e32 v2, 21, v2
	v_or3_b32 v119, v3, v30, v2
.LBB6_763:                              ;   in Loop: Header=BB6_130 Depth=2
	s_or_b32 exec_lo, exec_lo, s29
	s_waitcnt vmcnt(2)
	v_cmp_gt_i16_sdwa s29, v26, v57 src0_sel:BYTE_1 src1_sel:DWORD
	s_mov_b32 s13, 0
	s_and_saveexec_b32 s40, s29
	s_xor_b32 s29, exec_lo, s40
	s_cbranch_execz .LBB6_2574
; %bb.764:                              ;   in Loop: Header=BB6_130 Depth=2
	v_cmp_eq_u16_sdwa s41, v26, v58 src0_sel:BYTE_1 src1_sel:DWORD
	s_mov_b32 s13, -1
	s_and_saveexec_b32 s40, s41
; %bb.765:                              ;   in Loop: Header=BB6_130 Depth=2
	s_xor_b32 s13, exec_lo, -1
; %bb.766:                              ;   in Loop: Header=BB6_130 Depth=2
	s_or_b32 exec_lo, exec_lo, s40
	s_and_b32 s13, s13, exec_lo
	s_or_saveexec_b32 s29, s29
	v_mov_b32_e32 v2, 0x7f800001
	s_xor_b32 exec_lo, exec_lo, s29
	s_cbranch_execnz .LBB6_2575
.LBB6_767:                              ;   in Loop: Header=BB6_130 Depth=2
	s_or_b32 exec_lo, exec_lo, s29
	s_and_saveexec_b32 s29, s13
	s_cbranch_execz .LBB6_769
.LBB6_768:                              ;   in Loop: Header=BB6_130 Depth=2
	v_and_b32_sdwa v2, v59, v26 dst_sel:DWORD dst_unused:UNUSED_PAD src0_sel:DWORD src1_sel:BYTE_1
	v_and_b32_e32 v3, 3, v2
	v_bfe_u32 v42, v2, 2, 5
	v_ffbh_u32_e32 v30, v3
	v_cmp_eq_u32_e32 vcc_lo, 0, v42
	v_min_u32_e32 v30, 32, v30
	v_subrev_nc_u32_e32 v40, 29, v30
	v_sub_nc_u32_e32 v30, 30, v30
	v_lshlrev_b32_e32 v2, v40, v2
	v_lshlrev_b32_e32 v40, 16, v26
	v_cndmask_b32_e32 v30, v42, v30, vcc_lo
	v_and_b32_e32 v2, 3, v2
	v_lshl_add_u32 v30, v30, 23, 0x37800000
	v_cndmask_b32_e32 v2, v3, v2, vcc_lo
	v_and_b32_e32 v3, 0x80000000, v40
	v_lshlrev_b32_e32 v2, 21, v2
	v_or3_b32 v2, v3, v30, v2
.LBB6_769:                              ;   in Loop: Header=BB6_130 Depth=2
	s_or_b32 exec_lo, exec_lo, s29
	v_max_f32_e32 v2, v2, v2
	v_max_f32_e32 v3, v119, v119
	v_min_f32_e32 v119, v3, v2
.LBB6_770:                              ;   in Loop: Header=BB6_130 Depth=2
	v_and_b32_e32 v2, 0x7f800000, v119
	v_mov_b32_e32 v88, 0x8000
	s_mov_b32 s29, exec_lo
	v_cmpx_ne_u32_e32 0x7f800000, v2
	s_cbranch_execz .LBB6_778
; %bb.771:                              ;   in Loop: Header=BB6_130 Depth=2
	v_mov_b32_e32 v88, 0
	s_mov_b32 s40, exec_lo
	v_cmpx_ne_u32_e32 0, v119
	s_cbranch_execz .LBB6_777
; %bb.772:                              ;   in Loop: Header=BB6_130 Depth=2
	v_bfe_u32 v2, v119, 23, 8
	v_and_b32_e32 v3, 0x7fffff, v119
	v_sub_nc_u32_e32 v30, 0x70, v2
	v_cmp_gt_u32_e32 vcc_lo, 0x71, v2
	v_or_b32_e32 v40, 0x800000, v3
	v_cndmask_b32_e32 v30, 0, v30, vcc_lo
	v_cmp_eq_u32_e32 vcc_lo, 0, v2
	v_add_nc_u32_e32 v2, 0xffffff91, v2
	v_cndmask_b32_e64 v30, v30, 0x6f, vcc_lo
	v_cndmask_b32_e32 v3, v40, v3, vcc_lo
	v_cndmask_b32_e64 v2, v2, 0xffffff92, vcc_lo
	v_lshl_add_u32 v40, 0x200000, v30, -1
	v_lshrrev_b32_e32 v42, v30, v3
	v_lshlrev_b32_e64 v89, v30, 0x100000
	v_and_b32_e32 v3, v40, v3
	v_bfe_u32 v88, v42, 21, 1
	v_cmp_eq_u32_e64 s13, v3, v89
	v_add_nc_u32_e32 v40, -1, v88
	v_lshrrev_b32_e32 v88, 23, v42
	v_cndmask_b32_e64 v3, 0, v40, s13
	s_mov_b32 s13, exec_lo
	v_add_nc_u32_e32 v40, v3, v42
	v_add_nc_u32_e32 v3, v30, v2
                                        ; implicit-def: $vgpr30
	v_and_b32_e32 v2, 0x1fffff, v40
	v_xor_b32_e32 v40, 1, v88
	v_add_nc_u32_e32 v2, v2, v42
	v_cmpx_ne_u32_e64 v3, v40
	s_xor_b32 s13, exec_lo, s13
; %bb.773:                              ;   in Loop: Header=BB6_130 Depth=2
	v_cmp_lt_u32_e32 vcc_lo, 0xffffff, v2
	v_sub_nc_u32_e32 v3, v3, v40
	v_cndmask_b32_e64 v40, 0, 1, vcc_lo
	v_add_co_ci_u32_e64 v30, null, 0, v3, vcc_lo
	v_lshrrev_b32_e32 v2, v40, v2
; %bb.774:                              ;   in Loop: Header=BB6_130 Depth=2
	s_andn2_saveexec_b32 s13, s13
; %bb.775:                              ;   in Loop: Header=BB6_130 Depth=2
	v_bfe_u32 v30, v2, 23, 1
; %bb.776:                              ;   in Loop: Header=BB6_130 Depth=2
	s_or_b32 exec_lo, exec_lo, s13
	v_lshrrev_b32_e32 v2, 21, v2
	v_min_i32_e32 v3, 31, v30
	v_cmp_gt_i32_e32 vcc_lo, 32, v30
	v_and_b32_sdwa v119, v119, v58 dst_sel:DWORD dst_unused:UNUSED_PAD src0_sel:BYTE_3 src1_sel:DWORD
	v_lshlrev_b32_e32 v3, 2, v3
	v_cndmask_b32_e32 v2, 3, v2, vcc_lo
	v_and_b32_e32 v3, 0xfc, v3
	v_and_b32_e32 v40, 3, v2
	v_or_b32_e32 v2, v30, v2
	v_or3_b32 v3, v119, v3, v40
	v_cmp_ne_u32_e32 vcc_lo, 0, v2
	v_lshlrev_b32_e32 v3, 8, v3
	v_cndmask_b32_e32 v88, 0, v3, vcc_lo
.LBB6_777:                              ;   in Loop: Header=BB6_130 Depth=2
	s_or_b32 exec_lo, exec_lo, s40
.LBB6_778:                              ;   in Loop: Header=BB6_130 Depth=2
	s_or_b32 exec_lo, exec_lo, s29
	v_and_b32_sdwa v119, v32, v60 dst_sel:DWORD dst_unused:UNUSED_PAD src0_sel:WORD_1 src1_sel:DWORD
	s_andn2_b32 vcc_lo, exec_lo, s28
	s_mov_b32 s29, -1
                                        ; implicit-def: $vgpr40
	v_cmp_lt_i16_e64 s13, 0x7f, v119
	s_cbranch_vccnz .LBB6_792
; %bb.779:                              ;   in Loop: Header=BB6_130 Depth=2
	s_mov_b32 s29, 0
	s_and_saveexec_b32 s40, s13
	s_xor_b32 s13, exec_lo, s40
	s_cbranch_execz .LBB6_2576
; %bb.780:                              ;   in Loop: Header=BB6_130 Depth=2
	s_mov_b32 s29, -1
	s_mov_b32 s40, exec_lo
	v_cmpx_eq_u16_e32 0x80, v119
; %bb.781:                              ;   in Loop: Header=BB6_130 Depth=2
	s_xor_b32 s29, exec_lo, -1
; %bb.782:                              ;   in Loop: Header=BB6_130 Depth=2
	s_or_b32 exec_lo, exec_lo, s40
	s_and_b32 s29, s29, exec_lo
	s_or_saveexec_b32 s13, s13
	v_mov_b32_e32 v40, 0x7f800001
	s_xor_b32 exec_lo, exec_lo, s13
	s_cbranch_execnz .LBB6_2577
.LBB6_783:                              ;   in Loop: Header=BB6_130 Depth=2
	s_or_b32 exec_lo, exec_lo, s13
	s_and_saveexec_b32 s13, s29
	s_cbranch_execz .LBB6_785
.LBB6_784:                              ;   in Loop: Header=BB6_130 Depth=2
	v_bfe_u32 v2, v32, 16, 2
	v_bfe_u32 v40, v32, 18, 5
	v_lshlrev_b32_sdwa v42, v61, v32 dst_sel:DWORD dst_unused:UNUSED_PAD src0_sel:DWORD src1_sel:WORD_1
	v_ffbh_u32_e32 v3, v2
	v_cmp_eq_u32_e32 vcc_lo, 0, v40
	v_min_u32_e32 v3, 32, v3
	v_subrev_nc_u32_e32 v30, 29, v3
	v_sub_nc_u32_e32 v3, 30, v3
	v_lshlrev_b32_sdwa v30, v30, v32 dst_sel:DWORD dst_unused:UNUSED_PAD src0_sel:DWORD src1_sel:WORD_1
	v_cndmask_b32_e32 v3, v40, v3, vcc_lo
	v_and_b32_e32 v30, 3, v30
	v_lshl_add_u32 v3, v3, 23, 0x37800000
	v_cndmask_b32_e32 v2, v2, v30, vcc_lo
	v_and_b32_e32 v30, 0x80000000, v42
	v_lshlrev_b32_e32 v2, 21, v2
	v_or3_b32 v40, v30, v3, v2
.LBB6_785:                              ;   in Loop: Header=BB6_130 Depth=2
	s_or_b32 exec_lo, exec_lo, s13
	s_waitcnt vmcnt(2)
	v_and_b32_sdwa v3, v26, v60 dst_sel:DWORD dst_unused:UNUSED_PAD src0_sel:WORD_1 src1_sel:DWORD
	s_mov_b32 s13, 0
	s_mov_b32 s29, exec_lo
	v_cmpx_lt_i16_e32 0x7f, v3
	s_xor_b32 s29, exec_lo, s29
	s_cbranch_execz .LBB6_2578
; %bb.786:                              ;   in Loop: Header=BB6_130 Depth=2
	s_mov_b32 s13, -1
	s_mov_b32 s40, exec_lo
	v_cmpx_eq_u16_e32 0x80, v3
; %bb.787:                              ;   in Loop: Header=BB6_130 Depth=2
	s_xor_b32 s13, exec_lo, -1
; %bb.788:                              ;   in Loop: Header=BB6_130 Depth=2
	s_or_b32 exec_lo, exec_lo, s40
	s_and_b32 s13, s13, exec_lo
                                        ; implicit-def: $vgpr3
	s_or_saveexec_b32 s29, s29
	v_mov_b32_e32 v2, 0x7f800001
	s_xor_b32 exec_lo, exec_lo, s29
	s_cbranch_execnz .LBB6_2579
.LBB6_789:                              ;   in Loop: Header=BB6_130 Depth=2
	s_or_b32 exec_lo, exec_lo, s29
	s_and_saveexec_b32 s29, s13
	s_cbranch_execz .LBB6_791
.LBB6_790:                              ;   in Loop: Header=BB6_130 Depth=2
	v_bfe_u32 v2, v26, 16, 2
	v_bfe_u32 v42, v26, 18, 5
	v_lshlrev_b32_sdwa v89, v61, v26 dst_sel:DWORD dst_unused:UNUSED_PAD src0_sel:DWORD src1_sel:WORD_1
	v_ffbh_u32_e32 v3, v2
	v_cmp_eq_u32_e32 vcc_lo, 0, v42
	v_min_u32_e32 v3, 32, v3
	v_subrev_nc_u32_e32 v30, 29, v3
	v_sub_nc_u32_e32 v3, 30, v3
	v_lshlrev_b32_sdwa v30, v30, v26 dst_sel:DWORD dst_unused:UNUSED_PAD src0_sel:DWORD src1_sel:WORD_1
	v_cndmask_b32_e32 v3, v42, v3, vcc_lo
	v_and_b32_e32 v30, 3, v30
	v_lshl_add_u32 v3, v3, 23, 0x37800000
	v_cndmask_b32_e32 v2, v2, v30, vcc_lo
	v_and_b32_e32 v30, 0x80000000, v89
	v_lshlrev_b32_e32 v2, 21, v2
	v_or3_b32 v2, v30, v3, v2
.LBB6_791:                              ;   in Loop: Header=BB6_130 Depth=2
	s_or_b32 exec_lo, exec_lo, s29
	v_max_f32_e32 v2, v2, v2
	v_max_f32_e32 v3, v40, v40
	s_mov_b32 s29, 0
	v_max_f32_e32 v40, v3, v2
.LBB6_792:                              ;   in Loop: Header=BB6_130 Depth=2
	s_and_b32 vcc_lo, exec_lo, s29
	s_cbranch_vccz .LBB6_806
; %bb.793:                              ;   in Loop: Header=BB6_130 Depth=2
	s_mov_b32 s13, 0
	s_mov_b32 s29, exec_lo
	v_cmpx_lt_i16_e32 0x7f, v119
	s_xor_b32 s29, exec_lo, s29
	s_cbranch_execz .LBB6_2580
; %bb.794:                              ;   in Loop: Header=BB6_130 Depth=2
	s_mov_b32 s13, -1
	s_mov_b32 s40, exec_lo
	v_cmpx_eq_u16_e32 0x80, v119
; %bb.795:                              ;   in Loop: Header=BB6_130 Depth=2
	s_xor_b32 s13, exec_lo, -1
; %bb.796:                              ;   in Loop: Header=BB6_130 Depth=2
	s_or_b32 exec_lo, exec_lo, s40
	s_and_b32 s13, s13, exec_lo
                                        ; implicit-def: $vgpr119
	s_or_saveexec_b32 s29, s29
	v_mov_b32_e32 v40, 0x7f800001
	s_xor_b32 exec_lo, exec_lo, s29
	s_cbranch_execnz .LBB6_2581
.LBB6_797:                              ;   in Loop: Header=BB6_130 Depth=2
	s_or_b32 exec_lo, exec_lo, s29
	s_and_saveexec_b32 s29, s13
	s_cbranch_execz .LBB6_799
.LBB6_798:                              ;   in Loop: Header=BB6_130 Depth=2
	v_bfe_u32 v2, v32, 16, 2
	v_bfe_u32 v119, v32, 18, 5
	v_lshlrev_b32_sdwa v40, v61, v32 dst_sel:DWORD dst_unused:UNUSED_PAD src0_sel:DWORD src1_sel:WORD_1
	v_ffbh_u32_e32 v3, v2
	v_cmp_eq_u32_e32 vcc_lo, 0, v119
	v_min_u32_e32 v3, 32, v3
	v_subrev_nc_u32_e32 v30, 29, v3
	v_sub_nc_u32_e32 v3, 30, v3
	v_lshlrev_b32_sdwa v30, v30, v32 dst_sel:DWORD dst_unused:UNUSED_PAD src0_sel:DWORD src1_sel:WORD_1
	v_cndmask_b32_e32 v3, v119, v3, vcc_lo
	v_and_b32_e32 v30, 3, v30
	v_lshl_add_u32 v3, v3, 23, 0x37800000
	v_cndmask_b32_e32 v2, v2, v30, vcc_lo
	v_and_b32_e32 v30, 0x80000000, v40
	v_lshlrev_b32_e32 v2, 21, v2
	v_or3_b32 v40, v30, v3, v2
.LBB6_799:                              ;   in Loop: Header=BB6_130 Depth=2
	s_or_b32 exec_lo, exec_lo, s29
	s_waitcnt vmcnt(2)
	v_and_b32_sdwa v3, v26, v60 dst_sel:DWORD dst_unused:UNUSED_PAD src0_sel:WORD_1 src1_sel:DWORD
	s_mov_b32 s13, 0
	s_mov_b32 s29, exec_lo
	v_cmpx_lt_i16_e32 0x7f, v3
	s_xor_b32 s29, exec_lo, s29
	s_cbranch_execz .LBB6_2582
; %bb.800:                              ;   in Loop: Header=BB6_130 Depth=2
	s_mov_b32 s13, -1
	s_mov_b32 s40, exec_lo
	v_cmpx_eq_u16_e32 0x80, v3
; %bb.801:                              ;   in Loop: Header=BB6_130 Depth=2
	s_xor_b32 s13, exec_lo, -1
; %bb.802:                              ;   in Loop: Header=BB6_130 Depth=2
	s_or_b32 exec_lo, exec_lo, s40
	s_and_b32 s13, s13, exec_lo
                                        ; implicit-def: $vgpr3
	s_or_saveexec_b32 s29, s29
	v_mov_b32_e32 v2, 0x7f800001
	s_xor_b32 exec_lo, exec_lo, s29
	s_cbranch_execnz .LBB6_2583
.LBB6_803:                              ;   in Loop: Header=BB6_130 Depth=2
	s_or_b32 exec_lo, exec_lo, s29
	s_and_saveexec_b32 s29, s13
	s_cbranch_execz .LBB6_805
.LBB6_804:                              ;   in Loop: Header=BB6_130 Depth=2
	v_bfe_u32 v2, v26, 16, 2
	v_bfe_u32 v119, v26, 18, 5
	v_lshlrev_b32_sdwa v42, v61, v26 dst_sel:DWORD dst_unused:UNUSED_PAD src0_sel:DWORD src1_sel:WORD_1
	v_ffbh_u32_e32 v3, v2
	v_cmp_eq_u32_e32 vcc_lo, 0, v119
	v_min_u32_e32 v3, 32, v3
	v_subrev_nc_u32_e32 v30, 29, v3
	v_sub_nc_u32_e32 v3, 30, v3
	v_lshlrev_b32_sdwa v30, v30, v26 dst_sel:DWORD dst_unused:UNUSED_PAD src0_sel:DWORD src1_sel:WORD_1
	v_cndmask_b32_e32 v3, v119, v3, vcc_lo
	v_and_b32_e32 v30, 3, v30
	v_lshl_add_u32 v3, v3, 23, 0x37800000
	v_cndmask_b32_e32 v2, v2, v30, vcc_lo
	v_and_b32_e32 v30, 0x80000000, v42
	v_lshlrev_b32_e32 v2, 21, v2
	v_or3_b32 v2, v30, v3, v2
.LBB6_805:                              ;   in Loop: Header=BB6_130 Depth=2
	s_or_b32 exec_lo, exec_lo, s29
	v_max_f32_e32 v2, v2, v2
	v_max_f32_e32 v3, v40, v40
	v_min_f32_e32 v40, v3, v2
.LBB6_806:                              ;   in Loop: Header=BB6_130 Depth=2
	v_and_b32_e32 v2, 0x7f800000, v40
	v_mov_b32_e32 v89, 0x80
	s_mov_b32 s29, exec_lo
	v_cmpx_ne_u32_e32 0x7f800000, v2
	s_cbranch_execz .LBB6_814
; %bb.807:                              ;   in Loop: Header=BB6_130 Depth=2
	v_mov_b32_e32 v89, 0
	s_mov_b32 s40, exec_lo
	v_cmpx_ne_u32_e32 0, v40
	s_cbranch_execz .LBB6_813
; %bb.808:                              ;   in Loop: Header=BB6_130 Depth=2
	v_bfe_u32 v2, v40, 23, 8
	v_and_b32_e32 v3, 0x7fffff, v40
	v_sub_nc_u32_e32 v30, 0x70, v2
	v_cmp_gt_u32_e32 vcc_lo, 0x71, v2
	v_or_b32_e32 v119, 0x800000, v3
	v_cndmask_b32_e32 v30, 0, v30, vcc_lo
	v_cmp_eq_u32_e32 vcc_lo, 0, v2
	v_add_nc_u32_e32 v2, 0xffffff91, v2
	v_cndmask_b32_e64 v30, v30, 0x6f, vcc_lo
	v_cndmask_b32_e32 v3, v119, v3, vcc_lo
	v_cndmask_b32_e64 v2, v2, 0xffffff92, vcc_lo
	v_lshl_add_u32 v119, 0x200000, v30, -1
	v_lshrrev_b32_e32 v42, v30, v3
	v_lshlrev_b32_e64 v90, v30, 0x100000
	v_and_b32_e32 v3, v119, v3
	v_bfe_u32 v89, v42, 21, 1
	v_cmp_eq_u32_e64 s13, v3, v90
	v_add_nc_u32_e32 v119, -1, v89
	v_lshrrev_b32_e32 v89, 23, v42
	v_cndmask_b32_e64 v3, 0, v119, s13
	s_mov_b32 s13, exec_lo
	v_add_nc_u32_e32 v119, v3, v42
	v_add_nc_u32_e32 v3, v30, v2
                                        ; implicit-def: $vgpr30
	v_and_b32_e32 v2, 0x1fffff, v119
	v_xor_b32_e32 v119, 1, v89
	v_add_nc_u32_e32 v2, v2, v42
	v_cmpx_ne_u32_e64 v3, v119
	s_xor_b32 s13, exec_lo, s13
; %bb.809:                              ;   in Loop: Header=BB6_130 Depth=2
	v_cmp_lt_u32_e32 vcc_lo, 0xffffff, v2
	v_sub_nc_u32_e32 v3, v3, v119
	v_cndmask_b32_e64 v119, 0, 1, vcc_lo
	v_add_co_ci_u32_e64 v30, null, 0, v3, vcc_lo
	v_lshrrev_b32_e32 v2, v119, v2
; %bb.810:                              ;   in Loop: Header=BB6_130 Depth=2
	s_andn2_saveexec_b32 s13, s13
; %bb.811:                              ;   in Loop: Header=BB6_130 Depth=2
	v_bfe_u32 v30, v2, 23, 1
; %bb.812:                              ;   in Loop: Header=BB6_130 Depth=2
	s_or_b32 exec_lo, exec_lo, s13
	v_lshrrev_b32_e32 v2, 21, v2
	v_min_i32_e32 v3, 31, v30
	v_cmp_gt_i32_e32 vcc_lo, 32, v30
	v_and_b32_sdwa v119, v40, v58 dst_sel:DWORD dst_unused:UNUSED_PAD src0_sel:BYTE_3 src1_sel:DWORD
	v_lshlrev_b32_e32 v3, 2, v3
	v_cndmask_b32_e32 v2, 3, v2, vcc_lo
	v_and_b32_e32 v3, 0xfc, v3
	v_and_b32_e32 v40, 3, v2
	v_or_b32_e32 v2, v30, v2
	v_or3_b32 v3, v3, v119, v40
	v_cmp_ne_u32_e32 vcc_lo, 0, v2
	v_cndmask_b32_e32 v89, 0, v3, vcc_lo
.LBB6_813:                              ;   in Loop: Header=BB6_130 Depth=2
	s_or_b32 exec_lo, exec_lo, s40
.LBB6_814:                              ;   in Loop: Header=BB6_130 Depth=2
	s_or_b32 exec_lo, exec_lo, s29
	v_cmp_gt_i16_sdwa s29, v32, v57 src0_sel:BYTE_3 src1_sel:DWORD
	s_andn2_b32 vcc_lo, exec_lo, s28
	s_mov_b32 s13, -1
                                        ; implicit-def: $vgpr119
	s_cbranch_vccnz .LBB6_828
; %bb.815:                              ;   in Loop: Header=BB6_130 Depth=2
	s_mov_b32 s13, 0
	s_and_saveexec_b32 s40, s29
	s_xor_b32 s29, exec_lo, s40
	s_cbranch_execz .LBB6_2584
; %bb.816:                              ;   in Loop: Header=BB6_130 Depth=2
	v_cmp_eq_u16_sdwa s41, v32, v58 src0_sel:BYTE_3 src1_sel:DWORD
	s_mov_b32 s13, -1
	s_and_saveexec_b32 s40, s41
; %bb.817:                              ;   in Loop: Header=BB6_130 Depth=2
	s_xor_b32 s13, exec_lo, -1
; %bb.818:                              ;   in Loop: Header=BB6_130 Depth=2
	s_or_b32 exec_lo, exec_lo, s40
	s_and_b32 s13, s13, exec_lo
	s_or_saveexec_b32 s29, s29
	v_mov_b32_e32 v119, 0x7f800001
	s_xor_b32 exec_lo, exec_lo, s29
	s_cbranch_execnz .LBB6_2585
.LBB6_819:                              ;   in Loop: Header=BB6_130 Depth=2
	s_or_b32 exec_lo, exec_lo, s29
	s_and_saveexec_b32 s29, s13
	s_cbranch_execz .LBB6_821
.LBB6_820:                              ;   in Loop: Header=BB6_130 Depth=2
	v_bfe_u32 v2, v32, 24, 2
	v_bfe_u32 v119, v32, 26, 5
	v_ffbh_u32_e32 v3, v2
	v_cmp_eq_u32_e32 vcc_lo, 0, v119
	v_min_u32_e32 v3, 32, v3
	v_subrev_nc_u32_e32 v30, 29, v3
	v_sub_nc_u32_e32 v3, 30, v3
	v_lshlrev_b32_sdwa v30, v30, v32 dst_sel:DWORD dst_unused:UNUSED_PAD src0_sel:DWORD src1_sel:BYTE_3
	v_cndmask_b32_e32 v3, v119, v3, vcc_lo
	v_and_b32_e32 v30, 3, v30
	v_lshl_add_u32 v3, v3, 23, 0x37800000
	v_cndmask_b32_e32 v2, v2, v30, vcc_lo
	v_and_b32_e32 v30, 0x80000000, v32
	v_lshlrev_b32_e32 v2, 21, v2
	v_or3_b32 v119, v30, v3, v2
.LBB6_821:                              ;   in Loop: Header=BB6_130 Depth=2
	s_or_b32 exec_lo, exec_lo, s29
	s_waitcnt vmcnt(2)
	v_cmp_gt_i16_sdwa s29, v26, v57 src0_sel:BYTE_3 src1_sel:DWORD
	s_mov_b32 s13, 0
	s_and_saveexec_b32 s40, s29
	s_xor_b32 s29, exec_lo, s40
	s_cbranch_execz .LBB6_2586
; %bb.822:                              ;   in Loop: Header=BB6_130 Depth=2
	v_cmp_eq_u16_sdwa s41, v26, v58 src0_sel:BYTE_3 src1_sel:DWORD
	s_mov_b32 s13, -1
	s_and_saveexec_b32 s40, s41
; %bb.823:                              ;   in Loop: Header=BB6_130 Depth=2
	s_xor_b32 s13, exec_lo, -1
; %bb.824:                              ;   in Loop: Header=BB6_130 Depth=2
	s_or_b32 exec_lo, exec_lo, s40
	s_and_b32 s13, s13, exec_lo
	s_or_saveexec_b32 s29, s29
	v_mov_b32_e32 v2, 0x7f800001
	s_xor_b32 exec_lo, exec_lo, s29
	s_cbranch_execnz .LBB6_2587
.LBB6_825:                              ;   in Loop: Header=BB6_130 Depth=2
	s_or_b32 exec_lo, exec_lo, s29
	s_and_saveexec_b32 s29, s13
	s_cbranch_execz .LBB6_827
.LBB6_826:                              ;   in Loop: Header=BB6_130 Depth=2
	v_bfe_u32 v2, v26, 24, 2
	v_bfe_u32 v40, v26, 26, 5
	v_ffbh_u32_e32 v3, v2
	v_cmp_eq_u32_e32 vcc_lo, 0, v40
	v_min_u32_e32 v3, 32, v3
	v_subrev_nc_u32_e32 v30, 29, v3
	v_sub_nc_u32_e32 v3, 30, v3
	v_lshlrev_b32_sdwa v30, v30, v26 dst_sel:DWORD dst_unused:UNUSED_PAD src0_sel:DWORD src1_sel:BYTE_3
	v_cndmask_b32_e32 v3, v40, v3, vcc_lo
	v_and_b32_e32 v30, 3, v30
	v_lshl_add_u32 v3, v3, 23, 0x37800000
	v_cndmask_b32_e32 v2, v2, v30, vcc_lo
	v_and_b32_e32 v30, 0x80000000, v26
	v_lshlrev_b32_e32 v2, 21, v2
	v_or3_b32 v2, v30, v3, v2
.LBB6_827:                              ;   in Loop: Header=BB6_130 Depth=2
	s_or_b32 exec_lo, exec_lo, s29
	v_max_f32_e32 v2, v2, v2
	v_max_f32_e32 v3, v119, v119
	s_mov_b32 s13, 0
	v_max_f32_e32 v119, v3, v2
.LBB6_828:                              ;   in Loop: Header=BB6_130 Depth=2
	s_and_b32 vcc_lo, exec_lo, s13
	s_cbranch_vccz .LBB6_842
; %bb.829:                              ;   in Loop: Header=BB6_130 Depth=2
	v_cmp_gt_i16_sdwa s29, v32, v57 src0_sel:BYTE_3 src1_sel:DWORD
	s_mov_b32 s13, 0
	s_and_saveexec_b32 s40, s29
	s_xor_b32 s29, exec_lo, s40
	s_cbranch_execz .LBB6_2588
; %bb.830:                              ;   in Loop: Header=BB6_130 Depth=2
	v_cmp_eq_u16_sdwa s41, v32, v58 src0_sel:BYTE_3 src1_sel:DWORD
	s_mov_b32 s13, -1
	s_and_saveexec_b32 s40, s41
; %bb.831:                              ;   in Loop: Header=BB6_130 Depth=2
	s_xor_b32 s13, exec_lo, -1
; %bb.832:                              ;   in Loop: Header=BB6_130 Depth=2
	s_or_b32 exec_lo, exec_lo, s40
	s_and_b32 s13, s13, exec_lo
	s_or_saveexec_b32 s29, s29
	v_mov_b32_e32 v119, 0x7f800001
	s_xor_b32 exec_lo, exec_lo, s29
	s_cbranch_execnz .LBB6_2589
.LBB6_833:                              ;   in Loop: Header=BB6_130 Depth=2
	s_or_b32 exec_lo, exec_lo, s29
	s_and_saveexec_b32 s29, s13
	s_cbranch_execz .LBB6_835
.LBB6_834:                              ;   in Loop: Header=BB6_130 Depth=2
	v_bfe_u32 v2, v32, 24, 2
	v_bfe_u32 v119, v32, 26, 5
	v_ffbh_u32_e32 v3, v2
	v_cmp_eq_u32_e32 vcc_lo, 0, v119
	v_min_u32_e32 v3, 32, v3
	v_subrev_nc_u32_e32 v30, 29, v3
	v_sub_nc_u32_e32 v3, 30, v3
	v_lshlrev_b32_sdwa v30, v30, v32 dst_sel:DWORD dst_unused:UNUSED_PAD src0_sel:DWORD src1_sel:BYTE_3
	v_cndmask_b32_e32 v3, v119, v3, vcc_lo
	v_and_b32_e32 v30, 3, v30
	v_lshl_add_u32 v3, v3, 23, 0x37800000
	v_cndmask_b32_e32 v2, v2, v30, vcc_lo
	v_and_b32_e32 v30, 0x80000000, v32
	v_lshlrev_b32_e32 v2, 21, v2
	v_or3_b32 v119, v30, v3, v2
.LBB6_835:                              ;   in Loop: Header=BB6_130 Depth=2
	s_or_b32 exec_lo, exec_lo, s29
	s_waitcnt vmcnt(2)
	v_cmp_gt_i16_sdwa s29, v26, v57 src0_sel:BYTE_3 src1_sel:DWORD
	s_mov_b32 s13, 0
	s_and_saveexec_b32 s40, s29
	s_xor_b32 s29, exec_lo, s40
	s_cbranch_execz .LBB6_2590
; %bb.836:                              ;   in Loop: Header=BB6_130 Depth=2
	v_cmp_eq_u16_sdwa s41, v26, v58 src0_sel:BYTE_3 src1_sel:DWORD
	s_mov_b32 s13, -1
	s_and_saveexec_b32 s40, s41
; %bb.837:                              ;   in Loop: Header=BB6_130 Depth=2
	s_xor_b32 s13, exec_lo, -1
; %bb.838:                              ;   in Loop: Header=BB6_130 Depth=2
	s_or_b32 exec_lo, exec_lo, s40
	s_and_b32 s13, s13, exec_lo
	s_or_saveexec_b32 s29, s29
	v_mov_b32_e32 v2, 0x7f800001
	s_xor_b32 exec_lo, exec_lo, s29
	s_cbranch_execnz .LBB6_2591
.LBB6_839:                              ;   in Loop: Header=BB6_130 Depth=2
	s_or_b32 exec_lo, exec_lo, s29
	s_and_saveexec_b32 s29, s13
	s_cbranch_execz .LBB6_841
.LBB6_840:                              ;   in Loop: Header=BB6_130 Depth=2
	v_bfe_u32 v2, v26, 24, 2
	v_bfe_u32 v32, v26, 26, 5
	v_ffbh_u32_e32 v3, v2
	v_cmp_eq_u32_e32 vcc_lo, 0, v32
	v_min_u32_e32 v3, 32, v3
	v_subrev_nc_u32_e32 v30, 29, v3
	v_sub_nc_u32_e32 v3, 30, v3
	v_lshlrev_b32_sdwa v30, v30, v26 dst_sel:DWORD dst_unused:UNUSED_PAD src0_sel:DWORD src1_sel:BYTE_3
	v_cndmask_b32_e32 v3, v32, v3, vcc_lo
	v_and_b32_e32 v26, 0x80000000, v26
	v_and_b32_e32 v30, 3, v30
	v_lshl_add_u32 v3, v3, 23, 0x37800000
	v_cndmask_b32_e32 v2, v2, v30, vcc_lo
	v_lshlrev_b32_e32 v2, 21, v2
	v_or3_b32 v2, v26, v3, v2
.LBB6_841:                              ;   in Loop: Header=BB6_130 Depth=2
	s_or_b32 exec_lo, exec_lo, s29
	v_max_f32_e32 v2, v2, v2
	v_max_f32_e32 v3, v119, v119
	v_min_f32_e32 v119, v3, v2
.LBB6_842:                              ;   in Loop: Header=BB6_130 Depth=2
	v_and_b32_e32 v2, 0x7f800000, v119
	s_waitcnt vmcnt(2)
	v_mov_b32_e32 v26, 0x8000
	s_mov_b32 s29, exec_lo
	v_cmpx_ne_u32_e32 0x7f800000, v2
	s_cbranch_execz .LBB6_850
; %bb.843:                              ;   in Loop: Header=BB6_130 Depth=2
	v_mov_b32_e32 v26, 0
	s_mov_b32 s40, exec_lo
	v_cmpx_ne_u32_e32 0, v119
	s_cbranch_execz .LBB6_849
; %bb.844:                              ;   in Loop: Header=BB6_130 Depth=2
	v_bfe_u32 v2, v119, 23, 8
	v_and_b32_e32 v3, 0x7fffff, v119
	v_sub_nc_u32_e32 v26, 0x70, v2
	v_cmp_gt_u32_e32 vcc_lo, 0x71, v2
	v_or_b32_e32 v30, 0x800000, v3
	v_cndmask_b32_e32 v26, 0, v26, vcc_lo
	v_cmp_eq_u32_e32 vcc_lo, 0, v2
	v_add_nc_u32_e32 v2, 0xffffff91, v2
	v_cndmask_b32_e64 v26, v26, 0x6f, vcc_lo
	v_cndmask_b32_e32 v3, v30, v3, vcc_lo
	v_cndmask_b32_e64 v2, v2, 0xffffff92, vcc_lo
	v_lshl_add_u32 v30, 0x200000, v26, -1
	v_lshrrev_b32_e32 v32, v26, v3
	v_lshlrev_b32_e64 v42, v26, 0x100000
	v_and_b32_e32 v3, v30, v3
	v_bfe_u32 v40, v32, 21, 1
	v_cmp_eq_u32_e64 s13, v3, v42
	v_add_nc_u32_e32 v30, -1, v40
	v_lshrrev_b32_e32 v40, 23, v32
	v_cndmask_b32_e64 v3, 0, v30, s13
	s_mov_b32 s13, exec_lo
	v_add_nc_u32_e32 v30, v3, v32
	v_add_nc_u32_e32 v3, v26, v2
                                        ; implicit-def: $vgpr26
	v_and_b32_e32 v2, 0x1fffff, v30
	v_xor_b32_e32 v30, 1, v40
	v_add_nc_u32_e32 v2, v2, v32
	v_cmpx_ne_u32_e64 v3, v30
	s_xor_b32 s13, exec_lo, s13
; %bb.845:                              ;   in Loop: Header=BB6_130 Depth=2
	v_cmp_lt_u32_e32 vcc_lo, 0xffffff, v2
	v_sub_nc_u32_e32 v3, v3, v30
	v_cndmask_b32_e64 v30, 0, 1, vcc_lo
	v_add_co_ci_u32_e64 v26, null, 0, v3, vcc_lo
	v_lshrrev_b32_e32 v2, v30, v2
; %bb.846:                              ;   in Loop: Header=BB6_130 Depth=2
	s_andn2_saveexec_b32 s13, s13
; %bb.847:                              ;   in Loop: Header=BB6_130 Depth=2
	v_bfe_u32 v26, v2, 23, 1
; %bb.848:                              ;   in Loop: Header=BB6_130 Depth=2
	s_or_b32 exec_lo, exec_lo, s13
	v_lshrrev_b32_e32 v2, 21, v2
	v_min_i32_e32 v3, 31, v26
	v_cmp_gt_i32_e32 vcc_lo, 32, v26
	v_and_b32_sdwa v30, v119, v58 dst_sel:DWORD dst_unused:UNUSED_PAD src0_sel:BYTE_3 src1_sel:DWORD
	v_lshlrev_b32_e32 v3, 2, v3
	v_cndmask_b32_e32 v2, 3, v2, vcc_lo
	v_and_b32_e32 v3, 0xfc, v3
	v_and_b32_e32 v32, 3, v2
	v_or_b32_e32 v2, v26, v2
	v_or3_b32 v3, v30, v3, v32
	v_cmp_ne_u32_e32 vcc_lo, 0, v2
	v_lshlrev_b32_e32 v3, 8, v3
	v_cndmask_b32_e32 v26, 0, v3, vcc_lo
.LBB6_849:                              ;   in Loop: Header=BB6_130 Depth=2
	s_or_b32 exec_lo, exec_lo, s40
.LBB6_850:                              ;   in Loop: Header=BB6_130 Depth=2
	s_or_b32 exec_lo, exec_lo, s29
	v_cmp_gt_i16_sdwa s29, v33, v57 src0_sel:BYTE_0 src1_sel:DWORD
	s_andn2_b32 vcc_lo, exec_lo, s28
	s_mov_b32 s13, -1
                                        ; implicit-def: $vgpr119
	s_cbranch_vccnz .LBB6_864
; %bb.851:                              ;   in Loop: Header=BB6_130 Depth=2
	s_mov_b32 s13, 0
	s_and_saveexec_b32 s40, s29
	s_xor_b32 s29, exec_lo, s40
	s_cbranch_execz .LBB6_2592
; %bb.852:                              ;   in Loop: Header=BB6_130 Depth=2
	v_cmp_eq_u16_sdwa s41, v33, v58 src0_sel:BYTE_0 src1_sel:DWORD
	s_mov_b32 s13, -1
	s_and_saveexec_b32 s40, s41
; %bb.853:                              ;   in Loop: Header=BB6_130 Depth=2
	s_xor_b32 s13, exec_lo, -1
; %bb.854:                              ;   in Loop: Header=BB6_130 Depth=2
	s_or_b32 exec_lo, exec_lo, s40
	s_and_b32 s13, s13, exec_lo
	s_or_saveexec_b32 s29, s29
	v_mov_b32_e32 v32, 0x7f800001
	s_xor_b32 exec_lo, exec_lo, s29
	s_cbranch_execnz .LBB6_2593
.LBB6_855:                              ;   in Loop: Header=BB6_130 Depth=2
	s_or_b32 exec_lo, exec_lo, s29
	s_and_saveexec_b32 s29, s13
	s_cbranch_execz .LBB6_857
.LBB6_856:                              ;   in Loop: Header=BB6_130 Depth=2
	v_and_b32_e32 v2, 3, v33
	v_bfe_u32 v32, v33, 2, 5
	v_lshlrev_b32_e32 v119, 24, v33
	v_ffbh_u32_e32 v3, v2
	v_cmp_eq_u32_e32 vcc_lo, 0, v32
	v_min_u32_e32 v3, 32, v3
	v_subrev_nc_u32_e32 v30, 29, v3
	v_sub_nc_u32_e32 v3, 30, v3
	v_lshlrev_b32_e32 v30, v30, v33
	v_cndmask_b32_e32 v3, v32, v3, vcc_lo
	v_and_b32_e32 v30, 3, v30
	v_lshl_add_u32 v3, v3, 23, 0x37800000
	v_cndmask_b32_e32 v2, v2, v30, vcc_lo
	v_and_b32_e32 v30, 0x80000000, v119
	v_lshlrev_b32_e32 v2, 21, v2
	v_or3_b32 v32, v30, v3, v2
.LBB6_857:                              ;   in Loop: Header=BB6_130 Depth=2
	s_or_b32 exec_lo, exec_lo, s29
	v_cmp_gt_i16_sdwa s29, v27, v57 src0_sel:BYTE_0 src1_sel:DWORD
	s_mov_b32 s13, 0
	s_and_saveexec_b32 s40, s29
	s_xor_b32 s29, exec_lo, s40
	s_cbranch_execz .LBB6_2594
; %bb.858:                              ;   in Loop: Header=BB6_130 Depth=2
	v_cmp_eq_u16_sdwa s41, v27, v58 src0_sel:BYTE_0 src1_sel:DWORD
	s_mov_b32 s13, -1
	s_and_saveexec_b32 s40, s41
; %bb.859:                              ;   in Loop: Header=BB6_130 Depth=2
	s_xor_b32 s13, exec_lo, -1
; %bb.860:                              ;   in Loop: Header=BB6_130 Depth=2
	s_or_b32 exec_lo, exec_lo, s40
	s_and_b32 s13, s13, exec_lo
	s_or_saveexec_b32 s29, s29
	v_mov_b32_e32 v2, 0x7f800001
	s_xor_b32 exec_lo, exec_lo, s29
	s_cbranch_execnz .LBB6_2595
.LBB6_861:                              ;   in Loop: Header=BB6_130 Depth=2
	s_or_b32 exec_lo, exec_lo, s29
	s_and_saveexec_b32 s29, s13
	s_cbranch_execz .LBB6_863
.LBB6_862:                              ;   in Loop: Header=BB6_130 Depth=2
	v_and_b32_e32 v2, 3, v27
	v_bfe_u32 v119, v27, 2, 5
	v_lshlrev_b32_e32 v40, 24, v27
	v_ffbh_u32_e32 v3, v2
	v_cmp_eq_u32_e32 vcc_lo, 0, v119
	v_min_u32_e32 v3, 32, v3
	v_subrev_nc_u32_e32 v30, 29, v3
	v_sub_nc_u32_e32 v3, 30, v3
	v_lshlrev_b32_e32 v30, v30, v27
	v_cndmask_b32_e32 v3, v119, v3, vcc_lo
	v_and_b32_e32 v30, 3, v30
	v_lshl_add_u32 v3, v3, 23, 0x37800000
	v_cndmask_b32_e32 v2, v2, v30, vcc_lo
	v_and_b32_e32 v30, 0x80000000, v40
	v_lshlrev_b32_e32 v2, 21, v2
	v_or3_b32 v2, v30, v3, v2
.LBB6_863:                              ;   in Loop: Header=BB6_130 Depth=2
	s_or_b32 exec_lo, exec_lo, s29
	v_max_f32_e32 v2, v2, v2
	v_max_f32_e32 v3, v32, v32
	s_mov_b32 s13, 0
	v_max_f32_e32 v119, v3, v2
.LBB6_864:                              ;   in Loop: Header=BB6_130 Depth=2
	s_and_b32 vcc_lo, exec_lo, s13
	s_cbranch_vccz .LBB6_878
; %bb.865:                              ;   in Loop: Header=BB6_130 Depth=2
	v_cmp_gt_i16_sdwa s29, v33, v57 src0_sel:BYTE_0 src1_sel:DWORD
	s_mov_b32 s13, 0
	s_and_saveexec_b32 s40, s29
	s_xor_b32 s29, exec_lo, s40
	s_cbranch_execz .LBB6_2596
; %bb.866:                              ;   in Loop: Header=BB6_130 Depth=2
	v_cmp_eq_u16_sdwa s41, v33, v58 src0_sel:BYTE_0 src1_sel:DWORD
	s_mov_b32 s13, -1
	s_and_saveexec_b32 s40, s41
; %bb.867:                              ;   in Loop: Header=BB6_130 Depth=2
	s_xor_b32 s13, exec_lo, -1
; %bb.868:                              ;   in Loop: Header=BB6_130 Depth=2
	s_or_b32 exec_lo, exec_lo, s40
	s_and_b32 s13, s13, exec_lo
	s_or_saveexec_b32 s29, s29
	v_mov_b32_e32 v32, 0x7f800001
	s_xor_b32 exec_lo, exec_lo, s29
	s_cbranch_execnz .LBB6_2597
.LBB6_869:                              ;   in Loop: Header=BB6_130 Depth=2
	s_or_b32 exec_lo, exec_lo, s29
	s_and_saveexec_b32 s29, s13
	s_cbranch_execz .LBB6_871
.LBB6_870:                              ;   in Loop: Header=BB6_130 Depth=2
	v_and_b32_e32 v2, 3, v33
	v_bfe_u32 v32, v33, 2, 5
	v_lshlrev_b32_e32 v119, 24, v33
	v_ffbh_u32_e32 v3, v2
	v_cmp_eq_u32_e32 vcc_lo, 0, v32
	v_min_u32_e32 v3, 32, v3
	v_subrev_nc_u32_e32 v30, 29, v3
	v_sub_nc_u32_e32 v3, 30, v3
	v_lshlrev_b32_e32 v30, v30, v33
	v_cndmask_b32_e32 v3, v32, v3, vcc_lo
	v_and_b32_e32 v30, 3, v30
	v_lshl_add_u32 v3, v3, 23, 0x37800000
	v_cndmask_b32_e32 v2, v2, v30, vcc_lo
	v_and_b32_e32 v30, 0x80000000, v119
	v_lshlrev_b32_e32 v2, 21, v2
	v_or3_b32 v32, v30, v3, v2
.LBB6_871:                              ;   in Loop: Header=BB6_130 Depth=2
	s_or_b32 exec_lo, exec_lo, s29
	v_cmp_gt_i16_sdwa s29, v27, v57 src0_sel:BYTE_0 src1_sel:DWORD
	s_mov_b32 s13, 0
	s_and_saveexec_b32 s40, s29
	s_xor_b32 s29, exec_lo, s40
	s_cbranch_execz .LBB6_2598
; %bb.872:                              ;   in Loop: Header=BB6_130 Depth=2
	v_cmp_eq_u16_sdwa s41, v27, v58 src0_sel:BYTE_0 src1_sel:DWORD
	s_mov_b32 s13, -1
	s_and_saveexec_b32 s40, s41
; %bb.873:                              ;   in Loop: Header=BB6_130 Depth=2
	s_xor_b32 s13, exec_lo, -1
; %bb.874:                              ;   in Loop: Header=BB6_130 Depth=2
	s_or_b32 exec_lo, exec_lo, s40
	s_and_b32 s13, s13, exec_lo
	s_or_saveexec_b32 s29, s29
	v_mov_b32_e32 v2, 0x7f800001
	s_xor_b32 exec_lo, exec_lo, s29
	s_cbranch_execnz .LBB6_2599
.LBB6_875:                              ;   in Loop: Header=BB6_130 Depth=2
	s_or_b32 exec_lo, exec_lo, s29
	s_and_saveexec_b32 s29, s13
	s_cbranch_execz .LBB6_877
.LBB6_876:                              ;   in Loop: Header=BB6_130 Depth=2
	v_and_b32_e32 v2, 3, v27
	v_bfe_u32 v119, v27, 2, 5
	v_lshlrev_b32_e32 v40, 24, v27
	v_ffbh_u32_e32 v3, v2
	v_cmp_eq_u32_e32 vcc_lo, 0, v119
	v_min_u32_e32 v3, 32, v3
	v_subrev_nc_u32_e32 v30, 29, v3
	v_sub_nc_u32_e32 v3, 30, v3
	v_lshlrev_b32_e32 v30, v30, v27
	v_cndmask_b32_e32 v3, v119, v3, vcc_lo
	v_and_b32_e32 v30, 3, v30
	v_lshl_add_u32 v3, v3, 23, 0x37800000
	v_cndmask_b32_e32 v2, v2, v30, vcc_lo
	v_and_b32_e32 v30, 0x80000000, v40
	v_lshlrev_b32_e32 v2, 21, v2
	v_or3_b32 v2, v30, v3, v2
.LBB6_877:                              ;   in Loop: Header=BB6_130 Depth=2
	s_or_b32 exec_lo, exec_lo, s29
	v_max_f32_e32 v2, v2, v2
	v_max_f32_e32 v3, v32, v32
	v_min_f32_e32 v119, v3, v2
.LBB6_878:                              ;   in Loop: Header=BB6_130 Depth=2
	v_and_b32_e32 v2, 0x7f800000, v119
	v_mov_b32_e32 v32, 0x80
	s_mov_b32 s29, exec_lo
	v_cmpx_ne_u32_e32 0x7f800000, v2
	s_cbranch_execz .LBB6_886
; %bb.879:                              ;   in Loop: Header=BB6_130 Depth=2
	v_mov_b32_e32 v32, 0
	s_mov_b32 s40, exec_lo
	v_cmpx_ne_u32_e32 0, v119
	s_cbranch_execz .LBB6_885
; %bb.880:                              ;   in Loop: Header=BB6_130 Depth=2
	v_bfe_u32 v2, v119, 23, 8
	v_and_b32_e32 v3, 0x7fffff, v119
	v_sub_nc_u32_e32 v30, 0x70, v2
	v_cmp_gt_u32_e32 vcc_lo, 0x71, v2
	v_or_b32_e32 v32, 0x800000, v3
	v_cndmask_b32_e32 v30, 0, v30, vcc_lo
	v_cmp_eq_u32_e32 vcc_lo, 0, v2
	v_add_nc_u32_e32 v2, 0xffffff91, v2
	v_cndmask_b32_e64 v30, v30, 0x6f, vcc_lo
	v_cndmask_b32_e32 v3, v32, v3, vcc_lo
	v_cndmask_b32_e64 v2, v2, 0xffffff92, vcc_lo
	v_lshl_add_u32 v32, 0x200000, v30, -1
	v_lshrrev_b32_e32 v40, v30, v3
	v_lshlrev_b32_e64 v90, v30, 0x100000
	v_and_b32_e32 v3, v32, v3
	v_bfe_u32 v42, v40, 21, 1
	v_cmp_eq_u32_e64 s13, v3, v90
	v_add_nc_u32_e32 v32, -1, v42
	v_lshrrev_b32_e32 v42, 23, v40
	v_cndmask_b32_e64 v3, 0, v32, s13
	s_mov_b32 s13, exec_lo
	v_add_nc_u32_e32 v32, v3, v40
	v_add_nc_u32_e32 v3, v30, v2
                                        ; implicit-def: $vgpr30
	v_and_b32_e32 v2, 0x1fffff, v32
	v_xor_b32_e32 v32, 1, v42
	v_add_nc_u32_e32 v2, v2, v40
	v_cmpx_ne_u32_e64 v3, v32
	s_xor_b32 s13, exec_lo, s13
; %bb.881:                              ;   in Loop: Header=BB6_130 Depth=2
	v_cmp_lt_u32_e32 vcc_lo, 0xffffff, v2
	v_sub_nc_u32_e32 v3, v3, v32
	v_cndmask_b32_e64 v32, 0, 1, vcc_lo
	v_add_co_ci_u32_e64 v30, null, 0, v3, vcc_lo
	v_lshrrev_b32_e32 v2, v32, v2
; %bb.882:                              ;   in Loop: Header=BB6_130 Depth=2
	s_andn2_saveexec_b32 s13, s13
; %bb.883:                              ;   in Loop: Header=BB6_130 Depth=2
	v_bfe_u32 v30, v2, 23, 1
; %bb.884:                              ;   in Loop: Header=BB6_130 Depth=2
	s_or_b32 exec_lo, exec_lo, s13
	v_lshrrev_b32_e32 v2, 21, v2
	v_min_i32_e32 v3, 31, v30
	v_cmp_gt_i32_e32 vcc_lo, 32, v30
	v_and_b32_sdwa v32, v119, v58 dst_sel:DWORD dst_unused:UNUSED_PAD src0_sel:BYTE_3 src1_sel:DWORD
	v_lshlrev_b32_e32 v3, 2, v3
	v_cndmask_b32_e32 v2, 3, v2, vcc_lo
	v_and_b32_e32 v3, 0xfc, v3
	v_and_b32_e32 v119, 3, v2
	v_or_b32_e32 v2, v30, v2
	v_or3_b32 v3, v3, v32, v119
	v_cmp_ne_u32_e32 vcc_lo, 0, v2
	v_cndmask_b32_e32 v32, 0, v3, vcc_lo
.LBB6_885:                              ;   in Loop: Header=BB6_130 Depth=2
	s_or_b32 exec_lo, exec_lo, s40
.LBB6_886:                              ;   in Loop: Header=BB6_130 Depth=2
	s_or_b32 exec_lo, exec_lo, s29
	v_cmp_gt_i16_sdwa s29, v33, v57 src0_sel:BYTE_1 src1_sel:DWORD
	s_andn2_b32 vcc_lo, exec_lo, s28
	s_mov_b32 s13, -1
                                        ; implicit-def: $vgpr119
	s_cbranch_vccnz .LBB6_900
; %bb.887:                              ;   in Loop: Header=BB6_130 Depth=2
	s_mov_b32 s13, 0
	s_and_saveexec_b32 s40, s29
	s_xor_b32 s29, exec_lo, s40
	s_cbranch_execz .LBB6_2600
; %bb.888:                              ;   in Loop: Header=BB6_130 Depth=2
	v_cmp_eq_u16_sdwa s41, v33, v58 src0_sel:BYTE_1 src1_sel:DWORD
	s_mov_b32 s13, -1
	s_and_saveexec_b32 s40, s41
; %bb.889:                              ;   in Loop: Header=BB6_130 Depth=2
	s_xor_b32 s13, exec_lo, -1
; %bb.890:                              ;   in Loop: Header=BB6_130 Depth=2
	s_or_b32 exec_lo, exec_lo, s40
	s_and_b32 s13, s13, exec_lo
	s_or_saveexec_b32 s29, s29
	v_mov_b32_e32 v119, 0x7f800001
	s_xor_b32 exec_lo, exec_lo, s29
	s_cbranch_execnz .LBB6_2601
.LBB6_891:                              ;   in Loop: Header=BB6_130 Depth=2
	s_or_b32 exec_lo, exec_lo, s29
	s_and_saveexec_b32 s29, s13
	s_cbranch_execz .LBB6_893
.LBB6_892:                              ;   in Loop: Header=BB6_130 Depth=2
	v_and_b32_sdwa v2, v59, v33 dst_sel:DWORD dst_unused:UNUSED_PAD src0_sel:DWORD src1_sel:BYTE_1
	v_and_b32_e32 v3, 3, v2
	v_bfe_u32 v40, v2, 2, 5
	v_ffbh_u32_e32 v30, v3
	v_cmp_eq_u32_e32 vcc_lo, 0, v40
	v_min_u32_e32 v30, 32, v30
	v_subrev_nc_u32_e32 v119, 29, v30
	v_sub_nc_u32_e32 v30, 30, v30
	v_lshlrev_b32_e32 v2, v119, v2
	v_lshlrev_b32_e32 v119, 16, v33
	v_cndmask_b32_e32 v30, v40, v30, vcc_lo
	v_and_b32_e32 v2, 3, v2
	v_lshl_add_u32 v30, v30, 23, 0x37800000
	v_cndmask_b32_e32 v2, v3, v2, vcc_lo
	v_and_b32_e32 v3, 0x80000000, v119
	v_lshlrev_b32_e32 v2, 21, v2
	v_or3_b32 v119, v3, v30, v2
.LBB6_893:                              ;   in Loop: Header=BB6_130 Depth=2
	s_or_b32 exec_lo, exec_lo, s29
	v_cmp_gt_i16_sdwa s29, v27, v57 src0_sel:BYTE_1 src1_sel:DWORD
	s_mov_b32 s13, 0
	s_and_saveexec_b32 s40, s29
	s_xor_b32 s29, exec_lo, s40
	s_cbranch_execz .LBB6_2602
; %bb.894:                              ;   in Loop: Header=BB6_130 Depth=2
	v_cmp_eq_u16_sdwa s41, v27, v58 src0_sel:BYTE_1 src1_sel:DWORD
	s_mov_b32 s13, -1
	s_and_saveexec_b32 s40, s41
; %bb.895:                              ;   in Loop: Header=BB6_130 Depth=2
	s_xor_b32 s13, exec_lo, -1
; %bb.896:                              ;   in Loop: Header=BB6_130 Depth=2
	s_or_b32 exec_lo, exec_lo, s40
	s_and_b32 s13, s13, exec_lo
	s_or_saveexec_b32 s29, s29
	v_mov_b32_e32 v2, 0x7f800001
	s_xor_b32 exec_lo, exec_lo, s29
	s_cbranch_execnz .LBB6_2603
.LBB6_897:                              ;   in Loop: Header=BB6_130 Depth=2
	s_or_b32 exec_lo, exec_lo, s29
	s_and_saveexec_b32 s29, s13
	s_cbranch_execz .LBB6_899
.LBB6_898:                              ;   in Loop: Header=BB6_130 Depth=2
	v_and_b32_sdwa v2, v59, v27 dst_sel:DWORD dst_unused:UNUSED_PAD src0_sel:DWORD src1_sel:BYTE_1
	v_and_b32_e32 v3, 3, v2
	v_bfe_u32 v42, v2, 2, 5
	v_ffbh_u32_e32 v30, v3
	v_cmp_eq_u32_e32 vcc_lo, 0, v42
	v_min_u32_e32 v30, 32, v30
	v_subrev_nc_u32_e32 v40, 29, v30
	v_sub_nc_u32_e32 v30, 30, v30
	v_lshlrev_b32_e32 v2, v40, v2
	v_lshlrev_b32_e32 v40, 16, v27
	v_cndmask_b32_e32 v30, v42, v30, vcc_lo
	v_and_b32_e32 v2, 3, v2
	v_lshl_add_u32 v30, v30, 23, 0x37800000
	v_cndmask_b32_e32 v2, v3, v2, vcc_lo
	v_and_b32_e32 v3, 0x80000000, v40
	v_lshlrev_b32_e32 v2, 21, v2
	v_or3_b32 v2, v3, v30, v2
.LBB6_899:                              ;   in Loop: Header=BB6_130 Depth=2
	s_or_b32 exec_lo, exec_lo, s29
	v_max_f32_e32 v2, v2, v2
	v_max_f32_e32 v3, v119, v119
	s_mov_b32 s13, 0
	v_max_f32_e32 v119, v3, v2
.LBB6_900:                              ;   in Loop: Header=BB6_130 Depth=2
	s_and_b32 vcc_lo, exec_lo, s13
	s_cbranch_vccz .LBB6_914
; %bb.901:                              ;   in Loop: Header=BB6_130 Depth=2
	v_cmp_gt_i16_sdwa s29, v33, v57 src0_sel:BYTE_1 src1_sel:DWORD
	s_mov_b32 s13, 0
	s_and_saveexec_b32 s40, s29
	s_xor_b32 s29, exec_lo, s40
	s_cbranch_execz .LBB6_2604
; %bb.902:                              ;   in Loop: Header=BB6_130 Depth=2
	v_cmp_eq_u16_sdwa s41, v33, v58 src0_sel:BYTE_1 src1_sel:DWORD
	s_mov_b32 s13, -1
	s_and_saveexec_b32 s40, s41
; %bb.903:                              ;   in Loop: Header=BB6_130 Depth=2
	s_xor_b32 s13, exec_lo, -1
; %bb.904:                              ;   in Loop: Header=BB6_130 Depth=2
	s_or_b32 exec_lo, exec_lo, s40
	s_and_b32 s13, s13, exec_lo
	s_or_saveexec_b32 s29, s29
	v_mov_b32_e32 v119, 0x7f800001
	s_xor_b32 exec_lo, exec_lo, s29
	s_cbranch_execnz .LBB6_2605
.LBB6_905:                              ;   in Loop: Header=BB6_130 Depth=2
	s_or_b32 exec_lo, exec_lo, s29
	s_and_saveexec_b32 s29, s13
	s_cbranch_execz .LBB6_907
.LBB6_906:                              ;   in Loop: Header=BB6_130 Depth=2
	v_and_b32_sdwa v2, v59, v33 dst_sel:DWORD dst_unused:UNUSED_PAD src0_sel:DWORD src1_sel:BYTE_1
	v_and_b32_e32 v3, 3, v2
	v_bfe_u32 v40, v2, 2, 5
	v_ffbh_u32_e32 v30, v3
	v_cmp_eq_u32_e32 vcc_lo, 0, v40
	v_min_u32_e32 v30, 32, v30
	v_subrev_nc_u32_e32 v119, 29, v30
	v_sub_nc_u32_e32 v30, 30, v30
	v_lshlrev_b32_e32 v2, v119, v2
	v_lshlrev_b32_e32 v119, 16, v33
	v_cndmask_b32_e32 v30, v40, v30, vcc_lo
	v_and_b32_e32 v2, 3, v2
	v_lshl_add_u32 v30, v30, 23, 0x37800000
	v_cndmask_b32_e32 v2, v3, v2, vcc_lo
	v_and_b32_e32 v3, 0x80000000, v119
	v_lshlrev_b32_e32 v2, 21, v2
	v_or3_b32 v119, v3, v30, v2
.LBB6_907:                              ;   in Loop: Header=BB6_130 Depth=2
	s_or_b32 exec_lo, exec_lo, s29
	v_cmp_gt_i16_sdwa s29, v27, v57 src0_sel:BYTE_1 src1_sel:DWORD
	s_mov_b32 s13, 0
	s_and_saveexec_b32 s40, s29
	s_xor_b32 s29, exec_lo, s40
	s_cbranch_execz .LBB6_2606
; %bb.908:                              ;   in Loop: Header=BB6_130 Depth=2
	v_cmp_eq_u16_sdwa s41, v27, v58 src0_sel:BYTE_1 src1_sel:DWORD
	s_mov_b32 s13, -1
	s_and_saveexec_b32 s40, s41
; %bb.909:                              ;   in Loop: Header=BB6_130 Depth=2
	s_xor_b32 s13, exec_lo, -1
; %bb.910:                              ;   in Loop: Header=BB6_130 Depth=2
	s_or_b32 exec_lo, exec_lo, s40
	s_and_b32 s13, s13, exec_lo
	s_or_saveexec_b32 s29, s29
	v_mov_b32_e32 v2, 0x7f800001
	s_xor_b32 exec_lo, exec_lo, s29
	s_cbranch_execnz .LBB6_2607
.LBB6_911:                              ;   in Loop: Header=BB6_130 Depth=2
	s_or_b32 exec_lo, exec_lo, s29
	s_and_saveexec_b32 s29, s13
	s_cbranch_execz .LBB6_913
.LBB6_912:                              ;   in Loop: Header=BB6_130 Depth=2
	v_and_b32_sdwa v2, v59, v27 dst_sel:DWORD dst_unused:UNUSED_PAD src0_sel:DWORD src1_sel:BYTE_1
	v_and_b32_e32 v3, 3, v2
	v_bfe_u32 v42, v2, 2, 5
	v_ffbh_u32_e32 v30, v3
	v_cmp_eq_u32_e32 vcc_lo, 0, v42
	v_min_u32_e32 v30, 32, v30
	v_subrev_nc_u32_e32 v40, 29, v30
	v_sub_nc_u32_e32 v30, 30, v30
	v_lshlrev_b32_e32 v2, v40, v2
	v_lshlrev_b32_e32 v40, 16, v27
	v_cndmask_b32_e32 v30, v42, v30, vcc_lo
	v_and_b32_e32 v2, 3, v2
	v_lshl_add_u32 v30, v30, 23, 0x37800000
	v_cndmask_b32_e32 v2, v3, v2, vcc_lo
	v_and_b32_e32 v3, 0x80000000, v40
	v_lshlrev_b32_e32 v2, 21, v2
	v_or3_b32 v2, v3, v30, v2
.LBB6_913:                              ;   in Loop: Header=BB6_130 Depth=2
	s_or_b32 exec_lo, exec_lo, s29
	v_max_f32_e32 v2, v2, v2
	v_max_f32_e32 v3, v119, v119
	v_min_f32_e32 v119, v3, v2
.LBB6_914:                              ;   in Loop: Header=BB6_130 Depth=2
	v_and_b32_e32 v2, 0x7f800000, v119
	v_mov_b32_e32 v90, 0x8000
	s_mov_b32 s29, exec_lo
	v_cmpx_ne_u32_e32 0x7f800000, v2
	s_cbranch_execz .LBB6_922
; %bb.915:                              ;   in Loop: Header=BB6_130 Depth=2
	v_mov_b32_e32 v90, 0
	s_mov_b32 s40, exec_lo
	v_cmpx_ne_u32_e32 0, v119
	s_cbranch_execz .LBB6_921
; %bb.916:                              ;   in Loop: Header=BB6_130 Depth=2
	v_bfe_u32 v2, v119, 23, 8
	v_and_b32_e32 v3, 0x7fffff, v119
	v_sub_nc_u32_e32 v30, 0x70, v2
	v_cmp_gt_u32_e32 vcc_lo, 0x71, v2
	v_or_b32_e32 v40, 0x800000, v3
	v_cndmask_b32_e32 v30, 0, v30, vcc_lo
	v_cmp_eq_u32_e32 vcc_lo, 0, v2
	v_add_nc_u32_e32 v2, 0xffffff91, v2
	v_cndmask_b32_e64 v30, v30, 0x6f, vcc_lo
	v_cndmask_b32_e32 v3, v40, v3, vcc_lo
	v_cndmask_b32_e64 v2, v2, 0xffffff92, vcc_lo
	v_lshl_add_u32 v40, 0x200000, v30, -1
	v_lshrrev_b32_e32 v42, v30, v3
	v_lshlrev_b32_e64 v91, v30, 0x100000
	v_and_b32_e32 v3, v40, v3
	v_bfe_u32 v90, v42, 21, 1
	v_cmp_eq_u32_e64 s13, v3, v91
	v_add_nc_u32_e32 v40, -1, v90
	v_lshrrev_b32_e32 v90, 23, v42
	v_cndmask_b32_e64 v3, 0, v40, s13
	s_mov_b32 s13, exec_lo
	v_add_nc_u32_e32 v40, v3, v42
	v_add_nc_u32_e32 v3, v30, v2
                                        ; implicit-def: $vgpr30
	v_and_b32_e32 v2, 0x1fffff, v40
	v_xor_b32_e32 v40, 1, v90
	v_add_nc_u32_e32 v2, v2, v42
	v_cmpx_ne_u32_e64 v3, v40
	s_xor_b32 s13, exec_lo, s13
; %bb.917:                              ;   in Loop: Header=BB6_130 Depth=2
	v_cmp_lt_u32_e32 vcc_lo, 0xffffff, v2
	v_sub_nc_u32_e32 v3, v3, v40
	v_cndmask_b32_e64 v40, 0, 1, vcc_lo
	v_add_co_ci_u32_e64 v30, null, 0, v3, vcc_lo
	v_lshrrev_b32_e32 v2, v40, v2
; %bb.918:                              ;   in Loop: Header=BB6_130 Depth=2
	s_andn2_saveexec_b32 s13, s13
; %bb.919:                              ;   in Loop: Header=BB6_130 Depth=2
	v_bfe_u32 v30, v2, 23, 1
; %bb.920:                              ;   in Loop: Header=BB6_130 Depth=2
	s_or_b32 exec_lo, exec_lo, s13
	v_lshrrev_b32_e32 v2, 21, v2
	v_min_i32_e32 v3, 31, v30
	v_cmp_gt_i32_e32 vcc_lo, 32, v30
	v_and_b32_sdwa v119, v119, v58 dst_sel:DWORD dst_unused:UNUSED_PAD src0_sel:BYTE_3 src1_sel:DWORD
	v_lshlrev_b32_e32 v3, 2, v3
	v_cndmask_b32_e32 v2, 3, v2, vcc_lo
	v_and_b32_e32 v3, 0xfc, v3
	v_and_b32_e32 v40, 3, v2
	v_or_b32_e32 v2, v30, v2
	v_or3_b32 v3, v119, v3, v40
	v_cmp_ne_u32_e32 vcc_lo, 0, v2
	v_lshlrev_b32_e32 v3, 8, v3
	v_cndmask_b32_e32 v90, 0, v3, vcc_lo
.LBB6_921:                              ;   in Loop: Header=BB6_130 Depth=2
	s_or_b32 exec_lo, exec_lo, s40
.LBB6_922:                              ;   in Loop: Header=BB6_130 Depth=2
	s_or_b32 exec_lo, exec_lo, s29
	v_and_b32_sdwa v119, v33, v60 dst_sel:DWORD dst_unused:UNUSED_PAD src0_sel:WORD_1 src1_sel:DWORD
	s_andn2_b32 vcc_lo, exec_lo, s28
	s_mov_b32 s29, -1
                                        ; implicit-def: $vgpr40
	v_cmp_lt_i16_e64 s13, 0x7f, v119
	s_cbranch_vccnz .LBB6_936
; %bb.923:                              ;   in Loop: Header=BB6_130 Depth=2
	s_mov_b32 s29, 0
	s_and_saveexec_b32 s40, s13
	s_xor_b32 s13, exec_lo, s40
	s_cbranch_execz .LBB6_2608
; %bb.924:                              ;   in Loop: Header=BB6_130 Depth=2
	s_mov_b32 s29, -1
	s_mov_b32 s40, exec_lo
	v_cmpx_eq_u16_e32 0x80, v119
; %bb.925:                              ;   in Loop: Header=BB6_130 Depth=2
	s_xor_b32 s29, exec_lo, -1
; %bb.926:                              ;   in Loop: Header=BB6_130 Depth=2
	s_or_b32 exec_lo, exec_lo, s40
	s_and_b32 s29, s29, exec_lo
	s_or_saveexec_b32 s13, s13
	v_mov_b32_e32 v40, 0x7f800001
	s_xor_b32 exec_lo, exec_lo, s13
	s_cbranch_execnz .LBB6_2609
.LBB6_927:                              ;   in Loop: Header=BB6_130 Depth=2
	s_or_b32 exec_lo, exec_lo, s13
	s_and_saveexec_b32 s13, s29
	s_cbranch_execz .LBB6_929
.LBB6_928:                              ;   in Loop: Header=BB6_130 Depth=2
	v_bfe_u32 v2, v33, 16, 2
	v_bfe_u32 v40, v33, 18, 5
	v_lshlrev_b32_sdwa v42, v61, v33 dst_sel:DWORD dst_unused:UNUSED_PAD src0_sel:DWORD src1_sel:WORD_1
	v_ffbh_u32_e32 v3, v2
	v_cmp_eq_u32_e32 vcc_lo, 0, v40
	v_min_u32_e32 v3, 32, v3
	v_subrev_nc_u32_e32 v30, 29, v3
	v_sub_nc_u32_e32 v3, 30, v3
	v_lshlrev_b32_sdwa v30, v30, v33 dst_sel:DWORD dst_unused:UNUSED_PAD src0_sel:DWORD src1_sel:WORD_1
	v_cndmask_b32_e32 v3, v40, v3, vcc_lo
	v_and_b32_e32 v30, 3, v30
	v_lshl_add_u32 v3, v3, 23, 0x37800000
	v_cndmask_b32_e32 v2, v2, v30, vcc_lo
	v_and_b32_e32 v30, 0x80000000, v42
	v_lshlrev_b32_e32 v2, 21, v2
	v_or3_b32 v40, v30, v3, v2
.LBB6_929:                              ;   in Loop: Header=BB6_130 Depth=2
	s_or_b32 exec_lo, exec_lo, s13
	v_and_b32_sdwa v3, v27, v60 dst_sel:DWORD dst_unused:UNUSED_PAD src0_sel:WORD_1 src1_sel:DWORD
	s_mov_b32 s13, 0
	s_mov_b32 s29, exec_lo
	v_cmpx_lt_i16_e32 0x7f, v3
	s_xor_b32 s29, exec_lo, s29
	s_cbranch_execz .LBB6_2610
; %bb.930:                              ;   in Loop: Header=BB6_130 Depth=2
	s_mov_b32 s13, -1
	s_mov_b32 s40, exec_lo
	v_cmpx_eq_u16_e32 0x80, v3
; %bb.931:                              ;   in Loop: Header=BB6_130 Depth=2
	s_xor_b32 s13, exec_lo, -1
; %bb.932:                              ;   in Loop: Header=BB6_130 Depth=2
	s_or_b32 exec_lo, exec_lo, s40
	s_and_b32 s13, s13, exec_lo
                                        ; implicit-def: $vgpr3
	s_or_saveexec_b32 s29, s29
	v_mov_b32_e32 v2, 0x7f800001
	s_xor_b32 exec_lo, exec_lo, s29
	s_cbranch_execnz .LBB6_2611
.LBB6_933:                              ;   in Loop: Header=BB6_130 Depth=2
	s_or_b32 exec_lo, exec_lo, s29
	s_and_saveexec_b32 s29, s13
	s_cbranch_execz .LBB6_935
.LBB6_934:                              ;   in Loop: Header=BB6_130 Depth=2
	v_bfe_u32 v2, v27, 16, 2
	v_bfe_u32 v42, v27, 18, 5
	v_lshlrev_b32_sdwa v91, v61, v27 dst_sel:DWORD dst_unused:UNUSED_PAD src0_sel:DWORD src1_sel:WORD_1
	v_ffbh_u32_e32 v3, v2
	v_cmp_eq_u32_e32 vcc_lo, 0, v42
	v_min_u32_e32 v3, 32, v3
	v_subrev_nc_u32_e32 v30, 29, v3
	v_sub_nc_u32_e32 v3, 30, v3
	v_lshlrev_b32_sdwa v30, v30, v27 dst_sel:DWORD dst_unused:UNUSED_PAD src0_sel:DWORD src1_sel:WORD_1
	v_cndmask_b32_e32 v3, v42, v3, vcc_lo
	v_and_b32_e32 v30, 3, v30
	v_lshl_add_u32 v3, v3, 23, 0x37800000
	v_cndmask_b32_e32 v2, v2, v30, vcc_lo
	v_and_b32_e32 v30, 0x80000000, v91
	v_lshlrev_b32_e32 v2, 21, v2
	v_or3_b32 v2, v30, v3, v2
.LBB6_935:                              ;   in Loop: Header=BB6_130 Depth=2
	s_or_b32 exec_lo, exec_lo, s29
	v_max_f32_e32 v2, v2, v2
	v_max_f32_e32 v3, v40, v40
	s_mov_b32 s29, 0
	v_max_f32_e32 v40, v3, v2
.LBB6_936:                              ;   in Loop: Header=BB6_130 Depth=2
	s_and_b32 vcc_lo, exec_lo, s29
	s_cbranch_vccz .LBB6_950
; %bb.937:                              ;   in Loop: Header=BB6_130 Depth=2
	s_mov_b32 s13, 0
	s_mov_b32 s29, exec_lo
	v_cmpx_lt_i16_e32 0x7f, v119
	s_xor_b32 s29, exec_lo, s29
	s_cbranch_execz .LBB6_2612
; %bb.938:                              ;   in Loop: Header=BB6_130 Depth=2
	s_mov_b32 s13, -1
	s_mov_b32 s40, exec_lo
	v_cmpx_eq_u16_e32 0x80, v119
; %bb.939:                              ;   in Loop: Header=BB6_130 Depth=2
	s_xor_b32 s13, exec_lo, -1
; %bb.940:                              ;   in Loop: Header=BB6_130 Depth=2
	s_or_b32 exec_lo, exec_lo, s40
	s_and_b32 s13, s13, exec_lo
                                        ; implicit-def: $vgpr119
	s_or_saveexec_b32 s29, s29
	v_mov_b32_e32 v40, 0x7f800001
	s_xor_b32 exec_lo, exec_lo, s29
	s_cbranch_execnz .LBB6_2613
.LBB6_941:                              ;   in Loop: Header=BB6_130 Depth=2
	s_or_b32 exec_lo, exec_lo, s29
	s_and_saveexec_b32 s29, s13
	s_cbranch_execz .LBB6_943
.LBB6_942:                              ;   in Loop: Header=BB6_130 Depth=2
	v_bfe_u32 v2, v33, 16, 2
	v_bfe_u32 v119, v33, 18, 5
	v_lshlrev_b32_sdwa v40, v61, v33 dst_sel:DWORD dst_unused:UNUSED_PAD src0_sel:DWORD src1_sel:WORD_1
	v_ffbh_u32_e32 v3, v2
	v_cmp_eq_u32_e32 vcc_lo, 0, v119
	v_min_u32_e32 v3, 32, v3
	v_subrev_nc_u32_e32 v30, 29, v3
	v_sub_nc_u32_e32 v3, 30, v3
	v_lshlrev_b32_sdwa v30, v30, v33 dst_sel:DWORD dst_unused:UNUSED_PAD src0_sel:DWORD src1_sel:WORD_1
	v_cndmask_b32_e32 v3, v119, v3, vcc_lo
	v_and_b32_e32 v30, 3, v30
	v_lshl_add_u32 v3, v3, 23, 0x37800000
	v_cndmask_b32_e32 v2, v2, v30, vcc_lo
	v_and_b32_e32 v30, 0x80000000, v40
	v_lshlrev_b32_e32 v2, 21, v2
	v_or3_b32 v40, v30, v3, v2
.LBB6_943:                              ;   in Loop: Header=BB6_130 Depth=2
	s_or_b32 exec_lo, exec_lo, s29
	v_and_b32_sdwa v3, v27, v60 dst_sel:DWORD dst_unused:UNUSED_PAD src0_sel:WORD_1 src1_sel:DWORD
	s_mov_b32 s13, 0
	s_mov_b32 s29, exec_lo
	v_cmpx_lt_i16_e32 0x7f, v3
	s_xor_b32 s29, exec_lo, s29
	s_cbranch_execz .LBB6_2614
; %bb.944:                              ;   in Loop: Header=BB6_130 Depth=2
	s_mov_b32 s13, -1
	s_mov_b32 s40, exec_lo
	v_cmpx_eq_u16_e32 0x80, v3
; %bb.945:                              ;   in Loop: Header=BB6_130 Depth=2
	s_xor_b32 s13, exec_lo, -1
; %bb.946:                              ;   in Loop: Header=BB6_130 Depth=2
	s_or_b32 exec_lo, exec_lo, s40
	s_and_b32 s13, s13, exec_lo
                                        ; implicit-def: $vgpr3
	s_or_saveexec_b32 s29, s29
	v_mov_b32_e32 v2, 0x7f800001
	s_xor_b32 exec_lo, exec_lo, s29
	s_cbranch_execnz .LBB6_2615
.LBB6_947:                              ;   in Loop: Header=BB6_130 Depth=2
	s_or_b32 exec_lo, exec_lo, s29
	s_and_saveexec_b32 s29, s13
	s_cbranch_execz .LBB6_949
.LBB6_948:                              ;   in Loop: Header=BB6_130 Depth=2
	v_bfe_u32 v2, v27, 16, 2
	v_bfe_u32 v119, v27, 18, 5
	v_lshlrev_b32_sdwa v42, v61, v27 dst_sel:DWORD dst_unused:UNUSED_PAD src0_sel:DWORD src1_sel:WORD_1
	v_ffbh_u32_e32 v3, v2
	v_cmp_eq_u32_e32 vcc_lo, 0, v119
	v_min_u32_e32 v3, 32, v3
	v_subrev_nc_u32_e32 v30, 29, v3
	v_sub_nc_u32_e32 v3, 30, v3
	v_lshlrev_b32_sdwa v30, v30, v27 dst_sel:DWORD dst_unused:UNUSED_PAD src0_sel:DWORD src1_sel:WORD_1
	v_cndmask_b32_e32 v3, v119, v3, vcc_lo
	v_and_b32_e32 v30, 3, v30
	v_lshl_add_u32 v3, v3, 23, 0x37800000
	v_cndmask_b32_e32 v2, v2, v30, vcc_lo
	v_and_b32_e32 v30, 0x80000000, v42
	v_lshlrev_b32_e32 v2, 21, v2
	v_or3_b32 v2, v30, v3, v2
.LBB6_949:                              ;   in Loop: Header=BB6_130 Depth=2
	s_or_b32 exec_lo, exec_lo, s29
	v_max_f32_e32 v2, v2, v2
	v_max_f32_e32 v3, v40, v40
	v_min_f32_e32 v40, v3, v2
.LBB6_950:                              ;   in Loop: Header=BB6_130 Depth=2
	v_and_b32_e32 v2, 0x7f800000, v40
	v_mov_b32_e32 v91, 0x80
	s_mov_b32 s29, exec_lo
	v_cmpx_ne_u32_e32 0x7f800000, v2
	s_cbranch_execz .LBB6_958
; %bb.951:                              ;   in Loop: Header=BB6_130 Depth=2
	v_mov_b32_e32 v91, 0
	s_mov_b32 s40, exec_lo
	v_cmpx_ne_u32_e32 0, v40
	s_cbranch_execz .LBB6_957
; %bb.952:                              ;   in Loop: Header=BB6_130 Depth=2
	v_bfe_u32 v2, v40, 23, 8
	v_and_b32_e32 v3, 0x7fffff, v40
	v_sub_nc_u32_e32 v30, 0x70, v2
	v_cmp_gt_u32_e32 vcc_lo, 0x71, v2
	v_or_b32_e32 v119, 0x800000, v3
	v_cndmask_b32_e32 v30, 0, v30, vcc_lo
	v_cmp_eq_u32_e32 vcc_lo, 0, v2
	v_add_nc_u32_e32 v2, 0xffffff91, v2
	v_cndmask_b32_e64 v30, v30, 0x6f, vcc_lo
	v_cndmask_b32_e32 v3, v119, v3, vcc_lo
	v_cndmask_b32_e64 v2, v2, 0xffffff92, vcc_lo
	v_lshl_add_u32 v119, 0x200000, v30, -1
	v_lshrrev_b32_e32 v42, v30, v3
	v_lshlrev_b32_e64 v92, v30, 0x100000
	v_and_b32_e32 v3, v119, v3
	v_bfe_u32 v91, v42, 21, 1
	v_cmp_eq_u32_e64 s13, v3, v92
	v_add_nc_u32_e32 v119, -1, v91
	v_lshrrev_b32_e32 v91, 23, v42
	v_cndmask_b32_e64 v3, 0, v119, s13
	s_mov_b32 s13, exec_lo
	v_add_nc_u32_e32 v119, v3, v42
	v_add_nc_u32_e32 v3, v30, v2
                                        ; implicit-def: $vgpr30
	v_and_b32_e32 v2, 0x1fffff, v119
	v_xor_b32_e32 v119, 1, v91
	v_add_nc_u32_e32 v2, v2, v42
	v_cmpx_ne_u32_e64 v3, v119
	s_xor_b32 s13, exec_lo, s13
; %bb.953:                              ;   in Loop: Header=BB6_130 Depth=2
	v_cmp_lt_u32_e32 vcc_lo, 0xffffff, v2
	v_sub_nc_u32_e32 v3, v3, v119
	v_cndmask_b32_e64 v119, 0, 1, vcc_lo
	v_add_co_ci_u32_e64 v30, null, 0, v3, vcc_lo
	v_lshrrev_b32_e32 v2, v119, v2
; %bb.954:                              ;   in Loop: Header=BB6_130 Depth=2
	s_andn2_saveexec_b32 s13, s13
; %bb.955:                              ;   in Loop: Header=BB6_130 Depth=2
	v_bfe_u32 v30, v2, 23, 1
; %bb.956:                              ;   in Loop: Header=BB6_130 Depth=2
	s_or_b32 exec_lo, exec_lo, s13
	v_lshrrev_b32_e32 v2, 21, v2
	v_min_i32_e32 v3, 31, v30
	v_cmp_gt_i32_e32 vcc_lo, 32, v30
	v_and_b32_sdwa v119, v40, v58 dst_sel:DWORD dst_unused:UNUSED_PAD src0_sel:BYTE_3 src1_sel:DWORD
	v_lshlrev_b32_e32 v3, 2, v3
	v_cndmask_b32_e32 v2, 3, v2, vcc_lo
	v_and_b32_e32 v3, 0xfc, v3
	v_and_b32_e32 v40, 3, v2
	v_or_b32_e32 v2, v30, v2
	v_or3_b32 v3, v3, v119, v40
	v_cmp_ne_u32_e32 vcc_lo, 0, v2
	v_cndmask_b32_e32 v91, 0, v3, vcc_lo
.LBB6_957:                              ;   in Loop: Header=BB6_130 Depth=2
	s_or_b32 exec_lo, exec_lo, s40
.LBB6_958:                              ;   in Loop: Header=BB6_130 Depth=2
	s_or_b32 exec_lo, exec_lo, s29
	v_cmp_gt_i16_sdwa s29, v33, v57 src0_sel:BYTE_3 src1_sel:DWORD
	s_andn2_b32 vcc_lo, exec_lo, s28
	s_mov_b32 s13, -1
                                        ; implicit-def: $vgpr119
	s_cbranch_vccnz .LBB6_972
; %bb.959:                              ;   in Loop: Header=BB6_130 Depth=2
	s_mov_b32 s13, 0
	s_and_saveexec_b32 s40, s29
	s_xor_b32 s29, exec_lo, s40
	s_cbranch_execz .LBB6_2616
; %bb.960:                              ;   in Loop: Header=BB6_130 Depth=2
	v_cmp_eq_u16_sdwa s41, v33, v58 src0_sel:BYTE_3 src1_sel:DWORD
	s_mov_b32 s13, -1
	s_and_saveexec_b32 s40, s41
; %bb.961:                              ;   in Loop: Header=BB6_130 Depth=2
	s_xor_b32 s13, exec_lo, -1
; %bb.962:                              ;   in Loop: Header=BB6_130 Depth=2
	s_or_b32 exec_lo, exec_lo, s40
	s_and_b32 s13, s13, exec_lo
	s_or_saveexec_b32 s29, s29
	v_mov_b32_e32 v119, 0x7f800001
	s_xor_b32 exec_lo, exec_lo, s29
	s_cbranch_execnz .LBB6_2617
.LBB6_963:                              ;   in Loop: Header=BB6_130 Depth=2
	s_or_b32 exec_lo, exec_lo, s29
	s_and_saveexec_b32 s29, s13
	s_cbranch_execz .LBB6_965
.LBB6_964:                              ;   in Loop: Header=BB6_130 Depth=2
	v_bfe_u32 v2, v33, 24, 2
	v_bfe_u32 v119, v33, 26, 5
	v_ffbh_u32_e32 v3, v2
	v_cmp_eq_u32_e32 vcc_lo, 0, v119
	v_min_u32_e32 v3, 32, v3
	v_subrev_nc_u32_e32 v30, 29, v3
	v_sub_nc_u32_e32 v3, 30, v3
	v_lshlrev_b32_sdwa v30, v30, v33 dst_sel:DWORD dst_unused:UNUSED_PAD src0_sel:DWORD src1_sel:BYTE_3
	v_cndmask_b32_e32 v3, v119, v3, vcc_lo
	v_and_b32_e32 v30, 3, v30
	v_lshl_add_u32 v3, v3, 23, 0x37800000
	v_cndmask_b32_e32 v2, v2, v30, vcc_lo
	v_and_b32_e32 v30, 0x80000000, v33
	v_lshlrev_b32_e32 v2, 21, v2
	v_or3_b32 v119, v30, v3, v2
.LBB6_965:                              ;   in Loop: Header=BB6_130 Depth=2
	s_or_b32 exec_lo, exec_lo, s29
	v_cmp_gt_i16_sdwa s29, v27, v57 src0_sel:BYTE_3 src1_sel:DWORD
	s_mov_b32 s13, 0
	s_and_saveexec_b32 s40, s29
	s_xor_b32 s29, exec_lo, s40
	s_cbranch_execz .LBB6_2618
; %bb.966:                              ;   in Loop: Header=BB6_130 Depth=2
	v_cmp_eq_u16_sdwa s41, v27, v58 src0_sel:BYTE_3 src1_sel:DWORD
	s_mov_b32 s13, -1
	s_and_saveexec_b32 s40, s41
; %bb.967:                              ;   in Loop: Header=BB6_130 Depth=2
	s_xor_b32 s13, exec_lo, -1
; %bb.968:                              ;   in Loop: Header=BB6_130 Depth=2
	s_or_b32 exec_lo, exec_lo, s40
	s_and_b32 s13, s13, exec_lo
	s_or_saveexec_b32 s29, s29
	v_mov_b32_e32 v2, 0x7f800001
	s_xor_b32 exec_lo, exec_lo, s29
	s_cbranch_execnz .LBB6_2619
.LBB6_969:                              ;   in Loop: Header=BB6_130 Depth=2
	s_or_b32 exec_lo, exec_lo, s29
	s_and_saveexec_b32 s29, s13
	s_cbranch_execz .LBB6_971
.LBB6_970:                              ;   in Loop: Header=BB6_130 Depth=2
	v_bfe_u32 v2, v27, 24, 2
	v_bfe_u32 v40, v27, 26, 5
	v_ffbh_u32_e32 v3, v2
	v_cmp_eq_u32_e32 vcc_lo, 0, v40
	v_min_u32_e32 v3, 32, v3
	v_subrev_nc_u32_e32 v30, 29, v3
	v_sub_nc_u32_e32 v3, 30, v3
	v_lshlrev_b32_sdwa v30, v30, v27 dst_sel:DWORD dst_unused:UNUSED_PAD src0_sel:DWORD src1_sel:BYTE_3
	v_cndmask_b32_e32 v3, v40, v3, vcc_lo
	v_and_b32_e32 v30, 3, v30
	v_lshl_add_u32 v3, v3, 23, 0x37800000
	v_cndmask_b32_e32 v2, v2, v30, vcc_lo
	v_and_b32_e32 v30, 0x80000000, v27
	v_lshlrev_b32_e32 v2, 21, v2
	v_or3_b32 v2, v30, v3, v2
.LBB6_971:                              ;   in Loop: Header=BB6_130 Depth=2
	s_or_b32 exec_lo, exec_lo, s29
	v_max_f32_e32 v2, v2, v2
	v_max_f32_e32 v3, v119, v119
	s_mov_b32 s13, 0
	v_max_f32_e32 v119, v3, v2
.LBB6_972:                              ;   in Loop: Header=BB6_130 Depth=2
	s_and_b32 vcc_lo, exec_lo, s13
	s_cbranch_vccz .LBB6_986
; %bb.973:                              ;   in Loop: Header=BB6_130 Depth=2
	v_cmp_gt_i16_sdwa s29, v33, v57 src0_sel:BYTE_3 src1_sel:DWORD
	s_mov_b32 s13, 0
	s_and_saveexec_b32 s40, s29
	s_xor_b32 s29, exec_lo, s40
	s_cbranch_execz .LBB6_2620
; %bb.974:                              ;   in Loop: Header=BB6_130 Depth=2
	v_cmp_eq_u16_sdwa s41, v33, v58 src0_sel:BYTE_3 src1_sel:DWORD
	s_mov_b32 s13, -1
	s_and_saveexec_b32 s40, s41
; %bb.975:                              ;   in Loop: Header=BB6_130 Depth=2
	s_xor_b32 s13, exec_lo, -1
; %bb.976:                              ;   in Loop: Header=BB6_130 Depth=2
	s_or_b32 exec_lo, exec_lo, s40
	s_and_b32 s13, s13, exec_lo
	s_or_saveexec_b32 s29, s29
	v_mov_b32_e32 v119, 0x7f800001
	s_xor_b32 exec_lo, exec_lo, s29
	s_cbranch_execnz .LBB6_2621
.LBB6_977:                              ;   in Loop: Header=BB6_130 Depth=2
	s_or_b32 exec_lo, exec_lo, s29
	s_and_saveexec_b32 s29, s13
	s_cbranch_execz .LBB6_979
.LBB6_978:                              ;   in Loop: Header=BB6_130 Depth=2
	v_bfe_u32 v2, v33, 24, 2
	v_bfe_u32 v119, v33, 26, 5
	v_ffbh_u32_e32 v3, v2
	v_cmp_eq_u32_e32 vcc_lo, 0, v119
	v_min_u32_e32 v3, 32, v3
	v_subrev_nc_u32_e32 v30, 29, v3
	v_sub_nc_u32_e32 v3, 30, v3
	v_lshlrev_b32_sdwa v30, v30, v33 dst_sel:DWORD dst_unused:UNUSED_PAD src0_sel:DWORD src1_sel:BYTE_3
	v_cndmask_b32_e32 v3, v119, v3, vcc_lo
	v_and_b32_e32 v30, 3, v30
	v_lshl_add_u32 v3, v3, 23, 0x37800000
	v_cndmask_b32_e32 v2, v2, v30, vcc_lo
	v_and_b32_e32 v30, 0x80000000, v33
	v_lshlrev_b32_e32 v2, 21, v2
	v_or3_b32 v119, v30, v3, v2
.LBB6_979:                              ;   in Loop: Header=BB6_130 Depth=2
	s_or_b32 exec_lo, exec_lo, s29
	v_cmp_gt_i16_sdwa s29, v27, v57 src0_sel:BYTE_3 src1_sel:DWORD
	s_mov_b32 s13, 0
	s_and_saveexec_b32 s40, s29
	s_xor_b32 s29, exec_lo, s40
	s_cbranch_execz .LBB6_2622
; %bb.980:                              ;   in Loop: Header=BB6_130 Depth=2
	v_cmp_eq_u16_sdwa s41, v27, v58 src0_sel:BYTE_3 src1_sel:DWORD
	s_mov_b32 s13, -1
	s_and_saveexec_b32 s40, s41
; %bb.981:                              ;   in Loop: Header=BB6_130 Depth=2
	s_xor_b32 s13, exec_lo, -1
; %bb.982:                              ;   in Loop: Header=BB6_130 Depth=2
	s_or_b32 exec_lo, exec_lo, s40
	s_and_b32 s13, s13, exec_lo
	s_or_saveexec_b32 s29, s29
	v_mov_b32_e32 v2, 0x7f800001
	s_xor_b32 exec_lo, exec_lo, s29
	s_cbranch_execnz .LBB6_2623
.LBB6_983:                              ;   in Loop: Header=BB6_130 Depth=2
	s_or_b32 exec_lo, exec_lo, s29
	s_and_saveexec_b32 s29, s13
	s_cbranch_execz .LBB6_985
.LBB6_984:                              ;   in Loop: Header=BB6_130 Depth=2
	v_bfe_u32 v2, v27, 24, 2
	v_bfe_u32 v33, v27, 26, 5
	v_ffbh_u32_e32 v3, v2
	v_cmp_eq_u32_e32 vcc_lo, 0, v33
	v_min_u32_e32 v3, 32, v3
	v_subrev_nc_u32_e32 v30, 29, v3
	v_sub_nc_u32_e32 v3, 30, v3
	v_lshlrev_b32_sdwa v30, v30, v27 dst_sel:DWORD dst_unused:UNUSED_PAD src0_sel:DWORD src1_sel:BYTE_3
	v_cndmask_b32_e32 v3, v33, v3, vcc_lo
	v_and_b32_e32 v27, 0x80000000, v27
	v_and_b32_e32 v30, 3, v30
	v_lshl_add_u32 v3, v3, 23, 0x37800000
	v_cndmask_b32_e32 v2, v2, v30, vcc_lo
	v_lshlrev_b32_e32 v2, 21, v2
	v_or3_b32 v2, v27, v3, v2
.LBB6_985:                              ;   in Loop: Header=BB6_130 Depth=2
	s_or_b32 exec_lo, exec_lo, s29
	v_max_f32_e32 v2, v2, v2
	v_max_f32_e32 v3, v119, v119
	v_min_f32_e32 v119, v3, v2
.LBB6_986:                              ;   in Loop: Header=BB6_130 Depth=2
	v_and_b32_e32 v2, 0x7f800000, v119
	v_mov_b32_e32 v27, 0x8000
	s_mov_b32 s29, exec_lo
	v_cmpx_ne_u32_e32 0x7f800000, v2
	s_cbranch_execz .LBB6_994
; %bb.987:                              ;   in Loop: Header=BB6_130 Depth=2
	v_mov_b32_e32 v27, 0
	s_mov_b32 s40, exec_lo
	v_cmpx_ne_u32_e32 0, v119
	s_cbranch_execz .LBB6_993
; %bb.988:                              ;   in Loop: Header=BB6_130 Depth=2
	v_bfe_u32 v2, v119, 23, 8
	v_and_b32_e32 v3, 0x7fffff, v119
	v_sub_nc_u32_e32 v27, 0x70, v2
	v_cmp_gt_u32_e32 vcc_lo, 0x71, v2
	v_or_b32_e32 v30, 0x800000, v3
	v_cndmask_b32_e32 v27, 0, v27, vcc_lo
	v_cmp_eq_u32_e32 vcc_lo, 0, v2
	v_add_nc_u32_e32 v2, 0xffffff91, v2
	v_cndmask_b32_e64 v27, v27, 0x6f, vcc_lo
	v_cndmask_b32_e32 v3, v30, v3, vcc_lo
	v_cndmask_b32_e64 v2, v2, 0xffffff92, vcc_lo
	v_lshl_add_u32 v30, 0x200000, v27, -1
	v_lshrrev_b32_e32 v33, v27, v3
	v_lshlrev_b32_e64 v42, v27, 0x100000
	v_and_b32_e32 v3, v30, v3
	v_bfe_u32 v40, v33, 21, 1
	v_cmp_eq_u32_e64 s13, v3, v42
	v_add_nc_u32_e32 v30, -1, v40
	v_lshrrev_b32_e32 v40, 23, v33
	v_cndmask_b32_e64 v3, 0, v30, s13
	s_mov_b32 s13, exec_lo
	v_add_nc_u32_e32 v30, v3, v33
	v_add_nc_u32_e32 v3, v27, v2
                                        ; implicit-def: $vgpr27
	v_and_b32_e32 v2, 0x1fffff, v30
	v_xor_b32_e32 v30, 1, v40
	v_add_nc_u32_e32 v2, v2, v33
	v_cmpx_ne_u32_e64 v3, v30
	s_xor_b32 s13, exec_lo, s13
; %bb.989:                              ;   in Loop: Header=BB6_130 Depth=2
	v_cmp_lt_u32_e32 vcc_lo, 0xffffff, v2
	v_sub_nc_u32_e32 v3, v3, v30
	v_cndmask_b32_e64 v30, 0, 1, vcc_lo
	v_add_co_ci_u32_e64 v27, null, 0, v3, vcc_lo
	v_lshrrev_b32_e32 v2, v30, v2
; %bb.990:                              ;   in Loop: Header=BB6_130 Depth=2
	s_andn2_saveexec_b32 s13, s13
; %bb.991:                              ;   in Loop: Header=BB6_130 Depth=2
	v_bfe_u32 v27, v2, 23, 1
; %bb.992:                              ;   in Loop: Header=BB6_130 Depth=2
	s_or_b32 exec_lo, exec_lo, s13
	v_lshrrev_b32_e32 v2, 21, v2
	v_min_i32_e32 v3, 31, v27
	v_cmp_gt_i32_e32 vcc_lo, 32, v27
	v_and_b32_sdwa v30, v119, v58 dst_sel:DWORD dst_unused:UNUSED_PAD src0_sel:BYTE_3 src1_sel:DWORD
	v_lshlrev_b32_e32 v3, 2, v3
	v_cndmask_b32_e32 v2, 3, v2, vcc_lo
	v_and_b32_e32 v3, 0xfc, v3
	v_and_b32_e32 v33, 3, v2
	v_or_b32_e32 v2, v27, v2
	v_or3_b32 v3, v30, v3, v33
	v_cmp_ne_u32_e32 vcc_lo, 0, v2
	v_lshlrev_b32_e32 v3, 8, v3
	v_cndmask_b32_e32 v27, 0, v3, vcc_lo
.LBB6_993:                              ;   in Loop: Header=BB6_130 Depth=2
	s_or_b32 exec_lo, exec_lo, s40
.LBB6_994:                              ;   in Loop: Header=BB6_130 Depth=2
	s_or_b32 exec_lo, exec_lo, s29
	v_cmp_gt_i16_sdwa s29, v34, v57 src0_sel:BYTE_0 src1_sel:DWORD
	s_andn2_b32 vcc_lo, exec_lo, s28
	s_mov_b32 s13, -1
                                        ; implicit-def: $vgpr119
	s_cbranch_vccnz .LBB6_1008
; %bb.995:                              ;   in Loop: Header=BB6_130 Depth=2
	s_mov_b32 s13, 0
	s_and_saveexec_b32 s40, s29
	s_xor_b32 s29, exec_lo, s40
	s_cbranch_execz .LBB6_2624
; %bb.996:                              ;   in Loop: Header=BB6_130 Depth=2
	v_cmp_eq_u16_sdwa s41, v34, v58 src0_sel:BYTE_0 src1_sel:DWORD
	s_mov_b32 s13, -1
	s_and_saveexec_b32 s40, s41
; %bb.997:                              ;   in Loop: Header=BB6_130 Depth=2
	s_xor_b32 s13, exec_lo, -1
; %bb.998:                              ;   in Loop: Header=BB6_130 Depth=2
	s_or_b32 exec_lo, exec_lo, s40
	s_and_b32 s13, s13, exec_lo
	s_or_saveexec_b32 s29, s29
	v_mov_b32_e32 v33, 0x7f800001
	s_xor_b32 exec_lo, exec_lo, s29
	s_cbranch_execnz .LBB6_2625
.LBB6_999:                              ;   in Loop: Header=BB6_130 Depth=2
	s_or_b32 exec_lo, exec_lo, s29
	s_and_saveexec_b32 s29, s13
	s_cbranch_execz .LBB6_1001
.LBB6_1000:                             ;   in Loop: Header=BB6_130 Depth=2
	v_and_b32_e32 v2, 3, v34
	v_bfe_u32 v33, v34, 2, 5
	v_lshlrev_b32_e32 v119, 24, v34
	v_ffbh_u32_e32 v3, v2
	v_cmp_eq_u32_e32 vcc_lo, 0, v33
	v_min_u32_e32 v3, 32, v3
	v_subrev_nc_u32_e32 v30, 29, v3
	v_sub_nc_u32_e32 v3, 30, v3
	v_lshlrev_b32_e32 v30, v30, v34
	v_cndmask_b32_e32 v3, v33, v3, vcc_lo
	v_and_b32_e32 v30, 3, v30
	v_lshl_add_u32 v3, v3, 23, 0x37800000
	v_cndmask_b32_e32 v2, v2, v30, vcc_lo
	v_and_b32_e32 v30, 0x80000000, v119
	v_lshlrev_b32_e32 v2, 21, v2
	v_or3_b32 v33, v30, v3, v2
.LBB6_1001:                             ;   in Loop: Header=BB6_130 Depth=2
	s_or_b32 exec_lo, exec_lo, s29
	v_cmp_gt_i16_sdwa s29, v28, v57 src0_sel:BYTE_0 src1_sel:DWORD
	s_mov_b32 s13, 0
	s_and_saveexec_b32 s40, s29
	s_xor_b32 s29, exec_lo, s40
	s_cbranch_execz .LBB6_2626
; %bb.1002:                             ;   in Loop: Header=BB6_130 Depth=2
	v_cmp_eq_u16_sdwa s41, v28, v58 src0_sel:BYTE_0 src1_sel:DWORD
	s_mov_b32 s13, -1
	s_and_saveexec_b32 s40, s41
; %bb.1003:                             ;   in Loop: Header=BB6_130 Depth=2
	s_xor_b32 s13, exec_lo, -1
; %bb.1004:                             ;   in Loop: Header=BB6_130 Depth=2
	s_or_b32 exec_lo, exec_lo, s40
	s_and_b32 s13, s13, exec_lo
	s_or_saveexec_b32 s29, s29
	v_mov_b32_e32 v2, 0x7f800001
	s_xor_b32 exec_lo, exec_lo, s29
	s_cbranch_execnz .LBB6_2627
.LBB6_1005:                             ;   in Loop: Header=BB6_130 Depth=2
	s_or_b32 exec_lo, exec_lo, s29
	s_and_saveexec_b32 s29, s13
	s_cbranch_execz .LBB6_1007
.LBB6_1006:                             ;   in Loop: Header=BB6_130 Depth=2
	v_and_b32_e32 v2, 3, v28
	v_bfe_u32 v119, v28, 2, 5
	v_lshlrev_b32_e32 v40, 24, v28
	v_ffbh_u32_e32 v3, v2
	v_cmp_eq_u32_e32 vcc_lo, 0, v119
	v_min_u32_e32 v3, 32, v3
	v_subrev_nc_u32_e32 v30, 29, v3
	v_sub_nc_u32_e32 v3, 30, v3
	v_lshlrev_b32_e32 v30, v30, v28
	v_cndmask_b32_e32 v3, v119, v3, vcc_lo
	v_and_b32_e32 v30, 3, v30
	v_lshl_add_u32 v3, v3, 23, 0x37800000
	v_cndmask_b32_e32 v2, v2, v30, vcc_lo
	v_and_b32_e32 v30, 0x80000000, v40
	v_lshlrev_b32_e32 v2, 21, v2
	v_or3_b32 v2, v30, v3, v2
.LBB6_1007:                             ;   in Loop: Header=BB6_130 Depth=2
	s_or_b32 exec_lo, exec_lo, s29
	v_max_f32_e32 v2, v2, v2
	v_max_f32_e32 v3, v33, v33
	s_mov_b32 s13, 0
	v_max_f32_e32 v119, v3, v2
.LBB6_1008:                             ;   in Loop: Header=BB6_130 Depth=2
	s_and_b32 vcc_lo, exec_lo, s13
	s_cbranch_vccz .LBB6_1022
; %bb.1009:                             ;   in Loop: Header=BB6_130 Depth=2
	v_cmp_gt_i16_sdwa s29, v34, v57 src0_sel:BYTE_0 src1_sel:DWORD
	s_mov_b32 s13, 0
	s_and_saveexec_b32 s40, s29
	s_xor_b32 s29, exec_lo, s40
	s_cbranch_execz .LBB6_2628
; %bb.1010:                             ;   in Loop: Header=BB6_130 Depth=2
	v_cmp_eq_u16_sdwa s41, v34, v58 src0_sel:BYTE_0 src1_sel:DWORD
	s_mov_b32 s13, -1
	s_and_saveexec_b32 s40, s41
; %bb.1011:                             ;   in Loop: Header=BB6_130 Depth=2
	s_xor_b32 s13, exec_lo, -1
; %bb.1012:                             ;   in Loop: Header=BB6_130 Depth=2
	s_or_b32 exec_lo, exec_lo, s40
	s_and_b32 s13, s13, exec_lo
	s_or_saveexec_b32 s29, s29
	v_mov_b32_e32 v33, 0x7f800001
	s_xor_b32 exec_lo, exec_lo, s29
	s_cbranch_execnz .LBB6_2629
.LBB6_1013:                             ;   in Loop: Header=BB6_130 Depth=2
	s_or_b32 exec_lo, exec_lo, s29
	s_and_saveexec_b32 s29, s13
	s_cbranch_execz .LBB6_1015
.LBB6_1014:                             ;   in Loop: Header=BB6_130 Depth=2
	v_and_b32_e32 v2, 3, v34
	v_bfe_u32 v33, v34, 2, 5
	v_lshlrev_b32_e32 v119, 24, v34
	v_ffbh_u32_e32 v3, v2
	v_cmp_eq_u32_e32 vcc_lo, 0, v33
	v_min_u32_e32 v3, 32, v3
	v_subrev_nc_u32_e32 v30, 29, v3
	v_sub_nc_u32_e32 v3, 30, v3
	v_lshlrev_b32_e32 v30, v30, v34
	v_cndmask_b32_e32 v3, v33, v3, vcc_lo
	v_and_b32_e32 v30, 3, v30
	v_lshl_add_u32 v3, v3, 23, 0x37800000
	v_cndmask_b32_e32 v2, v2, v30, vcc_lo
	v_and_b32_e32 v30, 0x80000000, v119
	v_lshlrev_b32_e32 v2, 21, v2
	v_or3_b32 v33, v30, v3, v2
.LBB6_1015:                             ;   in Loop: Header=BB6_130 Depth=2
	s_or_b32 exec_lo, exec_lo, s29
	v_cmp_gt_i16_sdwa s29, v28, v57 src0_sel:BYTE_0 src1_sel:DWORD
	s_mov_b32 s13, 0
	s_and_saveexec_b32 s40, s29
	s_xor_b32 s29, exec_lo, s40
	s_cbranch_execz .LBB6_2630
; %bb.1016:                             ;   in Loop: Header=BB6_130 Depth=2
	v_cmp_eq_u16_sdwa s41, v28, v58 src0_sel:BYTE_0 src1_sel:DWORD
	s_mov_b32 s13, -1
	s_and_saveexec_b32 s40, s41
; %bb.1017:                             ;   in Loop: Header=BB6_130 Depth=2
	s_xor_b32 s13, exec_lo, -1
; %bb.1018:                             ;   in Loop: Header=BB6_130 Depth=2
	s_or_b32 exec_lo, exec_lo, s40
	s_and_b32 s13, s13, exec_lo
	s_or_saveexec_b32 s29, s29
	v_mov_b32_e32 v2, 0x7f800001
	s_xor_b32 exec_lo, exec_lo, s29
	s_cbranch_execnz .LBB6_2631
.LBB6_1019:                             ;   in Loop: Header=BB6_130 Depth=2
	s_or_b32 exec_lo, exec_lo, s29
	s_and_saveexec_b32 s29, s13
	s_cbranch_execz .LBB6_1021
.LBB6_1020:                             ;   in Loop: Header=BB6_130 Depth=2
	v_and_b32_e32 v2, 3, v28
	v_bfe_u32 v119, v28, 2, 5
	v_lshlrev_b32_e32 v40, 24, v28
	v_ffbh_u32_e32 v3, v2
	v_cmp_eq_u32_e32 vcc_lo, 0, v119
	v_min_u32_e32 v3, 32, v3
	v_subrev_nc_u32_e32 v30, 29, v3
	v_sub_nc_u32_e32 v3, 30, v3
	v_lshlrev_b32_e32 v30, v30, v28
	v_cndmask_b32_e32 v3, v119, v3, vcc_lo
	v_and_b32_e32 v30, 3, v30
	v_lshl_add_u32 v3, v3, 23, 0x37800000
	v_cndmask_b32_e32 v2, v2, v30, vcc_lo
	v_and_b32_e32 v30, 0x80000000, v40
	v_lshlrev_b32_e32 v2, 21, v2
	v_or3_b32 v2, v30, v3, v2
.LBB6_1021:                             ;   in Loop: Header=BB6_130 Depth=2
	s_or_b32 exec_lo, exec_lo, s29
	v_max_f32_e32 v2, v2, v2
	v_max_f32_e32 v3, v33, v33
	v_min_f32_e32 v119, v3, v2
.LBB6_1022:                             ;   in Loop: Header=BB6_130 Depth=2
	v_and_b32_e32 v2, 0x7f800000, v119
	v_mov_b32_e32 v33, 0x80
	s_mov_b32 s29, exec_lo
	v_cmpx_ne_u32_e32 0x7f800000, v2
	s_cbranch_execz .LBB6_1030
; %bb.1023:                             ;   in Loop: Header=BB6_130 Depth=2
	v_mov_b32_e32 v33, 0
	s_mov_b32 s40, exec_lo
	v_cmpx_ne_u32_e32 0, v119
	s_cbranch_execz .LBB6_1029
; %bb.1024:                             ;   in Loop: Header=BB6_130 Depth=2
	v_bfe_u32 v2, v119, 23, 8
	v_and_b32_e32 v3, 0x7fffff, v119
	v_sub_nc_u32_e32 v30, 0x70, v2
	v_cmp_gt_u32_e32 vcc_lo, 0x71, v2
	v_or_b32_e32 v33, 0x800000, v3
	v_cndmask_b32_e32 v30, 0, v30, vcc_lo
	v_cmp_eq_u32_e32 vcc_lo, 0, v2
	v_add_nc_u32_e32 v2, 0xffffff91, v2
	v_cndmask_b32_e64 v30, v30, 0x6f, vcc_lo
	v_cndmask_b32_e32 v3, v33, v3, vcc_lo
	v_cndmask_b32_e64 v2, v2, 0xffffff92, vcc_lo
	v_lshl_add_u32 v33, 0x200000, v30, -1
	v_lshrrev_b32_e32 v40, v30, v3
	v_lshlrev_b32_e64 v92, v30, 0x100000
	v_and_b32_e32 v3, v33, v3
	v_bfe_u32 v42, v40, 21, 1
	v_cmp_eq_u32_e64 s13, v3, v92
	v_add_nc_u32_e32 v33, -1, v42
	v_lshrrev_b32_e32 v42, 23, v40
	v_cndmask_b32_e64 v3, 0, v33, s13
	s_mov_b32 s13, exec_lo
	v_add_nc_u32_e32 v33, v3, v40
	v_add_nc_u32_e32 v3, v30, v2
                                        ; implicit-def: $vgpr30
	v_and_b32_e32 v2, 0x1fffff, v33
	v_xor_b32_e32 v33, 1, v42
	v_add_nc_u32_e32 v2, v2, v40
	v_cmpx_ne_u32_e64 v3, v33
	s_xor_b32 s13, exec_lo, s13
; %bb.1025:                             ;   in Loop: Header=BB6_130 Depth=2
	v_cmp_lt_u32_e32 vcc_lo, 0xffffff, v2
	v_sub_nc_u32_e32 v3, v3, v33
	v_cndmask_b32_e64 v33, 0, 1, vcc_lo
	v_add_co_ci_u32_e64 v30, null, 0, v3, vcc_lo
	v_lshrrev_b32_e32 v2, v33, v2
; %bb.1026:                             ;   in Loop: Header=BB6_130 Depth=2
	s_andn2_saveexec_b32 s13, s13
; %bb.1027:                             ;   in Loop: Header=BB6_130 Depth=2
	v_bfe_u32 v30, v2, 23, 1
; %bb.1028:                             ;   in Loop: Header=BB6_130 Depth=2
	s_or_b32 exec_lo, exec_lo, s13
	v_lshrrev_b32_e32 v2, 21, v2
	v_min_i32_e32 v3, 31, v30
	v_cmp_gt_i32_e32 vcc_lo, 32, v30
	v_and_b32_sdwa v33, v119, v58 dst_sel:DWORD dst_unused:UNUSED_PAD src0_sel:BYTE_3 src1_sel:DWORD
	v_lshlrev_b32_e32 v3, 2, v3
	v_cndmask_b32_e32 v2, 3, v2, vcc_lo
	v_and_b32_e32 v3, 0xfc, v3
	v_and_b32_e32 v119, 3, v2
	v_or_b32_e32 v2, v30, v2
	v_or3_b32 v3, v3, v33, v119
	v_cmp_ne_u32_e32 vcc_lo, 0, v2
	v_cndmask_b32_e32 v33, 0, v3, vcc_lo
.LBB6_1029:                             ;   in Loop: Header=BB6_130 Depth=2
	s_or_b32 exec_lo, exec_lo, s40
.LBB6_1030:                             ;   in Loop: Header=BB6_130 Depth=2
	s_or_b32 exec_lo, exec_lo, s29
	v_cmp_gt_i16_sdwa s29, v34, v57 src0_sel:BYTE_1 src1_sel:DWORD
	s_andn2_b32 vcc_lo, exec_lo, s28
	s_mov_b32 s13, -1
                                        ; implicit-def: $vgpr119
	s_cbranch_vccnz .LBB6_1044
; %bb.1031:                             ;   in Loop: Header=BB6_130 Depth=2
	s_mov_b32 s13, 0
	s_and_saveexec_b32 s40, s29
	s_xor_b32 s29, exec_lo, s40
	s_cbranch_execz .LBB6_2632
; %bb.1032:                             ;   in Loop: Header=BB6_130 Depth=2
	v_cmp_eq_u16_sdwa s41, v34, v58 src0_sel:BYTE_1 src1_sel:DWORD
	s_mov_b32 s13, -1
	s_and_saveexec_b32 s40, s41
; %bb.1033:                             ;   in Loop: Header=BB6_130 Depth=2
	s_xor_b32 s13, exec_lo, -1
; %bb.1034:                             ;   in Loop: Header=BB6_130 Depth=2
	s_or_b32 exec_lo, exec_lo, s40
	s_and_b32 s13, s13, exec_lo
	s_or_saveexec_b32 s29, s29
	v_mov_b32_e32 v119, 0x7f800001
	s_xor_b32 exec_lo, exec_lo, s29
	s_cbranch_execnz .LBB6_2633
.LBB6_1035:                             ;   in Loop: Header=BB6_130 Depth=2
	s_or_b32 exec_lo, exec_lo, s29
	s_and_saveexec_b32 s29, s13
	s_cbranch_execz .LBB6_1037
.LBB6_1036:                             ;   in Loop: Header=BB6_130 Depth=2
	v_and_b32_sdwa v2, v59, v34 dst_sel:DWORD dst_unused:UNUSED_PAD src0_sel:DWORD src1_sel:BYTE_1
	v_and_b32_e32 v3, 3, v2
	v_bfe_u32 v40, v2, 2, 5
	v_ffbh_u32_e32 v30, v3
	v_cmp_eq_u32_e32 vcc_lo, 0, v40
	v_min_u32_e32 v30, 32, v30
	v_subrev_nc_u32_e32 v119, 29, v30
	v_sub_nc_u32_e32 v30, 30, v30
	v_lshlrev_b32_e32 v2, v119, v2
	v_lshlrev_b32_e32 v119, 16, v34
	v_cndmask_b32_e32 v30, v40, v30, vcc_lo
	v_and_b32_e32 v2, 3, v2
	v_lshl_add_u32 v30, v30, 23, 0x37800000
	v_cndmask_b32_e32 v2, v3, v2, vcc_lo
	v_and_b32_e32 v3, 0x80000000, v119
	v_lshlrev_b32_e32 v2, 21, v2
	v_or3_b32 v119, v3, v30, v2
.LBB6_1037:                             ;   in Loop: Header=BB6_130 Depth=2
	s_or_b32 exec_lo, exec_lo, s29
	v_cmp_gt_i16_sdwa s29, v28, v57 src0_sel:BYTE_1 src1_sel:DWORD
	s_mov_b32 s13, 0
	s_and_saveexec_b32 s40, s29
	s_xor_b32 s29, exec_lo, s40
	s_cbranch_execz .LBB6_2634
; %bb.1038:                             ;   in Loop: Header=BB6_130 Depth=2
	v_cmp_eq_u16_sdwa s41, v28, v58 src0_sel:BYTE_1 src1_sel:DWORD
	s_mov_b32 s13, -1
	s_and_saveexec_b32 s40, s41
; %bb.1039:                             ;   in Loop: Header=BB6_130 Depth=2
	s_xor_b32 s13, exec_lo, -1
; %bb.1040:                             ;   in Loop: Header=BB6_130 Depth=2
	s_or_b32 exec_lo, exec_lo, s40
	s_and_b32 s13, s13, exec_lo
	s_or_saveexec_b32 s29, s29
	v_mov_b32_e32 v2, 0x7f800001
	s_xor_b32 exec_lo, exec_lo, s29
	s_cbranch_execnz .LBB6_2635
.LBB6_1041:                             ;   in Loop: Header=BB6_130 Depth=2
	s_or_b32 exec_lo, exec_lo, s29
	s_and_saveexec_b32 s29, s13
	s_cbranch_execz .LBB6_1043
.LBB6_1042:                             ;   in Loop: Header=BB6_130 Depth=2
	v_and_b32_sdwa v2, v59, v28 dst_sel:DWORD dst_unused:UNUSED_PAD src0_sel:DWORD src1_sel:BYTE_1
	v_and_b32_e32 v3, 3, v2
	v_bfe_u32 v42, v2, 2, 5
	v_ffbh_u32_e32 v30, v3
	v_cmp_eq_u32_e32 vcc_lo, 0, v42
	v_min_u32_e32 v30, 32, v30
	v_subrev_nc_u32_e32 v40, 29, v30
	v_sub_nc_u32_e32 v30, 30, v30
	v_lshlrev_b32_e32 v2, v40, v2
	v_lshlrev_b32_e32 v40, 16, v28
	v_cndmask_b32_e32 v30, v42, v30, vcc_lo
	v_and_b32_e32 v2, 3, v2
	v_lshl_add_u32 v30, v30, 23, 0x37800000
	v_cndmask_b32_e32 v2, v3, v2, vcc_lo
	v_and_b32_e32 v3, 0x80000000, v40
	v_lshlrev_b32_e32 v2, 21, v2
	v_or3_b32 v2, v3, v30, v2
.LBB6_1043:                             ;   in Loop: Header=BB6_130 Depth=2
	s_or_b32 exec_lo, exec_lo, s29
	v_max_f32_e32 v2, v2, v2
	v_max_f32_e32 v3, v119, v119
	s_mov_b32 s13, 0
	v_max_f32_e32 v119, v3, v2
.LBB6_1044:                             ;   in Loop: Header=BB6_130 Depth=2
	s_and_b32 vcc_lo, exec_lo, s13
	s_cbranch_vccz .LBB6_1058
; %bb.1045:                             ;   in Loop: Header=BB6_130 Depth=2
	v_cmp_gt_i16_sdwa s29, v34, v57 src0_sel:BYTE_1 src1_sel:DWORD
	s_mov_b32 s13, 0
	s_and_saveexec_b32 s40, s29
	s_xor_b32 s29, exec_lo, s40
	s_cbranch_execz .LBB6_2636
; %bb.1046:                             ;   in Loop: Header=BB6_130 Depth=2
	v_cmp_eq_u16_sdwa s41, v34, v58 src0_sel:BYTE_1 src1_sel:DWORD
	s_mov_b32 s13, -1
	s_and_saveexec_b32 s40, s41
; %bb.1047:                             ;   in Loop: Header=BB6_130 Depth=2
	s_xor_b32 s13, exec_lo, -1
; %bb.1048:                             ;   in Loop: Header=BB6_130 Depth=2
	s_or_b32 exec_lo, exec_lo, s40
	s_and_b32 s13, s13, exec_lo
	s_or_saveexec_b32 s29, s29
	v_mov_b32_e32 v119, 0x7f800001
	s_xor_b32 exec_lo, exec_lo, s29
	s_cbranch_execnz .LBB6_2637
.LBB6_1049:                             ;   in Loop: Header=BB6_130 Depth=2
	s_or_b32 exec_lo, exec_lo, s29
	s_and_saveexec_b32 s29, s13
	s_cbranch_execz .LBB6_1051
.LBB6_1050:                             ;   in Loop: Header=BB6_130 Depth=2
	v_and_b32_sdwa v2, v59, v34 dst_sel:DWORD dst_unused:UNUSED_PAD src0_sel:DWORD src1_sel:BYTE_1
	v_and_b32_e32 v3, 3, v2
	v_bfe_u32 v40, v2, 2, 5
	v_ffbh_u32_e32 v30, v3
	v_cmp_eq_u32_e32 vcc_lo, 0, v40
	v_min_u32_e32 v30, 32, v30
	v_subrev_nc_u32_e32 v119, 29, v30
	v_sub_nc_u32_e32 v30, 30, v30
	v_lshlrev_b32_e32 v2, v119, v2
	v_lshlrev_b32_e32 v119, 16, v34
	v_cndmask_b32_e32 v30, v40, v30, vcc_lo
	v_and_b32_e32 v2, 3, v2
	v_lshl_add_u32 v30, v30, 23, 0x37800000
	v_cndmask_b32_e32 v2, v3, v2, vcc_lo
	v_and_b32_e32 v3, 0x80000000, v119
	v_lshlrev_b32_e32 v2, 21, v2
	v_or3_b32 v119, v3, v30, v2
.LBB6_1051:                             ;   in Loop: Header=BB6_130 Depth=2
	s_or_b32 exec_lo, exec_lo, s29
	v_cmp_gt_i16_sdwa s29, v28, v57 src0_sel:BYTE_1 src1_sel:DWORD
	s_mov_b32 s13, 0
	s_and_saveexec_b32 s40, s29
	s_xor_b32 s29, exec_lo, s40
	s_cbranch_execz .LBB6_2638
; %bb.1052:                             ;   in Loop: Header=BB6_130 Depth=2
	v_cmp_eq_u16_sdwa s41, v28, v58 src0_sel:BYTE_1 src1_sel:DWORD
	s_mov_b32 s13, -1
	s_and_saveexec_b32 s40, s41
; %bb.1053:                             ;   in Loop: Header=BB6_130 Depth=2
	s_xor_b32 s13, exec_lo, -1
; %bb.1054:                             ;   in Loop: Header=BB6_130 Depth=2
	s_or_b32 exec_lo, exec_lo, s40
	s_and_b32 s13, s13, exec_lo
	s_or_saveexec_b32 s29, s29
	v_mov_b32_e32 v2, 0x7f800001
	s_xor_b32 exec_lo, exec_lo, s29
	s_cbranch_execnz .LBB6_2639
.LBB6_1055:                             ;   in Loop: Header=BB6_130 Depth=2
	s_or_b32 exec_lo, exec_lo, s29
	s_and_saveexec_b32 s29, s13
	s_cbranch_execz .LBB6_1057
.LBB6_1056:                             ;   in Loop: Header=BB6_130 Depth=2
	v_and_b32_sdwa v2, v59, v28 dst_sel:DWORD dst_unused:UNUSED_PAD src0_sel:DWORD src1_sel:BYTE_1
	v_and_b32_e32 v3, 3, v2
	v_bfe_u32 v42, v2, 2, 5
	v_ffbh_u32_e32 v30, v3
	v_cmp_eq_u32_e32 vcc_lo, 0, v42
	v_min_u32_e32 v30, 32, v30
	v_subrev_nc_u32_e32 v40, 29, v30
	v_sub_nc_u32_e32 v30, 30, v30
	v_lshlrev_b32_e32 v2, v40, v2
	v_lshlrev_b32_e32 v40, 16, v28
	v_cndmask_b32_e32 v30, v42, v30, vcc_lo
	v_and_b32_e32 v2, 3, v2
	v_lshl_add_u32 v30, v30, 23, 0x37800000
	v_cndmask_b32_e32 v2, v3, v2, vcc_lo
	v_and_b32_e32 v3, 0x80000000, v40
	v_lshlrev_b32_e32 v2, 21, v2
	v_or3_b32 v2, v3, v30, v2
.LBB6_1057:                             ;   in Loop: Header=BB6_130 Depth=2
	s_or_b32 exec_lo, exec_lo, s29
	v_max_f32_e32 v2, v2, v2
	v_max_f32_e32 v3, v119, v119
	v_min_f32_e32 v119, v3, v2
.LBB6_1058:                             ;   in Loop: Header=BB6_130 Depth=2
	v_and_b32_e32 v2, 0x7f800000, v119
	v_mov_b32_e32 v92, 0x8000
	s_mov_b32 s29, exec_lo
	v_cmpx_ne_u32_e32 0x7f800000, v2
	s_cbranch_execz .LBB6_1066
; %bb.1059:                             ;   in Loop: Header=BB6_130 Depth=2
	v_mov_b32_e32 v92, 0
	s_mov_b32 s40, exec_lo
	v_cmpx_ne_u32_e32 0, v119
	s_cbranch_execz .LBB6_1065
; %bb.1060:                             ;   in Loop: Header=BB6_130 Depth=2
	v_bfe_u32 v2, v119, 23, 8
	v_and_b32_e32 v3, 0x7fffff, v119
	v_sub_nc_u32_e32 v30, 0x70, v2
	v_cmp_gt_u32_e32 vcc_lo, 0x71, v2
	v_or_b32_e32 v40, 0x800000, v3
	v_cndmask_b32_e32 v30, 0, v30, vcc_lo
	v_cmp_eq_u32_e32 vcc_lo, 0, v2
	v_add_nc_u32_e32 v2, 0xffffff91, v2
	v_cndmask_b32_e64 v30, v30, 0x6f, vcc_lo
	v_cndmask_b32_e32 v3, v40, v3, vcc_lo
	v_cndmask_b32_e64 v2, v2, 0xffffff92, vcc_lo
	v_lshl_add_u32 v40, 0x200000, v30, -1
	v_lshrrev_b32_e32 v42, v30, v3
	v_lshlrev_b32_e64 v93, v30, 0x100000
	v_and_b32_e32 v3, v40, v3
	v_bfe_u32 v92, v42, 21, 1
	v_cmp_eq_u32_e64 s13, v3, v93
	v_add_nc_u32_e32 v40, -1, v92
	v_lshrrev_b32_e32 v92, 23, v42
	v_cndmask_b32_e64 v3, 0, v40, s13
	s_mov_b32 s13, exec_lo
	v_add_nc_u32_e32 v40, v3, v42
	v_add_nc_u32_e32 v3, v30, v2
                                        ; implicit-def: $vgpr30
	v_and_b32_e32 v2, 0x1fffff, v40
	v_xor_b32_e32 v40, 1, v92
	v_add_nc_u32_e32 v2, v2, v42
	v_cmpx_ne_u32_e64 v3, v40
	s_xor_b32 s13, exec_lo, s13
; %bb.1061:                             ;   in Loop: Header=BB6_130 Depth=2
	v_cmp_lt_u32_e32 vcc_lo, 0xffffff, v2
	v_sub_nc_u32_e32 v3, v3, v40
	v_cndmask_b32_e64 v40, 0, 1, vcc_lo
	v_add_co_ci_u32_e64 v30, null, 0, v3, vcc_lo
	v_lshrrev_b32_e32 v2, v40, v2
; %bb.1062:                             ;   in Loop: Header=BB6_130 Depth=2
	s_andn2_saveexec_b32 s13, s13
; %bb.1063:                             ;   in Loop: Header=BB6_130 Depth=2
	v_bfe_u32 v30, v2, 23, 1
; %bb.1064:                             ;   in Loop: Header=BB6_130 Depth=2
	s_or_b32 exec_lo, exec_lo, s13
	v_lshrrev_b32_e32 v2, 21, v2
	v_min_i32_e32 v3, 31, v30
	v_cmp_gt_i32_e32 vcc_lo, 32, v30
	v_and_b32_sdwa v119, v119, v58 dst_sel:DWORD dst_unused:UNUSED_PAD src0_sel:BYTE_3 src1_sel:DWORD
	v_lshlrev_b32_e32 v3, 2, v3
	v_cndmask_b32_e32 v2, 3, v2, vcc_lo
	v_and_b32_e32 v3, 0xfc, v3
	v_and_b32_e32 v40, 3, v2
	v_or_b32_e32 v2, v30, v2
	v_or3_b32 v3, v119, v3, v40
	v_cmp_ne_u32_e32 vcc_lo, 0, v2
	v_lshlrev_b32_e32 v3, 8, v3
	v_cndmask_b32_e32 v92, 0, v3, vcc_lo
.LBB6_1065:                             ;   in Loop: Header=BB6_130 Depth=2
	s_or_b32 exec_lo, exec_lo, s40
.LBB6_1066:                             ;   in Loop: Header=BB6_130 Depth=2
	s_or_b32 exec_lo, exec_lo, s29
	v_and_b32_sdwa v119, v34, v60 dst_sel:DWORD dst_unused:UNUSED_PAD src0_sel:WORD_1 src1_sel:DWORD
	s_andn2_b32 vcc_lo, exec_lo, s28
	s_mov_b32 s29, -1
                                        ; implicit-def: $vgpr40
	v_cmp_lt_i16_e64 s13, 0x7f, v119
	s_cbranch_vccnz .LBB6_1080
; %bb.1067:                             ;   in Loop: Header=BB6_130 Depth=2
	s_mov_b32 s29, 0
	s_and_saveexec_b32 s40, s13
	s_xor_b32 s13, exec_lo, s40
	s_cbranch_execz .LBB6_2640
; %bb.1068:                             ;   in Loop: Header=BB6_130 Depth=2
	s_mov_b32 s29, -1
	s_mov_b32 s40, exec_lo
	v_cmpx_eq_u16_e32 0x80, v119
; %bb.1069:                             ;   in Loop: Header=BB6_130 Depth=2
	s_xor_b32 s29, exec_lo, -1
; %bb.1070:                             ;   in Loop: Header=BB6_130 Depth=2
	s_or_b32 exec_lo, exec_lo, s40
	s_and_b32 s29, s29, exec_lo
	s_or_saveexec_b32 s13, s13
	v_mov_b32_e32 v40, 0x7f800001
	s_xor_b32 exec_lo, exec_lo, s13
	s_cbranch_execnz .LBB6_2641
.LBB6_1071:                             ;   in Loop: Header=BB6_130 Depth=2
	s_or_b32 exec_lo, exec_lo, s13
	s_and_saveexec_b32 s13, s29
	s_cbranch_execz .LBB6_1073
.LBB6_1072:                             ;   in Loop: Header=BB6_130 Depth=2
	v_bfe_u32 v2, v34, 16, 2
	v_bfe_u32 v40, v34, 18, 5
	v_lshlrev_b32_sdwa v42, v61, v34 dst_sel:DWORD dst_unused:UNUSED_PAD src0_sel:DWORD src1_sel:WORD_1
	v_ffbh_u32_e32 v3, v2
	v_cmp_eq_u32_e32 vcc_lo, 0, v40
	v_min_u32_e32 v3, 32, v3
	v_subrev_nc_u32_e32 v30, 29, v3
	v_sub_nc_u32_e32 v3, 30, v3
	v_lshlrev_b32_sdwa v30, v30, v34 dst_sel:DWORD dst_unused:UNUSED_PAD src0_sel:DWORD src1_sel:WORD_1
	v_cndmask_b32_e32 v3, v40, v3, vcc_lo
	v_and_b32_e32 v30, 3, v30
	v_lshl_add_u32 v3, v3, 23, 0x37800000
	v_cndmask_b32_e32 v2, v2, v30, vcc_lo
	v_and_b32_e32 v30, 0x80000000, v42
	v_lshlrev_b32_e32 v2, 21, v2
	v_or3_b32 v40, v30, v3, v2
.LBB6_1073:                             ;   in Loop: Header=BB6_130 Depth=2
	s_or_b32 exec_lo, exec_lo, s13
	v_and_b32_sdwa v3, v28, v60 dst_sel:DWORD dst_unused:UNUSED_PAD src0_sel:WORD_1 src1_sel:DWORD
	s_mov_b32 s13, 0
	s_mov_b32 s29, exec_lo
	v_cmpx_lt_i16_e32 0x7f, v3
	s_xor_b32 s29, exec_lo, s29
	s_cbranch_execz .LBB6_2642
; %bb.1074:                             ;   in Loop: Header=BB6_130 Depth=2
	s_mov_b32 s13, -1
	s_mov_b32 s40, exec_lo
	v_cmpx_eq_u16_e32 0x80, v3
; %bb.1075:                             ;   in Loop: Header=BB6_130 Depth=2
	s_xor_b32 s13, exec_lo, -1
; %bb.1076:                             ;   in Loop: Header=BB6_130 Depth=2
	s_or_b32 exec_lo, exec_lo, s40
	s_and_b32 s13, s13, exec_lo
                                        ; implicit-def: $vgpr3
	s_or_saveexec_b32 s29, s29
	v_mov_b32_e32 v2, 0x7f800001
	s_xor_b32 exec_lo, exec_lo, s29
	s_cbranch_execnz .LBB6_2643
.LBB6_1077:                             ;   in Loop: Header=BB6_130 Depth=2
	s_or_b32 exec_lo, exec_lo, s29
	s_and_saveexec_b32 s29, s13
	s_cbranch_execz .LBB6_1079
.LBB6_1078:                             ;   in Loop: Header=BB6_130 Depth=2
	v_bfe_u32 v2, v28, 16, 2
	v_bfe_u32 v42, v28, 18, 5
	v_lshlrev_b32_sdwa v93, v61, v28 dst_sel:DWORD dst_unused:UNUSED_PAD src0_sel:DWORD src1_sel:WORD_1
	v_ffbh_u32_e32 v3, v2
	v_cmp_eq_u32_e32 vcc_lo, 0, v42
	v_min_u32_e32 v3, 32, v3
	v_subrev_nc_u32_e32 v30, 29, v3
	v_sub_nc_u32_e32 v3, 30, v3
	v_lshlrev_b32_sdwa v30, v30, v28 dst_sel:DWORD dst_unused:UNUSED_PAD src0_sel:DWORD src1_sel:WORD_1
	v_cndmask_b32_e32 v3, v42, v3, vcc_lo
	v_and_b32_e32 v30, 3, v30
	v_lshl_add_u32 v3, v3, 23, 0x37800000
	v_cndmask_b32_e32 v2, v2, v30, vcc_lo
	v_and_b32_e32 v30, 0x80000000, v93
	v_lshlrev_b32_e32 v2, 21, v2
	v_or3_b32 v2, v30, v3, v2
.LBB6_1079:                             ;   in Loop: Header=BB6_130 Depth=2
	s_or_b32 exec_lo, exec_lo, s29
	v_max_f32_e32 v2, v2, v2
	v_max_f32_e32 v3, v40, v40
	s_mov_b32 s29, 0
	v_max_f32_e32 v40, v3, v2
.LBB6_1080:                             ;   in Loop: Header=BB6_130 Depth=2
	s_and_b32 vcc_lo, exec_lo, s29
	s_cbranch_vccz .LBB6_1094
; %bb.1081:                             ;   in Loop: Header=BB6_130 Depth=2
	s_mov_b32 s13, 0
	s_mov_b32 s29, exec_lo
	v_cmpx_lt_i16_e32 0x7f, v119
	s_xor_b32 s29, exec_lo, s29
	s_cbranch_execz .LBB6_2644
; %bb.1082:                             ;   in Loop: Header=BB6_130 Depth=2
	s_mov_b32 s13, -1
	s_mov_b32 s40, exec_lo
	v_cmpx_eq_u16_e32 0x80, v119
; %bb.1083:                             ;   in Loop: Header=BB6_130 Depth=2
	s_xor_b32 s13, exec_lo, -1
; %bb.1084:                             ;   in Loop: Header=BB6_130 Depth=2
	s_or_b32 exec_lo, exec_lo, s40
	s_and_b32 s13, s13, exec_lo
                                        ; implicit-def: $vgpr119
	s_or_saveexec_b32 s29, s29
	v_mov_b32_e32 v40, 0x7f800001
	s_xor_b32 exec_lo, exec_lo, s29
	s_cbranch_execnz .LBB6_2645
.LBB6_1085:                             ;   in Loop: Header=BB6_130 Depth=2
	s_or_b32 exec_lo, exec_lo, s29
	s_and_saveexec_b32 s29, s13
	s_cbranch_execz .LBB6_1087
.LBB6_1086:                             ;   in Loop: Header=BB6_130 Depth=2
	v_bfe_u32 v2, v34, 16, 2
	v_bfe_u32 v119, v34, 18, 5
	v_lshlrev_b32_sdwa v40, v61, v34 dst_sel:DWORD dst_unused:UNUSED_PAD src0_sel:DWORD src1_sel:WORD_1
	v_ffbh_u32_e32 v3, v2
	v_cmp_eq_u32_e32 vcc_lo, 0, v119
	v_min_u32_e32 v3, 32, v3
	v_subrev_nc_u32_e32 v30, 29, v3
	v_sub_nc_u32_e32 v3, 30, v3
	v_lshlrev_b32_sdwa v30, v30, v34 dst_sel:DWORD dst_unused:UNUSED_PAD src0_sel:DWORD src1_sel:WORD_1
	v_cndmask_b32_e32 v3, v119, v3, vcc_lo
	v_and_b32_e32 v30, 3, v30
	v_lshl_add_u32 v3, v3, 23, 0x37800000
	v_cndmask_b32_e32 v2, v2, v30, vcc_lo
	v_and_b32_e32 v30, 0x80000000, v40
	v_lshlrev_b32_e32 v2, 21, v2
	v_or3_b32 v40, v30, v3, v2
.LBB6_1087:                             ;   in Loop: Header=BB6_130 Depth=2
	s_or_b32 exec_lo, exec_lo, s29
	v_and_b32_sdwa v3, v28, v60 dst_sel:DWORD dst_unused:UNUSED_PAD src0_sel:WORD_1 src1_sel:DWORD
	s_mov_b32 s13, 0
	s_mov_b32 s29, exec_lo
	v_cmpx_lt_i16_e32 0x7f, v3
	s_xor_b32 s29, exec_lo, s29
	s_cbranch_execz .LBB6_2646
; %bb.1088:                             ;   in Loop: Header=BB6_130 Depth=2
	s_mov_b32 s13, -1
	s_mov_b32 s40, exec_lo
	v_cmpx_eq_u16_e32 0x80, v3
; %bb.1089:                             ;   in Loop: Header=BB6_130 Depth=2
	s_xor_b32 s13, exec_lo, -1
; %bb.1090:                             ;   in Loop: Header=BB6_130 Depth=2
	s_or_b32 exec_lo, exec_lo, s40
	s_and_b32 s13, s13, exec_lo
                                        ; implicit-def: $vgpr3
	s_or_saveexec_b32 s29, s29
	v_mov_b32_e32 v2, 0x7f800001
	s_xor_b32 exec_lo, exec_lo, s29
	s_cbranch_execnz .LBB6_2647
.LBB6_1091:                             ;   in Loop: Header=BB6_130 Depth=2
	s_or_b32 exec_lo, exec_lo, s29
	s_and_saveexec_b32 s29, s13
	s_cbranch_execz .LBB6_1093
.LBB6_1092:                             ;   in Loop: Header=BB6_130 Depth=2
	v_bfe_u32 v2, v28, 16, 2
	v_bfe_u32 v119, v28, 18, 5
	v_lshlrev_b32_sdwa v42, v61, v28 dst_sel:DWORD dst_unused:UNUSED_PAD src0_sel:DWORD src1_sel:WORD_1
	v_ffbh_u32_e32 v3, v2
	v_cmp_eq_u32_e32 vcc_lo, 0, v119
	v_min_u32_e32 v3, 32, v3
	v_subrev_nc_u32_e32 v30, 29, v3
	v_sub_nc_u32_e32 v3, 30, v3
	v_lshlrev_b32_sdwa v30, v30, v28 dst_sel:DWORD dst_unused:UNUSED_PAD src0_sel:DWORD src1_sel:WORD_1
	v_cndmask_b32_e32 v3, v119, v3, vcc_lo
	v_and_b32_e32 v30, 3, v30
	v_lshl_add_u32 v3, v3, 23, 0x37800000
	v_cndmask_b32_e32 v2, v2, v30, vcc_lo
	v_and_b32_e32 v30, 0x80000000, v42
	v_lshlrev_b32_e32 v2, 21, v2
	v_or3_b32 v2, v30, v3, v2
.LBB6_1093:                             ;   in Loop: Header=BB6_130 Depth=2
	s_or_b32 exec_lo, exec_lo, s29
	v_max_f32_e32 v2, v2, v2
	v_max_f32_e32 v3, v40, v40
	v_min_f32_e32 v40, v3, v2
.LBB6_1094:                             ;   in Loop: Header=BB6_130 Depth=2
	v_and_b32_e32 v2, 0x7f800000, v40
	v_mov_b32_e32 v93, 0x80
	s_mov_b32 s29, exec_lo
	v_cmpx_ne_u32_e32 0x7f800000, v2
	s_cbranch_execz .LBB6_1102
; %bb.1095:                             ;   in Loop: Header=BB6_130 Depth=2
	v_mov_b32_e32 v93, 0
	s_mov_b32 s40, exec_lo
	v_cmpx_ne_u32_e32 0, v40
	s_cbranch_execz .LBB6_1101
; %bb.1096:                             ;   in Loop: Header=BB6_130 Depth=2
	v_bfe_u32 v2, v40, 23, 8
	v_and_b32_e32 v3, 0x7fffff, v40
	v_sub_nc_u32_e32 v30, 0x70, v2
	v_cmp_gt_u32_e32 vcc_lo, 0x71, v2
	v_or_b32_e32 v119, 0x800000, v3
	v_cndmask_b32_e32 v30, 0, v30, vcc_lo
	v_cmp_eq_u32_e32 vcc_lo, 0, v2
	v_add_nc_u32_e32 v2, 0xffffff91, v2
	v_cndmask_b32_e64 v30, v30, 0x6f, vcc_lo
	v_cndmask_b32_e32 v3, v119, v3, vcc_lo
	v_cndmask_b32_e64 v2, v2, 0xffffff92, vcc_lo
	v_lshl_add_u32 v119, 0x200000, v30, -1
	v_lshrrev_b32_e32 v42, v30, v3
	v_lshlrev_b32_e64 v94, v30, 0x100000
	v_and_b32_e32 v3, v119, v3
	v_bfe_u32 v93, v42, 21, 1
	v_cmp_eq_u32_e64 s13, v3, v94
	v_add_nc_u32_e32 v119, -1, v93
	v_lshrrev_b32_e32 v93, 23, v42
	v_cndmask_b32_e64 v3, 0, v119, s13
	s_mov_b32 s13, exec_lo
	v_add_nc_u32_e32 v119, v3, v42
	v_add_nc_u32_e32 v3, v30, v2
                                        ; implicit-def: $vgpr30
	v_and_b32_e32 v2, 0x1fffff, v119
	v_xor_b32_e32 v119, 1, v93
	v_add_nc_u32_e32 v2, v2, v42
	v_cmpx_ne_u32_e64 v3, v119
	s_xor_b32 s13, exec_lo, s13
; %bb.1097:                             ;   in Loop: Header=BB6_130 Depth=2
	v_cmp_lt_u32_e32 vcc_lo, 0xffffff, v2
	v_sub_nc_u32_e32 v3, v3, v119
	v_cndmask_b32_e64 v119, 0, 1, vcc_lo
	v_add_co_ci_u32_e64 v30, null, 0, v3, vcc_lo
	v_lshrrev_b32_e32 v2, v119, v2
; %bb.1098:                             ;   in Loop: Header=BB6_130 Depth=2
	s_andn2_saveexec_b32 s13, s13
; %bb.1099:                             ;   in Loop: Header=BB6_130 Depth=2
	v_bfe_u32 v30, v2, 23, 1
; %bb.1100:                             ;   in Loop: Header=BB6_130 Depth=2
	s_or_b32 exec_lo, exec_lo, s13
	v_lshrrev_b32_e32 v2, 21, v2
	v_min_i32_e32 v3, 31, v30
	v_cmp_gt_i32_e32 vcc_lo, 32, v30
	v_and_b32_sdwa v119, v40, v58 dst_sel:DWORD dst_unused:UNUSED_PAD src0_sel:BYTE_3 src1_sel:DWORD
	v_lshlrev_b32_e32 v3, 2, v3
	v_cndmask_b32_e32 v2, 3, v2, vcc_lo
	v_and_b32_e32 v3, 0xfc, v3
	v_and_b32_e32 v40, 3, v2
	v_or_b32_e32 v2, v30, v2
	v_or3_b32 v3, v3, v119, v40
	v_cmp_ne_u32_e32 vcc_lo, 0, v2
	v_cndmask_b32_e32 v93, 0, v3, vcc_lo
.LBB6_1101:                             ;   in Loop: Header=BB6_130 Depth=2
	s_or_b32 exec_lo, exec_lo, s40
.LBB6_1102:                             ;   in Loop: Header=BB6_130 Depth=2
	s_or_b32 exec_lo, exec_lo, s29
	v_cmp_gt_i16_sdwa s29, v34, v57 src0_sel:BYTE_3 src1_sel:DWORD
	s_andn2_b32 vcc_lo, exec_lo, s28
	s_mov_b32 s13, -1
                                        ; implicit-def: $vgpr119
	s_cbranch_vccnz .LBB6_1116
; %bb.1103:                             ;   in Loop: Header=BB6_130 Depth=2
	s_mov_b32 s13, 0
	s_and_saveexec_b32 s40, s29
	s_xor_b32 s29, exec_lo, s40
	s_cbranch_execz .LBB6_2648
; %bb.1104:                             ;   in Loop: Header=BB6_130 Depth=2
	v_cmp_eq_u16_sdwa s41, v34, v58 src0_sel:BYTE_3 src1_sel:DWORD
	s_mov_b32 s13, -1
	s_and_saveexec_b32 s40, s41
; %bb.1105:                             ;   in Loop: Header=BB6_130 Depth=2
	s_xor_b32 s13, exec_lo, -1
; %bb.1106:                             ;   in Loop: Header=BB6_130 Depth=2
	s_or_b32 exec_lo, exec_lo, s40
	s_and_b32 s13, s13, exec_lo
	s_or_saveexec_b32 s29, s29
	v_mov_b32_e32 v119, 0x7f800001
	s_xor_b32 exec_lo, exec_lo, s29
	s_cbranch_execnz .LBB6_2649
.LBB6_1107:                             ;   in Loop: Header=BB6_130 Depth=2
	s_or_b32 exec_lo, exec_lo, s29
	s_and_saveexec_b32 s29, s13
	s_cbranch_execz .LBB6_1109
.LBB6_1108:                             ;   in Loop: Header=BB6_130 Depth=2
	v_bfe_u32 v2, v34, 24, 2
	v_bfe_u32 v119, v34, 26, 5
	v_ffbh_u32_e32 v3, v2
	v_cmp_eq_u32_e32 vcc_lo, 0, v119
	v_min_u32_e32 v3, 32, v3
	v_subrev_nc_u32_e32 v30, 29, v3
	v_sub_nc_u32_e32 v3, 30, v3
	v_lshlrev_b32_sdwa v30, v30, v34 dst_sel:DWORD dst_unused:UNUSED_PAD src0_sel:DWORD src1_sel:BYTE_3
	v_cndmask_b32_e32 v3, v119, v3, vcc_lo
	v_and_b32_e32 v30, 3, v30
	v_lshl_add_u32 v3, v3, 23, 0x37800000
	v_cndmask_b32_e32 v2, v2, v30, vcc_lo
	v_and_b32_e32 v30, 0x80000000, v34
	v_lshlrev_b32_e32 v2, 21, v2
	v_or3_b32 v119, v30, v3, v2
.LBB6_1109:                             ;   in Loop: Header=BB6_130 Depth=2
	s_or_b32 exec_lo, exec_lo, s29
	v_cmp_gt_i16_sdwa s29, v28, v57 src0_sel:BYTE_3 src1_sel:DWORD
	s_mov_b32 s13, 0
	s_and_saveexec_b32 s40, s29
	s_xor_b32 s29, exec_lo, s40
	s_cbranch_execz .LBB6_2650
; %bb.1110:                             ;   in Loop: Header=BB6_130 Depth=2
	v_cmp_eq_u16_sdwa s41, v28, v58 src0_sel:BYTE_3 src1_sel:DWORD
	s_mov_b32 s13, -1
	s_and_saveexec_b32 s40, s41
; %bb.1111:                             ;   in Loop: Header=BB6_130 Depth=2
	s_xor_b32 s13, exec_lo, -1
; %bb.1112:                             ;   in Loop: Header=BB6_130 Depth=2
	s_or_b32 exec_lo, exec_lo, s40
	s_and_b32 s13, s13, exec_lo
	s_or_saveexec_b32 s29, s29
	v_mov_b32_e32 v2, 0x7f800001
	s_xor_b32 exec_lo, exec_lo, s29
	s_cbranch_execnz .LBB6_2651
.LBB6_1113:                             ;   in Loop: Header=BB6_130 Depth=2
	s_or_b32 exec_lo, exec_lo, s29
	s_and_saveexec_b32 s29, s13
	s_cbranch_execz .LBB6_1115
.LBB6_1114:                             ;   in Loop: Header=BB6_130 Depth=2
	v_bfe_u32 v2, v28, 24, 2
	v_bfe_u32 v40, v28, 26, 5
	v_ffbh_u32_e32 v3, v2
	v_cmp_eq_u32_e32 vcc_lo, 0, v40
	v_min_u32_e32 v3, 32, v3
	v_subrev_nc_u32_e32 v30, 29, v3
	v_sub_nc_u32_e32 v3, 30, v3
	v_lshlrev_b32_sdwa v30, v30, v28 dst_sel:DWORD dst_unused:UNUSED_PAD src0_sel:DWORD src1_sel:BYTE_3
	v_cndmask_b32_e32 v3, v40, v3, vcc_lo
	v_and_b32_e32 v30, 3, v30
	v_lshl_add_u32 v3, v3, 23, 0x37800000
	v_cndmask_b32_e32 v2, v2, v30, vcc_lo
	v_and_b32_e32 v30, 0x80000000, v28
	v_lshlrev_b32_e32 v2, 21, v2
	v_or3_b32 v2, v30, v3, v2
.LBB6_1115:                             ;   in Loop: Header=BB6_130 Depth=2
	s_or_b32 exec_lo, exec_lo, s29
	v_max_f32_e32 v2, v2, v2
	v_max_f32_e32 v3, v119, v119
	s_mov_b32 s13, 0
	v_max_f32_e32 v119, v3, v2
.LBB6_1116:                             ;   in Loop: Header=BB6_130 Depth=2
	s_and_b32 vcc_lo, exec_lo, s13
	s_cbranch_vccz .LBB6_1130
; %bb.1117:                             ;   in Loop: Header=BB6_130 Depth=2
	v_cmp_gt_i16_sdwa s29, v34, v57 src0_sel:BYTE_3 src1_sel:DWORD
	s_mov_b32 s13, 0
	s_and_saveexec_b32 s40, s29
	s_xor_b32 s29, exec_lo, s40
	s_cbranch_execz .LBB6_2652
; %bb.1118:                             ;   in Loop: Header=BB6_130 Depth=2
	v_cmp_eq_u16_sdwa s41, v34, v58 src0_sel:BYTE_3 src1_sel:DWORD
	s_mov_b32 s13, -1
	s_and_saveexec_b32 s40, s41
; %bb.1119:                             ;   in Loop: Header=BB6_130 Depth=2
	s_xor_b32 s13, exec_lo, -1
; %bb.1120:                             ;   in Loop: Header=BB6_130 Depth=2
	s_or_b32 exec_lo, exec_lo, s40
	s_and_b32 s13, s13, exec_lo
	s_or_saveexec_b32 s29, s29
	v_mov_b32_e32 v119, 0x7f800001
	s_xor_b32 exec_lo, exec_lo, s29
	s_cbranch_execnz .LBB6_2653
.LBB6_1121:                             ;   in Loop: Header=BB6_130 Depth=2
	s_or_b32 exec_lo, exec_lo, s29
	s_and_saveexec_b32 s29, s13
	s_cbranch_execz .LBB6_1123
.LBB6_1122:                             ;   in Loop: Header=BB6_130 Depth=2
	v_bfe_u32 v2, v34, 24, 2
	v_bfe_u32 v119, v34, 26, 5
	v_ffbh_u32_e32 v3, v2
	v_cmp_eq_u32_e32 vcc_lo, 0, v119
	v_min_u32_e32 v3, 32, v3
	v_subrev_nc_u32_e32 v30, 29, v3
	v_sub_nc_u32_e32 v3, 30, v3
	v_lshlrev_b32_sdwa v30, v30, v34 dst_sel:DWORD dst_unused:UNUSED_PAD src0_sel:DWORD src1_sel:BYTE_3
	v_cndmask_b32_e32 v3, v119, v3, vcc_lo
	v_and_b32_e32 v30, 3, v30
	v_lshl_add_u32 v3, v3, 23, 0x37800000
	v_cndmask_b32_e32 v2, v2, v30, vcc_lo
	v_and_b32_e32 v30, 0x80000000, v34
	v_lshlrev_b32_e32 v2, 21, v2
	v_or3_b32 v119, v30, v3, v2
.LBB6_1123:                             ;   in Loop: Header=BB6_130 Depth=2
	s_or_b32 exec_lo, exec_lo, s29
	v_cmp_gt_i16_sdwa s29, v28, v57 src0_sel:BYTE_3 src1_sel:DWORD
	s_mov_b32 s13, 0
	s_and_saveexec_b32 s40, s29
	s_xor_b32 s29, exec_lo, s40
	s_cbranch_execz .LBB6_2654
; %bb.1124:                             ;   in Loop: Header=BB6_130 Depth=2
	v_cmp_eq_u16_sdwa s41, v28, v58 src0_sel:BYTE_3 src1_sel:DWORD
	s_mov_b32 s13, -1
	s_and_saveexec_b32 s40, s41
; %bb.1125:                             ;   in Loop: Header=BB6_130 Depth=2
	s_xor_b32 s13, exec_lo, -1
; %bb.1126:                             ;   in Loop: Header=BB6_130 Depth=2
	s_or_b32 exec_lo, exec_lo, s40
	s_and_b32 s13, s13, exec_lo
	s_or_saveexec_b32 s29, s29
	v_mov_b32_e32 v2, 0x7f800001
	s_xor_b32 exec_lo, exec_lo, s29
	s_cbranch_execnz .LBB6_2655
.LBB6_1127:                             ;   in Loop: Header=BB6_130 Depth=2
	s_or_b32 exec_lo, exec_lo, s29
	s_and_saveexec_b32 s29, s13
	s_cbranch_execz .LBB6_1129
.LBB6_1128:                             ;   in Loop: Header=BB6_130 Depth=2
	v_bfe_u32 v2, v28, 24, 2
	v_bfe_u32 v34, v28, 26, 5
	v_ffbh_u32_e32 v3, v2
	v_cmp_eq_u32_e32 vcc_lo, 0, v34
	v_min_u32_e32 v3, 32, v3
	v_subrev_nc_u32_e32 v30, 29, v3
	v_sub_nc_u32_e32 v3, 30, v3
	v_lshlrev_b32_sdwa v30, v30, v28 dst_sel:DWORD dst_unused:UNUSED_PAD src0_sel:DWORD src1_sel:BYTE_3
	v_cndmask_b32_e32 v3, v34, v3, vcc_lo
	v_and_b32_e32 v28, 0x80000000, v28
	v_and_b32_e32 v30, 3, v30
	v_lshl_add_u32 v3, v3, 23, 0x37800000
	v_cndmask_b32_e32 v2, v2, v30, vcc_lo
	v_lshlrev_b32_e32 v2, 21, v2
	v_or3_b32 v2, v28, v3, v2
.LBB6_1129:                             ;   in Loop: Header=BB6_130 Depth=2
	s_or_b32 exec_lo, exec_lo, s29
	v_max_f32_e32 v2, v2, v2
	v_max_f32_e32 v3, v119, v119
	v_min_f32_e32 v119, v3, v2
.LBB6_1130:                             ;   in Loop: Header=BB6_130 Depth=2
	v_and_b32_e32 v2, 0x7f800000, v119
	v_mov_b32_e32 v28, 0x8000
	s_mov_b32 s29, exec_lo
	v_cmpx_ne_u32_e32 0x7f800000, v2
	s_cbranch_execz .LBB6_1138
; %bb.1131:                             ;   in Loop: Header=BB6_130 Depth=2
	v_mov_b32_e32 v28, 0
	s_mov_b32 s40, exec_lo
	v_cmpx_ne_u32_e32 0, v119
	s_cbranch_execz .LBB6_1137
; %bb.1132:                             ;   in Loop: Header=BB6_130 Depth=2
	v_bfe_u32 v2, v119, 23, 8
	v_and_b32_e32 v3, 0x7fffff, v119
	v_sub_nc_u32_e32 v28, 0x70, v2
	v_cmp_gt_u32_e32 vcc_lo, 0x71, v2
	v_or_b32_e32 v30, 0x800000, v3
	v_cndmask_b32_e32 v28, 0, v28, vcc_lo
	v_cmp_eq_u32_e32 vcc_lo, 0, v2
	v_add_nc_u32_e32 v2, 0xffffff91, v2
	v_cndmask_b32_e64 v28, v28, 0x6f, vcc_lo
	v_cndmask_b32_e32 v3, v30, v3, vcc_lo
	v_cndmask_b32_e64 v2, v2, 0xffffff92, vcc_lo
	v_lshl_add_u32 v30, 0x200000, v28, -1
	v_lshrrev_b32_e32 v34, v28, v3
	v_lshlrev_b32_e64 v42, v28, 0x100000
	v_and_b32_e32 v3, v30, v3
	v_bfe_u32 v40, v34, 21, 1
	v_cmp_eq_u32_e64 s13, v3, v42
	v_add_nc_u32_e32 v30, -1, v40
	v_lshrrev_b32_e32 v40, 23, v34
	v_cndmask_b32_e64 v3, 0, v30, s13
	s_mov_b32 s13, exec_lo
	v_add_nc_u32_e32 v30, v3, v34
	v_add_nc_u32_e32 v3, v28, v2
                                        ; implicit-def: $vgpr28
	v_and_b32_e32 v2, 0x1fffff, v30
	v_xor_b32_e32 v30, 1, v40
	v_add_nc_u32_e32 v2, v2, v34
	v_cmpx_ne_u32_e64 v3, v30
	s_xor_b32 s13, exec_lo, s13
; %bb.1133:                             ;   in Loop: Header=BB6_130 Depth=2
	v_cmp_lt_u32_e32 vcc_lo, 0xffffff, v2
	v_sub_nc_u32_e32 v3, v3, v30
	v_cndmask_b32_e64 v30, 0, 1, vcc_lo
	v_add_co_ci_u32_e64 v28, null, 0, v3, vcc_lo
	v_lshrrev_b32_e32 v2, v30, v2
; %bb.1134:                             ;   in Loop: Header=BB6_130 Depth=2
	s_andn2_saveexec_b32 s13, s13
; %bb.1135:                             ;   in Loop: Header=BB6_130 Depth=2
	v_bfe_u32 v28, v2, 23, 1
; %bb.1136:                             ;   in Loop: Header=BB6_130 Depth=2
	s_or_b32 exec_lo, exec_lo, s13
	v_lshrrev_b32_e32 v2, 21, v2
	v_min_i32_e32 v3, 31, v28
	v_cmp_gt_i32_e32 vcc_lo, 32, v28
	v_and_b32_sdwa v30, v119, v58 dst_sel:DWORD dst_unused:UNUSED_PAD src0_sel:BYTE_3 src1_sel:DWORD
	v_lshlrev_b32_e32 v3, 2, v3
	v_cndmask_b32_e32 v2, 3, v2, vcc_lo
	v_and_b32_e32 v3, 0xfc, v3
	v_and_b32_e32 v34, 3, v2
	v_or_b32_e32 v2, v28, v2
	v_or3_b32 v3, v30, v3, v34
	v_cmp_ne_u32_e32 vcc_lo, 0, v2
	v_lshlrev_b32_e32 v3, 8, v3
	v_cndmask_b32_e32 v28, 0, v3, vcc_lo
.LBB6_1137:                             ;   in Loop: Header=BB6_130 Depth=2
	s_or_b32 exec_lo, exec_lo, s40
.LBB6_1138:                             ;   in Loop: Header=BB6_130 Depth=2
	s_or_b32 exec_lo, exec_lo, s29
	v_cmp_gt_i16_sdwa s29, v35, v57 src0_sel:BYTE_0 src1_sel:DWORD
	s_andn2_b32 vcc_lo, exec_lo, s28
	s_mov_b32 s13, -1
                                        ; implicit-def: $vgpr119
	s_cbranch_vccnz .LBB6_1152
; %bb.1139:                             ;   in Loop: Header=BB6_130 Depth=2
	s_mov_b32 s13, 0
	s_and_saveexec_b32 s40, s29
	s_xor_b32 s29, exec_lo, s40
	s_cbranch_execz .LBB6_2656
; %bb.1140:                             ;   in Loop: Header=BB6_130 Depth=2
	v_cmp_eq_u16_sdwa s41, v35, v58 src0_sel:BYTE_0 src1_sel:DWORD
	s_mov_b32 s13, -1
	s_and_saveexec_b32 s40, s41
; %bb.1141:                             ;   in Loop: Header=BB6_130 Depth=2
	s_xor_b32 s13, exec_lo, -1
; %bb.1142:                             ;   in Loop: Header=BB6_130 Depth=2
	s_or_b32 exec_lo, exec_lo, s40
	s_and_b32 s13, s13, exec_lo
	s_or_saveexec_b32 s29, s29
	v_mov_b32_e32 v34, 0x7f800001
	s_xor_b32 exec_lo, exec_lo, s29
	s_cbranch_execnz .LBB6_2657
.LBB6_1143:                             ;   in Loop: Header=BB6_130 Depth=2
	s_or_b32 exec_lo, exec_lo, s29
	s_and_saveexec_b32 s29, s13
	s_cbranch_execz .LBB6_1145
.LBB6_1144:                             ;   in Loop: Header=BB6_130 Depth=2
	v_and_b32_e32 v2, 3, v35
	v_bfe_u32 v34, v35, 2, 5
	v_lshlrev_b32_e32 v119, 24, v35
	v_ffbh_u32_e32 v3, v2
	v_cmp_eq_u32_e32 vcc_lo, 0, v34
	v_min_u32_e32 v3, 32, v3
	v_subrev_nc_u32_e32 v30, 29, v3
	v_sub_nc_u32_e32 v3, 30, v3
	v_lshlrev_b32_e32 v30, v30, v35
	v_cndmask_b32_e32 v3, v34, v3, vcc_lo
	v_and_b32_e32 v30, 3, v30
	v_lshl_add_u32 v3, v3, 23, 0x37800000
	v_cndmask_b32_e32 v2, v2, v30, vcc_lo
	v_and_b32_e32 v30, 0x80000000, v119
	v_lshlrev_b32_e32 v2, 21, v2
	v_or3_b32 v34, v30, v3, v2
.LBB6_1145:                             ;   in Loop: Header=BB6_130 Depth=2
	s_or_b32 exec_lo, exec_lo, s29
	v_cmp_gt_i16_sdwa s29, v29, v57 src0_sel:BYTE_0 src1_sel:DWORD
	s_mov_b32 s13, 0
	s_and_saveexec_b32 s40, s29
	s_xor_b32 s29, exec_lo, s40
	s_cbranch_execz .LBB6_2658
; %bb.1146:                             ;   in Loop: Header=BB6_130 Depth=2
	v_cmp_eq_u16_sdwa s41, v29, v58 src0_sel:BYTE_0 src1_sel:DWORD
	s_mov_b32 s13, -1
	s_and_saveexec_b32 s40, s41
; %bb.1147:                             ;   in Loop: Header=BB6_130 Depth=2
	s_xor_b32 s13, exec_lo, -1
; %bb.1148:                             ;   in Loop: Header=BB6_130 Depth=2
	s_or_b32 exec_lo, exec_lo, s40
	s_and_b32 s13, s13, exec_lo
	s_or_saveexec_b32 s29, s29
	v_mov_b32_e32 v2, 0x7f800001
	s_xor_b32 exec_lo, exec_lo, s29
	s_cbranch_execnz .LBB6_2659
.LBB6_1149:                             ;   in Loop: Header=BB6_130 Depth=2
	s_or_b32 exec_lo, exec_lo, s29
	s_and_saveexec_b32 s29, s13
	s_cbranch_execz .LBB6_1151
.LBB6_1150:                             ;   in Loop: Header=BB6_130 Depth=2
	v_and_b32_e32 v2, 3, v29
	v_bfe_u32 v119, v29, 2, 5
	v_lshlrev_b32_e32 v40, 24, v29
	v_ffbh_u32_e32 v3, v2
	v_cmp_eq_u32_e32 vcc_lo, 0, v119
	v_min_u32_e32 v3, 32, v3
	v_subrev_nc_u32_e32 v30, 29, v3
	v_sub_nc_u32_e32 v3, 30, v3
	v_lshlrev_b32_e32 v30, v30, v29
	v_cndmask_b32_e32 v3, v119, v3, vcc_lo
	v_and_b32_e32 v30, 3, v30
	v_lshl_add_u32 v3, v3, 23, 0x37800000
	v_cndmask_b32_e32 v2, v2, v30, vcc_lo
	v_and_b32_e32 v30, 0x80000000, v40
	v_lshlrev_b32_e32 v2, 21, v2
	v_or3_b32 v2, v30, v3, v2
.LBB6_1151:                             ;   in Loop: Header=BB6_130 Depth=2
	s_or_b32 exec_lo, exec_lo, s29
	v_max_f32_e32 v2, v2, v2
	v_max_f32_e32 v3, v34, v34
	s_mov_b32 s13, 0
	v_max_f32_e32 v119, v3, v2
.LBB6_1152:                             ;   in Loop: Header=BB6_130 Depth=2
	s_and_b32 vcc_lo, exec_lo, s13
	s_cbranch_vccz .LBB6_1166
; %bb.1153:                             ;   in Loop: Header=BB6_130 Depth=2
	v_cmp_gt_i16_sdwa s29, v35, v57 src0_sel:BYTE_0 src1_sel:DWORD
	s_mov_b32 s13, 0
	s_and_saveexec_b32 s40, s29
	s_xor_b32 s29, exec_lo, s40
	s_cbranch_execz .LBB6_2660
; %bb.1154:                             ;   in Loop: Header=BB6_130 Depth=2
	v_cmp_eq_u16_sdwa s41, v35, v58 src0_sel:BYTE_0 src1_sel:DWORD
	s_mov_b32 s13, -1
	s_and_saveexec_b32 s40, s41
; %bb.1155:                             ;   in Loop: Header=BB6_130 Depth=2
	s_xor_b32 s13, exec_lo, -1
; %bb.1156:                             ;   in Loop: Header=BB6_130 Depth=2
	s_or_b32 exec_lo, exec_lo, s40
	s_and_b32 s13, s13, exec_lo
	s_or_saveexec_b32 s29, s29
	v_mov_b32_e32 v34, 0x7f800001
	s_xor_b32 exec_lo, exec_lo, s29
	s_cbranch_execnz .LBB6_2661
.LBB6_1157:                             ;   in Loop: Header=BB6_130 Depth=2
	s_or_b32 exec_lo, exec_lo, s29
	s_and_saveexec_b32 s29, s13
	s_cbranch_execz .LBB6_1159
.LBB6_1158:                             ;   in Loop: Header=BB6_130 Depth=2
	v_and_b32_e32 v2, 3, v35
	v_bfe_u32 v34, v35, 2, 5
	v_lshlrev_b32_e32 v119, 24, v35
	v_ffbh_u32_e32 v3, v2
	v_cmp_eq_u32_e32 vcc_lo, 0, v34
	v_min_u32_e32 v3, 32, v3
	v_subrev_nc_u32_e32 v30, 29, v3
	v_sub_nc_u32_e32 v3, 30, v3
	v_lshlrev_b32_e32 v30, v30, v35
	v_cndmask_b32_e32 v3, v34, v3, vcc_lo
	v_and_b32_e32 v30, 3, v30
	v_lshl_add_u32 v3, v3, 23, 0x37800000
	v_cndmask_b32_e32 v2, v2, v30, vcc_lo
	v_and_b32_e32 v30, 0x80000000, v119
	v_lshlrev_b32_e32 v2, 21, v2
	v_or3_b32 v34, v30, v3, v2
.LBB6_1159:                             ;   in Loop: Header=BB6_130 Depth=2
	s_or_b32 exec_lo, exec_lo, s29
	v_cmp_gt_i16_sdwa s29, v29, v57 src0_sel:BYTE_0 src1_sel:DWORD
	s_mov_b32 s13, 0
	s_and_saveexec_b32 s40, s29
	s_xor_b32 s29, exec_lo, s40
	s_cbranch_execz .LBB6_2662
; %bb.1160:                             ;   in Loop: Header=BB6_130 Depth=2
	v_cmp_eq_u16_sdwa s41, v29, v58 src0_sel:BYTE_0 src1_sel:DWORD
	s_mov_b32 s13, -1
	s_and_saveexec_b32 s40, s41
; %bb.1161:                             ;   in Loop: Header=BB6_130 Depth=2
	s_xor_b32 s13, exec_lo, -1
; %bb.1162:                             ;   in Loop: Header=BB6_130 Depth=2
	s_or_b32 exec_lo, exec_lo, s40
	s_and_b32 s13, s13, exec_lo
	s_or_saveexec_b32 s29, s29
	v_mov_b32_e32 v2, 0x7f800001
	s_xor_b32 exec_lo, exec_lo, s29
	s_cbranch_execnz .LBB6_2663
.LBB6_1163:                             ;   in Loop: Header=BB6_130 Depth=2
	s_or_b32 exec_lo, exec_lo, s29
	s_and_saveexec_b32 s29, s13
	s_cbranch_execz .LBB6_1165
.LBB6_1164:                             ;   in Loop: Header=BB6_130 Depth=2
	v_and_b32_e32 v2, 3, v29
	v_bfe_u32 v119, v29, 2, 5
	v_lshlrev_b32_e32 v40, 24, v29
	v_ffbh_u32_e32 v3, v2
	v_cmp_eq_u32_e32 vcc_lo, 0, v119
	v_min_u32_e32 v3, 32, v3
	v_subrev_nc_u32_e32 v30, 29, v3
	v_sub_nc_u32_e32 v3, 30, v3
	v_lshlrev_b32_e32 v30, v30, v29
	v_cndmask_b32_e32 v3, v119, v3, vcc_lo
	v_and_b32_e32 v30, 3, v30
	v_lshl_add_u32 v3, v3, 23, 0x37800000
	v_cndmask_b32_e32 v2, v2, v30, vcc_lo
	v_and_b32_e32 v30, 0x80000000, v40
	v_lshlrev_b32_e32 v2, 21, v2
	v_or3_b32 v2, v30, v3, v2
.LBB6_1165:                             ;   in Loop: Header=BB6_130 Depth=2
	s_or_b32 exec_lo, exec_lo, s29
	v_max_f32_e32 v2, v2, v2
	v_max_f32_e32 v3, v34, v34
	v_min_f32_e32 v119, v3, v2
.LBB6_1166:                             ;   in Loop: Header=BB6_130 Depth=2
	v_and_b32_e32 v2, 0x7f800000, v119
	v_mov_b32_e32 v34, 0x80
	s_mov_b32 s29, exec_lo
	v_cmpx_ne_u32_e32 0x7f800000, v2
	s_cbranch_execz .LBB6_1174
; %bb.1167:                             ;   in Loop: Header=BB6_130 Depth=2
	v_mov_b32_e32 v34, 0
	s_mov_b32 s40, exec_lo
	v_cmpx_ne_u32_e32 0, v119
	s_cbranch_execz .LBB6_1173
; %bb.1168:                             ;   in Loop: Header=BB6_130 Depth=2
	v_bfe_u32 v2, v119, 23, 8
	v_and_b32_e32 v3, 0x7fffff, v119
	v_sub_nc_u32_e32 v30, 0x70, v2
	v_cmp_gt_u32_e32 vcc_lo, 0x71, v2
	v_or_b32_e32 v34, 0x800000, v3
	v_cndmask_b32_e32 v30, 0, v30, vcc_lo
	v_cmp_eq_u32_e32 vcc_lo, 0, v2
	v_add_nc_u32_e32 v2, 0xffffff91, v2
	v_cndmask_b32_e64 v30, v30, 0x6f, vcc_lo
	v_cndmask_b32_e32 v3, v34, v3, vcc_lo
	v_cndmask_b32_e64 v2, v2, 0xffffff92, vcc_lo
	v_lshl_add_u32 v34, 0x200000, v30, -1
	v_lshrrev_b32_e32 v40, v30, v3
	v_lshlrev_b32_e64 v94, v30, 0x100000
	v_and_b32_e32 v3, v34, v3
	v_bfe_u32 v42, v40, 21, 1
	v_cmp_eq_u32_e64 s13, v3, v94
	v_add_nc_u32_e32 v34, -1, v42
	v_lshrrev_b32_e32 v42, 23, v40
	v_cndmask_b32_e64 v3, 0, v34, s13
	s_mov_b32 s13, exec_lo
	v_add_nc_u32_e32 v34, v3, v40
	v_add_nc_u32_e32 v3, v30, v2
                                        ; implicit-def: $vgpr30
	v_and_b32_e32 v2, 0x1fffff, v34
	v_xor_b32_e32 v34, 1, v42
	v_add_nc_u32_e32 v2, v2, v40
	v_cmpx_ne_u32_e64 v3, v34
	s_xor_b32 s13, exec_lo, s13
; %bb.1169:                             ;   in Loop: Header=BB6_130 Depth=2
	v_cmp_lt_u32_e32 vcc_lo, 0xffffff, v2
	v_sub_nc_u32_e32 v3, v3, v34
	v_cndmask_b32_e64 v34, 0, 1, vcc_lo
	v_add_co_ci_u32_e64 v30, null, 0, v3, vcc_lo
	v_lshrrev_b32_e32 v2, v34, v2
; %bb.1170:                             ;   in Loop: Header=BB6_130 Depth=2
	s_andn2_saveexec_b32 s13, s13
; %bb.1171:                             ;   in Loop: Header=BB6_130 Depth=2
	v_bfe_u32 v30, v2, 23, 1
; %bb.1172:                             ;   in Loop: Header=BB6_130 Depth=2
	s_or_b32 exec_lo, exec_lo, s13
	v_lshrrev_b32_e32 v2, 21, v2
	v_min_i32_e32 v3, 31, v30
	v_cmp_gt_i32_e32 vcc_lo, 32, v30
	v_and_b32_sdwa v34, v119, v58 dst_sel:DWORD dst_unused:UNUSED_PAD src0_sel:BYTE_3 src1_sel:DWORD
	v_lshlrev_b32_e32 v3, 2, v3
	v_cndmask_b32_e32 v2, 3, v2, vcc_lo
	v_and_b32_e32 v3, 0xfc, v3
	v_and_b32_e32 v119, 3, v2
	v_or_b32_e32 v2, v30, v2
	v_or3_b32 v3, v3, v34, v119
	v_cmp_ne_u32_e32 vcc_lo, 0, v2
	v_cndmask_b32_e32 v34, 0, v3, vcc_lo
.LBB6_1173:                             ;   in Loop: Header=BB6_130 Depth=2
	s_or_b32 exec_lo, exec_lo, s40
.LBB6_1174:                             ;   in Loop: Header=BB6_130 Depth=2
	s_or_b32 exec_lo, exec_lo, s29
	v_cmp_gt_i16_sdwa s29, v35, v57 src0_sel:BYTE_1 src1_sel:DWORD
	s_andn2_b32 vcc_lo, exec_lo, s28
	s_mov_b32 s13, -1
                                        ; implicit-def: $vgpr119
	s_cbranch_vccnz .LBB6_1188
; %bb.1175:                             ;   in Loop: Header=BB6_130 Depth=2
	s_mov_b32 s13, 0
	s_and_saveexec_b32 s40, s29
	s_xor_b32 s29, exec_lo, s40
	s_cbranch_execz .LBB6_2664
; %bb.1176:                             ;   in Loop: Header=BB6_130 Depth=2
	v_cmp_eq_u16_sdwa s41, v35, v58 src0_sel:BYTE_1 src1_sel:DWORD
	s_mov_b32 s13, -1
	s_and_saveexec_b32 s40, s41
; %bb.1177:                             ;   in Loop: Header=BB6_130 Depth=2
	s_xor_b32 s13, exec_lo, -1
; %bb.1178:                             ;   in Loop: Header=BB6_130 Depth=2
	s_or_b32 exec_lo, exec_lo, s40
	s_and_b32 s13, s13, exec_lo
	s_or_saveexec_b32 s29, s29
	v_mov_b32_e32 v119, 0x7f800001
	s_xor_b32 exec_lo, exec_lo, s29
	s_cbranch_execnz .LBB6_2665
.LBB6_1179:                             ;   in Loop: Header=BB6_130 Depth=2
	s_or_b32 exec_lo, exec_lo, s29
	s_and_saveexec_b32 s29, s13
	s_cbranch_execz .LBB6_1181
.LBB6_1180:                             ;   in Loop: Header=BB6_130 Depth=2
	v_and_b32_sdwa v2, v59, v35 dst_sel:DWORD dst_unused:UNUSED_PAD src0_sel:DWORD src1_sel:BYTE_1
	v_and_b32_e32 v3, 3, v2
	v_bfe_u32 v40, v2, 2, 5
	v_ffbh_u32_e32 v30, v3
	v_cmp_eq_u32_e32 vcc_lo, 0, v40
	v_min_u32_e32 v30, 32, v30
	v_subrev_nc_u32_e32 v119, 29, v30
	v_sub_nc_u32_e32 v30, 30, v30
	v_lshlrev_b32_e32 v2, v119, v2
	v_lshlrev_b32_e32 v119, 16, v35
	v_cndmask_b32_e32 v30, v40, v30, vcc_lo
	v_and_b32_e32 v2, 3, v2
	v_lshl_add_u32 v30, v30, 23, 0x37800000
	v_cndmask_b32_e32 v2, v3, v2, vcc_lo
	v_and_b32_e32 v3, 0x80000000, v119
	v_lshlrev_b32_e32 v2, 21, v2
	v_or3_b32 v119, v3, v30, v2
.LBB6_1181:                             ;   in Loop: Header=BB6_130 Depth=2
	s_or_b32 exec_lo, exec_lo, s29
	v_cmp_gt_i16_sdwa s29, v29, v57 src0_sel:BYTE_1 src1_sel:DWORD
	s_mov_b32 s13, 0
	s_and_saveexec_b32 s40, s29
	s_xor_b32 s29, exec_lo, s40
	s_cbranch_execz .LBB6_2666
; %bb.1182:                             ;   in Loop: Header=BB6_130 Depth=2
	v_cmp_eq_u16_sdwa s41, v29, v58 src0_sel:BYTE_1 src1_sel:DWORD
	s_mov_b32 s13, -1
	s_and_saveexec_b32 s40, s41
; %bb.1183:                             ;   in Loop: Header=BB6_130 Depth=2
	s_xor_b32 s13, exec_lo, -1
; %bb.1184:                             ;   in Loop: Header=BB6_130 Depth=2
	s_or_b32 exec_lo, exec_lo, s40
	s_and_b32 s13, s13, exec_lo
	s_or_saveexec_b32 s29, s29
	v_mov_b32_e32 v2, 0x7f800001
	s_xor_b32 exec_lo, exec_lo, s29
	s_cbranch_execnz .LBB6_2667
.LBB6_1185:                             ;   in Loop: Header=BB6_130 Depth=2
	s_or_b32 exec_lo, exec_lo, s29
	s_and_saveexec_b32 s29, s13
	s_cbranch_execz .LBB6_1187
.LBB6_1186:                             ;   in Loop: Header=BB6_130 Depth=2
	v_and_b32_sdwa v2, v59, v29 dst_sel:DWORD dst_unused:UNUSED_PAD src0_sel:DWORD src1_sel:BYTE_1
	v_and_b32_e32 v3, 3, v2
	v_bfe_u32 v42, v2, 2, 5
	v_ffbh_u32_e32 v30, v3
	v_cmp_eq_u32_e32 vcc_lo, 0, v42
	v_min_u32_e32 v30, 32, v30
	v_subrev_nc_u32_e32 v40, 29, v30
	v_sub_nc_u32_e32 v30, 30, v30
	v_lshlrev_b32_e32 v2, v40, v2
	v_lshlrev_b32_e32 v40, 16, v29
	v_cndmask_b32_e32 v30, v42, v30, vcc_lo
	v_and_b32_e32 v2, 3, v2
	v_lshl_add_u32 v30, v30, 23, 0x37800000
	v_cndmask_b32_e32 v2, v3, v2, vcc_lo
	v_and_b32_e32 v3, 0x80000000, v40
	v_lshlrev_b32_e32 v2, 21, v2
	v_or3_b32 v2, v3, v30, v2
.LBB6_1187:                             ;   in Loop: Header=BB6_130 Depth=2
	s_or_b32 exec_lo, exec_lo, s29
	v_max_f32_e32 v2, v2, v2
	v_max_f32_e32 v3, v119, v119
	s_mov_b32 s13, 0
	v_max_f32_e32 v119, v3, v2
.LBB6_1188:                             ;   in Loop: Header=BB6_130 Depth=2
	s_and_b32 vcc_lo, exec_lo, s13
	s_cbranch_vccz .LBB6_1202
; %bb.1189:                             ;   in Loop: Header=BB6_130 Depth=2
	v_cmp_gt_i16_sdwa s29, v35, v57 src0_sel:BYTE_1 src1_sel:DWORD
	s_mov_b32 s13, 0
	s_and_saveexec_b32 s40, s29
	s_xor_b32 s29, exec_lo, s40
	s_cbranch_execz .LBB6_2668
; %bb.1190:                             ;   in Loop: Header=BB6_130 Depth=2
	v_cmp_eq_u16_sdwa s41, v35, v58 src0_sel:BYTE_1 src1_sel:DWORD
	s_mov_b32 s13, -1
	s_and_saveexec_b32 s40, s41
; %bb.1191:                             ;   in Loop: Header=BB6_130 Depth=2
	s_xor_b32 s13, exec_lo, -1
; %bb.1192:                             ;   in Loop: Header=BB6_130 Depth=2
	s_or_b32 exec_lo, exec_lo, s40
	s_and_b32 s13, s13, exec_lo
	s_or_saveexec_b32 s29, s29
	v_mov_b32_e32 v119, 0x7f800001
	s_xor_b32 exec_lo, exec_lo, s29
	s_cbranch_execnz .LBB6_2669
.LBB6_1193:                             ;   in Loop: Header=BB6_130 Depth=2
	s_or_b32 exec_lo, exec_lo, s29
	s_and_saveexec_b32 s29, s13
	s_cbranch_execz .LBB6_1195
.LBB6_1194:                             ;   in Loop: Header=BB6_130 Depth=2
	v_and_b32_sdwa v2, v59, v35 dst_sel:DWORD dst_unused:UNUSED_PAD src0_sel:DWORD src1_sel:BYTE_1
	v_and_b32_e32 v3, 3, v2
	v_bfe_u32 v40, v2, 2, 5
	v_ffbh_u32_e32 v30, v3
	v_cmp_eq_u32_e32 vcc_lo, 0, v40
	v_min_u32_e32 v30, 32, v30
	v_subrev_nc_u32_e32 v119, 29, v30
	v_sub_nc_u32_e32 v30, 30, v30
	v_lshlrev_b32_e32 v2, v119, v2
	v_lshlrev_b32_e32 v119, 16, v35
	v_cndmask_b32_e32 v30, v40, v30, vcc_lo
	v_and_b32_e32 v2, 3, v2
	v_lshl_add_u32 v30, v30, 23, 0x37800000
	v_cndmask_b32_e32 v2, v3, v2, vcc_lo
	v_and_b32_e32 v3, 0x80000000, v119
	v_lshlrev_b32_e32 v2, 21, v2
	v_or3_b32 v119, v3, v30, v2
.LBB6_1195:                             ;   in Loop: Header=BB6_130 Depth=2
	s_or_b32 exec_lo, exec_lo, s29
	v_cmp_gt_i16_sdwa s29, v29, v57 src0_sel:BYTE_1 src1_sel:DWORD
	s_mov_b32 s13, 0
	s_and_saveexec_b32 s40, s29
	s_xor_b32 s29, exec_lo, s40
	s_cbranch_execz .LBB6_2670
; %bb.1196:                             ;   in Loop: Header=BB6_130 Depth=2
	v_cmp_eq_u16_sdwa s41, v29, v58 src0_sel:BYTE_1 src1_sel:DWORD
	s_mov_b32 s13, -1
	s_and_saveexec_b32 s40, s41
; %bb.1197:                             ;   in Loop: Header=BB6_130 Depth=2
	s_xor_b32 s13, exec_lo, -1
; %bb.1198:                             ;   in Loop: Header=BB6_130 Depth=2
	s_or_b32 exec_lo, exec_lo, s40
	s_and_b32 s13, s13, exec_lo
	s_or_saveexec_b32 s29, s29
	v_mov_b32_e32 v2, 0x7f800001
	s_xor_b32 exec_lo, exec_lo, s29
	s_cbranch_execnz .LBB6_2671
.LBB6_1199:                             ;   in Loop: Header=BB6_130 Depth=2
	s_or_b32 exec_lo, exec_lo, s29
	s_and_saveexec_b32 s29, s13
	s_cbranch_execz .LBB6_1201
.LBB6_1200:                             ;   in Loop: Header=BB6_130 Depth=2
	v_and_b32_sdwa v2, v59, v29 dst_sel:DWORD dst_unused:UNUSED_PAD src0_sel:DWORD src1_sel:BYTE_1
	v_and_b32_e32 v3, 3, v2
	v_bfe_u32 v42, v2, 2, 5
	v_ffbh_u32_e32 v30, v3
	v_cmp_eq_u32_e32 vcc_lo, 0, v42
	v_min_u32_e32 v30, 32, v30
	v_subrev_nc_u32_e32 v40, 29, v30
	v_sub_nc_u32_e32 v30, 30, v30
	v_lshlrev_b32_e32 v2, v40, v2
	v_lshlrev_b32_e32 v40, 16, v29
	v_cndmask_b32_e32 v30, v42, v30, vcc_lo
	v_and_b32_e32 v2, 3, v2
	v_lshl_add_u32 v30, v30, 23, 0x37800000
	v_cndmask_b32_e32 v2, v3, v2, vcc_lo
	v_and_b32_e32 v3, 0x80000000, v40
	v_lshlrev_b32_e32 v2, 21, v2
	v_or3_b32 v2, v3, v30, v2
.LBB6_1201:                             ;   in Loop: Header=BB6_130 Depth=2
	s_or_b32 exec_lo, exec_lo, s29
	v_max_f32_e32 v2, v2, v2
	v_max_f32_e32 v3, v119, v119
	v_min_f32_e32 v119, v3, v2
.LBB6_1202:                             ;   in Loop: Header=BB6_130 Depth=2
	v_and_b32_e32 v2, 0x7f800000, v119
	v_mov_b32_e32 v94, 0x8000
	s_mov_b32 s29, exec_lo
	v_cmpx_ne_u32_e32 0x7f800000, v2
	s_cbranch_execz .LBB6_1210
; %bb.1203:                             ;   in Loop: Header=BB6_130 Depth=2
	v_mov_b32_e32 v94, 0
	s_mov_b32 s40, exec_lo
	v_cmpx_ne_u32_e32 0, v119
	s_cbranch_execz .LBB6_1209
; %bb.1204:                             ;   in Loop: Header=BB6_130 Depth=2
	v_bfe_u32 v2, v119, 23, 8
	v_and_b32_e32 v3, 0x7fffff, v119
	v_sub_nc_u32_e32 v30, 0x70, v2
	v_cmp_gt_u32_e32 vcc_lo, 0x71, v2
	v_or_b32_e32 v40, 0x800000, v3
	v_cndmask_b32_e32 v30, 0, v30, vcc_lo
	v_cmp_eq_u32_e32 vcc_lo, 0, v2
	v_add_nc_u32_e32 v2, 0xffffff91, v2
	v_cndmask_b32_e64 v30, v30, 0x6f, vcc_lo
	v_cndmask_b32_e32 v3, v40, v3, vcc_lo
	v_cndmask_b32_e64 v2, v2, 0xffffff92, vcc_lo
	v_lshl_add_u32 v40, 0x200000, v30, -1
	v_lshrrev_b32_e32 v42, v30, v3
	v_lshlrev_b32_e64 v95, v30, 0x100000
	v_and_b32_e32 v3, v40, v3
	v_bfe_u32 v94, v42, 21, 1
	v_cmp_eq_u32_e64 s13, v3, v95
	v_add_nc_u32_e32 v40, -1, v94
	v_lshrrev_b32_e32 v94, 23, v42
	v_cndmask_b32_e64 v3, 0, v40, s13
	s_mov_b32 s13, exec_lo
	v_add_nc_u32_e32 v40, v3, v42
	v_add_nc_u32_e32 v3, v30, v2
                                        ; implicit-def: $vgpr30
	v_and_b32_e32 v2, 0x1fffff, v40
	v_xor_b32_e32 v40, 1, v94
	v_add_nc_u32_e32 v2, v2, v42
	v_cmpx_ne_u32_e64 v3, v40
	s_xor_b32 s13, exec_lo, s13
; %bb.1205:                             ;   in Loop: Header=BB6_130 Depth=2
	v_cmp_lt_u32_e32 vcc_lo, 0xffffff, v2
	v_sub_nc_u32_e32 v3, v3, v40
	v_cndmask_b32_e64 v40, 0, 1, vcc_lo
	v_add_co_ci_u32_e64 v30, null, 0, v3, vcc_lo
	v_lshrrev_b32_e32 v2, v40, v2
; %bb.1206:                             ;   in Loop: Header=BB6_130 Depth=2
	s_andn2_saveexec_b32 s13, s13
; %bb.1207:                             ;   in Loop: Header=BB6_130 Depth=2
	v_bfe_u32 v30, v2, 23, 1
; %bb.1208:                             ;   in Loop: Header=BB6_130 Depth=2
	s_or_b32 exec_lo, exec_lo, s13
	v_lshrrev_b32_e32 v2, 21, v2
	v_min_i32_e32 v3, 31, v30
	v_cmp_gt_i32_e32 vcc_lo, 32, v30
	v_and_b32_sdwa v119, v119, v58 dst_sel:DWORD dst_unused:UNUSED_PAD src0_sel:BYTE_3 src1_sel:DWORD
	v_lshlrev_b32_e32 v3, 2, v3
	v_cndmask_b32_e32 v2, 3, v2, vcc_lo
	v_and_b32_e32 v3, 0xfc, v3
	v_and_b32_e32 v40, 3, v2
	v_or_b32_e32 v2, v30, v2
	v_or3_b32 v3, v119, v3, v40
	v_cmp_ne_u32_e32 vcc_lo, 0, v2
	v_lshlrev_b32_e32 v3, 8, v3
	v_cndmask_b32_e32 v94, 0, v3, vcc_lo
.LBB6_1209:                             ;   in Loop: Header=BB6_130 Depth=2
	s_or_b32 exec_lo, exec_lo, s40
.LBB6_1210:                             ;   in Loop: Header=BB6_130 Depth=2
	s_or_b32 exec_lo, exec_lo, s29
	v_and_b32_sdwa v119, v35, v60 dst_sel:DWORD dst_unused:UNUSED_PAD src0_sel:WORD_1 src1_sel:DWORD
	s_andn2_b32 vcc_lo, exec_lo, s28
	s_mov_b32 s29, -1
                                        ; implicit-def: $vgpr40
	v_cmp_lt_i16_e64 s13, 0x7f, v119
	s_cbranch_vccnz .LBB6_1224
; %bb.1211:                             ;   in Loop: Header=BB6_130 Depth=2
	s_mov_b32 s29, 0
	s_and_saveexec_b32 s40, s13
	s_xor_b32 s13, exec_lo, s40
	s_cbranch_execz .LBB6_2672
; %bb.1212:                             ;   in Loop: Header=BB6_130 Depth=2
	s_mov_b32 s29, -1
	s_mov_b32 s40, exec_lo
	v_cmpx_eq_u16_e32 0x80, v119
; %bb.1213:                             ;   in Loop: Header=BB6_130 Depth=2
	s_xor_b32 s29, exec_lo, -1
; %bb.1214:                             ;   in Loop: Header=BB6_130 Depth=2
	s_or_b32 exec_lo, exec_lo, s40
	s_and_b32 s29, s29, exec_lo
	s_or_saveexec_b32 s13, s13
	v_mov_b32_e32 v40, 0x7f800001
	s_xor_b32 exec_lo, exec_lo, s13
	s_cbranch_execnz .LBB6_2673
.LBB6_1215:                             ;   in Loop: Header=BB6_130 Depth=2
	s_or_b32 exec_lo, exec_lo, s13
	s_and_saveexec_b32 s13, s29
	s_cbranch_execz .LBB6_1217
.LBB6_1216:                             ;   in Loop: Header=BB6_130 Depth=2
	v_bfe_u32 v2, v35, 16, 2
	v_bfe_u32 v40, v35, 18, 5
	v_lshlrev_b32_sdwa v42, v61, v35 dst_sel:DWORD dst_unused:UNUSED_PAD src0_sel:DWORD src1_sel:WORD_1
	v_ffbh_u32_e32 v3, v2
	v_cmp_eq_u32_e32 vcc_lo, 0, v40
	v_min_u32_e32 v3, 32, v3
	v_subrev_nc_u32_e32 v30, 29, v3
	v_sub_nc_u32_e32 v3, 30, v3
	v_lshlrev_b32_sdwa v30, v30, v35 dst_sel:DWORD dst_unused:UNUSED_PAD src0_sel:DWORD src1_sel:WORD_1
	v_cndmask_b32_e32 v3, v40, v3, vcc_lo
	v_and_b32_e32 v30, 3, v30
	v_lshl_add_u32 v3, v3, 23, 0x37800000
	v_cndmask_b32_e32 v2, v2, v30, vcc_lo
	v_and_b32_e32 v30, 0x80000000, v42
	v_lshlrev_b32_e32 v2, 21, v2
	v_or3_b32 v40, v30, v3, v2
.LBB6_1217:                             ;   in Loop: Header=BB6_130 Depth=2
	s_or_b32 exec_lo, exec_lo, s13
	v_and_b32_sdwa v3, v29, v60 dst_sel:DWORD dst_unused:UNUSED_PAD src0_sel:WORD_1 src1_sel:DWORD
	s_mov_b32 s13, 0
	s_mov_b32 s29, exec_lo
	v_cmpx_lt_i16_e32 0x7f, v3
	s_xor_b32 s29, exec_lo, s29
	s_cbranch_execz .LBB6_2674
; %bb.1218:                             ;   in Loop: Header=BB6_130 Depth=2
	s_mov_b32 s13, -1
	s_mov_b32 s40, exec_lo
	v_cmpx_eq_u16_e32 0x80, v3
; %bb.1219:                             ;   in Loop: Header=BB6_130 Depth=2
	s_xor_b32 s13, exec_lo, -1
; %bb.1220:                             ;   in Loop: Header=BB6_130 Depth=2
	s_or_b32 exec_lo, exec_lo, s40
	s_and_b32 s13, s13, exec_lo
                                        ; implicit-def: $vgpr3
	s_or_saveexec_b32 s29, s29
	v_mov_b32_e32 v2, 0x7f800001
	s_xor_b32 exec_lo, exec_lo, s29
	s_cbranch_execnz .LBB6_2675
.LBB6_1221:                             ;   in Loop: Header=BB6_130 Depth=2
	s_or_b32 exec_lo, exec_lo, s29
	s_and_saveexec_b32 s29, s13
	s_cbranch_execz .LBB6_1223
.LBB6_1222:                             ;   in Loop: Header=BB6_130 Depth=2
	v_bfe_u32 v2, v29, 16, 2
	v_bfe_u32 v42, v29, 18, 5
	v_lshlrev_b32_sdwa v95, v61, v29 dst_sel:DWORD dst_unused:UNUSED_PAD src0_sel:DWORD src1_sel:WORD_1
	v_ffbh_u32_e32 v3, v2
	v_cmp_eq_u32_e32 vcc_lo, 0, v42
	v_min_u32_e32 v3, 32, v3
	v_subrev_nc_u32_e32 v30, 29, v3
	v_sub_nc_u32_e32 v3, 30, v3
	v_lshlrev_b32_sdwa v30, v30, v29 dst_sel:DWORD dst_unused:UNUSED_PAD src0_sel:DWORD src1_sel:WORD_1
	v_cndmask_b32_e32 v3, v42, v3, vcc_lo
	v_and_b32_e32 v30, 3, v30
	v_lshl_add_u32 v3, v3, 23, 0x37800000
	v_cndmask_b32_e32 v2, v2, v30, vcc_lo
	v_and_b32_e32 v30, 0x80000000, v95
	v_lshlrev_b32_e32 v2, 21, v2
	v_or3_b32 v2, v30, v3, v2
.LBB6_1223:                             ;   in Loop: Header=BB6_130 Depth=2
	s_or_b32 exec_lo, exec_lo, s29
	v_max_f32_e32 v2, v2, v2
	v_max_f32_e32 v3, v40, v40
	s_mov_b32 s29, 0
	v_max_f32_e32 v40, v3, v2
.LBB6_1224:                             ;   in Loop: Header=BB6_130 Depth=2
	s_and_b32 vcc_lo, exec_lo, s29
	s_cbranch_vccz .LBB6_1238
; %bb.1225:                             ;   in Loop: Header=BB6_130 Depth=2
	s_mov_b32 s13, 0
	s_mov_b32 s29, exec_lo
	v_cmpx_lt_i16_e32 0x7f, v119
	s_xor_b32 s29, exec_lo, s29
	s_cbranch_execz .LBB6_2676
; %bb.1226:                             ;   in Loop: Header=BB6_130 Depth=2
	s_mov_b32 s13, -1
	s_mov_b32 s40, exec_lo
	v_cmpx_eq_u16_e32 0x80, v119
; %bb.1227:                             ;   in Loop: Header=BB6_130 Depth=2
	s_xor_b32 s13, exec_lo, -1
; %bb.1228:                             ;   in Loop: Header=BB6_130 Depth=2
	s_or_b32 exec_lo, exec_lo, s40
	s_and_b32 s13, s13, exec_lo
                                        ; implicit-def: $vgpr119
	s_or_saveexec_b32 s29, s29
	v_mov_b32_e32 v40, 0x7f800001
	s_xor_b32 exec_lo, exec_lo, s29
	s_cbranch_execnz .LBB6_2677
.LBB6_1229:                             ;   in Loop: Header=BB6_130 Depth=2
	s_or_b32 exec_lo, exec_lo, s29
	s_and_saveexec_b32 s29, s13
	s_cbranch_execz .LBB6_1231
.LBB6_1230:                             ;   in Loop: Header=BB6_130 Depth=2
	v_bfe_u32 v2, v35, 16, 2
	v_bfe_u32 v119, v35, 18, 5
	v_lshlrev_b32_sdwa v40, v61, v35 dst_sel:DWORD dst_unused:UNUSED_PAD src0_sel:DWORD src1_sel:WORD_1
	v_ffbh_u32_e32 v3, v2
	v_cmp_eq_u32_e32 vcc_lo, 0, v119
	v_min_u32_e32 v3, 32, v3
	v_subrev_nc_u32_e32 v30, 29, v3
	v_sub_nc_u32_e32 v3, 30, v3
	v_lshlrev_b32_sdwa v30, v30, v35 dst_sel:DWORD dst_unused:UNUSED_PAD src0_sel:DWORD src1_sel:WORD_1
	v_cndmask_b32_e32 v3, v119, v3, vcc_lo
	v_and_b32_e32 v30, 3, v30
	v_lshl_add_u32 v3, v3, 23, 0x37800000
	v_cndmask_b32_e32 v2, v2, v30, vcc_lo
	v_and_b32_e32 v30, 0x80000000, v40
	v_lshlrev_b32_e32 v2, 21, v2
	v_or3_b32 v40, v30, v3, v2
.LBB6_1231:                             ;   in Loop: Header=BB6_130 Depth=2
	s_or_b32 exec_lo, exec_lo, s29
	v_and_b32_sdwa v3, v29, v60 dst_sel:DWORD dst_unused:UNUSED_PAD src0_sel:WORD_1 src1_sel:DWORD
	s_mov_b32 s13, 0
	s_mov_b32 s29, exec_lo
	v_cmpx_lt_i16_e32 0x7f, v3
	s_xor_b32 s29, exec_lo, s29
	s_cbranch_execz .LBB6_2678
; %bb.1232:                             ;   in Loop: Header=BB6_130 Depth=2
	s_mov_b32 s13, -1
	s_mov_b32 s40, exec_lo
	v_cmpx_eq_u16_e32 0x80, v3
; %bb.1233:                             ;   in Loop: Header=BB6_130 Depth=2
	s_xor_b32 s13, exec_lo, -1
; %bb.1234:                             ;   in Loop: Header=BB6_130 Depth=2
	s_or_b32 exec_lo, exec_lo, s40
	s_and_b32 s13, s13, exec_lo
                                        ; implicit-def: $vgpr3
	s_or_saveexec_b32 s29, s29
	v_mov_b32_e32 v2, 0x7f800001
	s_xor_b32 exec_lo, exec_lo, s29
	s_cbranch_execnz .LBB6_2679
.LBB6_1235:                             ;   in Loop: Header=BB6_130 Depth=2
	s_or_b32 exec_lo, exec_lo, s29
	s_and_saveexec_b32 s29, s13
	s_cbranch_execz .LBB6_1237
.LBB6_1236:                             ;   in Loop: Header=BB6_130 Depth=2
	v_bfe_u32 v2, v29, 16, 2
	v_bfe_u32 v119, v29, 18, 5
	v_lshlrev_b32_sdwa v42, v61, v29 dst_sel:DWORD dst_unused:UNUSED_PAD src0_sel:DWORD src1_sel:WORD_1
	v_ffbh_u32_e32 v3, v2
	v_cmp_eq_u32_e32 vcc_lo, 0, v119
	v_min_u32_e32 v3, 32, v3
	v_subrev_nc_u32_e32 v30, 29, v3
	v_sub_nc_u32_e32 v3, 30, v3
	v_lshlrev_b32_sdwa v30, v30, v29 dst_sel:DWORD dst_unused:UNUSED_PAD src0_sel:DWORD src1_sel:WORD_1
	v_cndmask_b32_e32 v3, v119, v3, vcc_lo
	v_and_b32_e32 v30, 3, v30
	v_lshl_add_u32 v3, v3, 23, 0x37800000
	v_cndmask_b32_e32 v2, v2, v30, vcc_lo
	v_and_b32_e32 v30, 0x80000000, v42
	v_lshlrev_b32_e32 v2, 21, v2
	v_or3_b32 v2, v30, v3, v2
.LBB6_1237:                             ;   in Loop: Header=BB6_130 Depth=2
	s_or_b32 exec_lo, exec_lo, s29
	v_max_f32_e32 v2, v2, v2
	v_max_f32_e32 v3, v40, v40
	v_min_f32_e32 v40, v3, v2
.LBB6_1238:                             ;   in Loop: Header=BB6_130 Depth=2
	v_and_b32_e32 v2, 0x7f800000, v40
	v_mov_b32_e32 v95, 0x80
	s_mov_b32 s29, exec_lo
	v_cmpx_ne_u32_e32 0x7f800000, v2
	s_cbranch_execz .LBB6_1246
; %bb.1239:                             ;   in Loop: Header=BB6_130 Depth=2
	v_mov_b32_e32 v95, 0
	s_mov_b32 s40, exec_lo
	v_cmpx_ne_u32_e32 0, v40
	s_cbranch_execz .LBB6_1245
; %bb.1240:                             ;   in Loop: Header=BB6_130 Depth=2
	v_bfe_u32 v2, v40, 23, 8
	v_and_b32_e32 v3, 0x7fffff, v40
	v_sub_nc_u32_e32 v30, 0x70, v2
	v_cmp_gt_u32_e32 vcc_lo, 0x71, v2
	v_or_b32_e32 v119, 0x800000, v3
	v_cndmask_b32_e32 v30, 0, v30, vcc_lo
	v_cmp_eq_u32_e32 vcc_lo, 0, v2
	v_add_nc_u32_e32 v2, 0xffffff91, v2
	v_cndmask_b32_e64 v30, v30, 0x6f, vcc_lo
	v_cndmask_b32_e32 v3, v119, v3, vcc_lo
	v_cndmask_b32_e64 v2, v2, 0xffffff92, vcc_lo
	v_lshl_add_u32 v119, 0x200000, v30, -1
	v_lshrrev_b32_e32 v42, v30, v3
	v_lshlrev_b32_e64 v104, v30, 0x100000
	v_and_b32_e32 v3, v119, v3
	v_bfe_u32 v95, v42, 21, 1
	v_cmp_eq_u32_e64 s13, v3, v104
	v_add_nc_u32_e32 v119, -1, v95
	v_lshrrev_b32_e32 v95, 23, v42
	v_cndmask_b32_e64 v3, 0, v119, s13
	s_mov_b32 s13, exec_lo
	v_add_nc_u32_e32 v119, v3, v42
	v_add_nc_u32_e32 v3, v30, v2
                                        ; implicit-def: $vgpr30
	v_and_b32_e32 v2, 0x1fffff, v119
	v_xor_b32_e32 v119, 1, v95
	v_add_nc_u32_e32 v2, v2, v42
	v_cmpx_ne_u32_e64 v3, v119
	s_xor_b32 s13, exec_lo, s13
; %bb.1241:                             ;   in Loop: Header=BB6_130 Depth=2
	v_cmp_lt_u32_e32 vcc_lo, 0xffffff, v2
	v_sub_nc_u32_e32 v3, v3, v119
	v_cndmask_b32_e64 v119, 0, 1, vcc_lo
	v_add_co_ci_u32_e64 v30, null, 0, v3, vcc_lo
	v_lshrrev_b32_e32 v2, v119, v2
; %bb.1242:                             ;   in Loop: Header=BB6_130 Depth=2
	s_andn2_saveexec_b32 s13, s13
; %bb.1243:                             ;   in Loop: Header=BB6_130 Depth=2
	v_bfe_u32 v30, v2, 23, 1
; %bb.1244:                             ;   in Loop: Header=BB6_130 Depth=2
	s_or_b32 exec_lo, exec_lo, s13
	v_lshrrev_b32_e32 v2, 21, v2
	v_min_i32_e32 v3, 31, v30
	v_cmp_gt_i32_e32 vcc_lo, 32, v30
	v_and_b32_sdwa v119, v40, v58 dst_sel:DWORD dst_unused:UNUSED_PAD src0_sel:BYTE_3 src1_sel:DWORD
	v_lshlrev_b32_e32 v3, 2, v3
	v_cndmask_b32_e32 v2, 3, v2, vcc_lo
	v_and_b32_e32 v3, 0xfc, v3
	v_and_b32_e32 v40, 3, v2
	v_or_b32_e32 v2, v30, v2
	v_or3_b32 v3, v3, v119, v40
	v_cmp_ne_u32_e32 vcc_lo, 0, v2
	v_cndmask_b32_e32 v95, 0, v3, vcc_lo
.LBB6_1245:                             ;   in Loop: Header=BB6_130 Depth=2
	s_or_b32 exec_lo, exec_lo, s40
.LBB6_1246:                             ;   in Loop: Header=BB6_130 Depth=2
	s_or_b32 exec_lo, exec_lo, s29
	v_cmp_gt_i16_sdwa s29, v35, v57 src0_sel:BYTE_3 src1_sel:DWORD
	s_andn2_b32 vcc_lo, exec_lo, s28
	s_mov_b32 s13, -1
                                        ; implicit-def: $vgpr119
	s_cbranch_vccnz .LBB6_1260
; %bb.1247:                             ;   in Loop: Header=BB6_130 Depth=2
	s_mov_b32 s13, 0
	s_and_saveexec_b32 s40, s29
	s_xor_b32 s29, exec_lo, s40
	s_cbranch_execz .LBB6_2680
; %bb.1248:                             ;   in Loop: Header=BB6_130 Depth=2
	v_cmp_eq_u16_sdwa s41, v35, v58 src0_sel:BYTE_3 src1_sel:DWORD
	s_mov_b32 s13, -1
	s_and_saveexec_b32 s40, s41
; %bb.1249:                             ;   in Loop: Header=BB6_130 Depth=2
	s_xor_b32 s13, exec_lo, -1
; %bb.1250:                             ;   in Loop: Header=BB6_130 Depth=2
	s_or_b32 exec_lo, exec_lo, s40
	s_and_b32 s13, s13, exec_lo
	s_or_saveexec_b32 s29, s29
	v_mov_b32_e32 v119, 0x7f800001
	s_xor_b32 exec_lo, exec_lo, s29
	s_cbranch_execnz .LBB6_2681
.LBB6_1251:                             ;   in Loop: Header=BB6_130 Depth=2
	s_or_b32 exec_lo, exec_lo, s29
	s_and_saveexec_b32 s29, s13
	s_cbranch_execz .LBB6_1253
.LBB6_1252:                             ;   in Loop: Header=BB6_130 Depth=2
	v_bfe_u32 v2, v35, 24, 2
	v_bfe_u32 v119, v35, 26, 5
	v_ffbh_u32_e32 v3, v2
	v_cmp_eq_u32_e32 vcc_lo, 0, v119
	v_min_u32_e32 v3, 32, v3
	v_subrev_nc_u32_e32 v30, 29, v3
	v_sub_nc_u32_e32 v3, 30, v3
	v_lshlrev_b32_sdwa v30, v30, v35 dst_sel:DWORD dst_unused:UNUSED_PAD src0_sel:DWORD src1_sel:BYTE_3
	v_cndmask_b32_e32 v3, v119, v3, vcc_lo
	v_and_b32_e32 v30, 3, v30
	v_lshl_add_u32 v3, v3, 23, 0x37800000
	v_cndmask_b32_e32 v2, v2, v30, vcc_lo
	v_and_b32_e32 v30, 0x80000000, v35
	v_lshlrev_b32_e32 v2, 21, v2
	v_or3_b32 v119, v30, v3, v2
.LBB6_1253:                             ;   in Loop: Header=BB6_130 Depth=2
	s_or_b32 exec_lo, exec_lo, s29
	v_cmp_gt_i16_sdwa s29, v29, v57 src0_sel:BYTE_3 src1_sel:DWORD
	s_mov_b32 s13, 0
	s_and_saveexec_b32 s40, s29
	s_xor_b32 s29, exec_lo, s40
	s_cbranch_execz .LBB6_2682
; %bb.1254:                             ;   in Loop: Header=BB6_130 Depth=2
	v_cmp_eq_u16_sdwa s41, v29, v58 src0_sel:BYTE_3 src1_sel:DWORD
	s_mov_b32 s13, -1
	s_and_saveexec_b32 s40, s41
; %bb.1255:                             ;   in Loop: Header=BB6_130 Depth=2
	s_xor_b32 s13, exec_lo, -1
; %bb.1256:                             ;   in Loop: Header=BB6_130 Depth=2
	s_or_b32 exec_lo, exec_lo, s40
	s_and_b32 s13, s13, exec_lo
	s_or_saveexec_b32 s29, s29
	v_mov_b32_e32 v2, 0x7f800001
	s_xor_b32 exec_lo, exec_lo, s29
	s_cbranch_execnz .LBB6_2683
.LBB6_1257:                             ;   in Loop: Header=BB6_130 Depth=2
	s_or_b32 exec_lo, exec_lo, s29
	s_and_saveexec_b32 s29, s13
	s_cbranch_execz .LBB6_1259
.LBB6_1258:                             ;   in Loop: Header=BB6_130 Depth=2
	v_bfe_u32 v2, v29, 24, 2
	v_bfe_u32 v40, v29, 26, 5
	v_ffbh_u32_e32 v3, v2
	v_cmp_eq_u32_e32 vcc_lo, 0, v40
	v_min_u32_e32 v3, 32, v3
	v_subrev_nc_u32_e32 v30, 29, v3
	v_sub_nc_u32_e32 v3, 30, v3
	v_lshlrev_b32_sdwa v30, v30, v29 dst_sel:DWORD dst_unused:UNUSED_PAD src0_sel:DWORD src1_sel:BYTE_3
	v_cndmask_b32_e32 v3, v40, v3, vcc_lo
	v_and_b32_e32 v30, 3, v30
	v_lshl_add_u32 v3, v3, 23, 0x37800000
	v_cndmask_b32_e32 v2, v2, v30, vcc_lo
	v_and_b32_e32 v30, 0x80000000, v29
	v_lshlrev_b32_e32 v2, 21, v2
	v_or3_b32 v2, v30, v3, v2
.LBB6_1259:                             ;   in Loop: Header=BB6_130 Depth=2
	s_or_b32 exec_lo, exec_lo, s29
	v_max_f32_e32 v2, v2, v2
	v_max_f32_e32 v3, v119, v119
	s_mov_b32 s13, 0
	v_max_f32_e32 v119, v3, v2
.LBB6_1260:                             ;   in Loop: Header=BB6_130 Depth=2
	s_and_b32 vcc_lo, exec_lo, s13
	s_cbranch_vccz .LBB6_1274
; %bb.1261:                             ;   in Loop: Header=BB6_130 Depth=2
	v_cmp_gt_i16_sdwa s29, v35, v57 src0_sel:BYTE_3 src1_sel:DWORD
	s_mov_b32 s13, 0
	s_and_saveexec_b32 s40, s29
	s_xor_b32 s29, exec_lo, s40
	s_cbranch_execz .LBB6_2684
; %bb.1262:                             ;   in Loop: Header=BB6_130 Depth=2
	v_cmp_eq_u16_sdwa s41, v35, v58 src0_sel:BYTE_3 src1_sel:DWORD
	s_mov_b32 s13, -1
	s_and_saveexec_b32 s40, s41
; %bb.1263:                             ;   in Loop: Header=BB6_130 Depth=2
	s_xor_b32 s13, exec_lo, -1
; %bb.1264:                             ;   in Loop: Header=BB6_130 Depth=2
	s_or_b32 exec_lo, exec_lo, s40
	s_and_b32 s13, s13, exec_lo
	s_or_saveexec_b32 s29, s29
	v_mov_b32_e32 v119, 0x7f800001
	s_xor_b32 exec_lo, exec_lo, s29
	s_cbranch_execnz .LBB6_2685
.LBB6_1265:                             ;   in Loop: Header=BB6_130 Depth=2
	s_or_b32 exec_lo, exec_lo, s29
	s_and_saveexec_b32 s29, s13
	s_cbranch_execz .LBB6_1267
.LBB6_1266:                             ;   in Loop: Header=BB6_130 Depth=2
	v_bfe_u32 v2, v35, 24, 2
	v_bfe_u32 v119, v35, 26, 5
	v_ffbh_u32_e32 v3, v2
	v_cmp_eq_u32_e32 vcc_lo, 0, v119
	v_min_u32_e32 v3, 32, v3
	v_subrev_nc_u32_e32 v30, 29, v3
	v_sub_nc_u32_e32 v3, 30, v3
	v_lshlrev_b32_sdwa v30, v30, v35 dst_sel:DWORD dst_unused:UNUSED_PAD src0_sel:DWORD src1_sel:BYTE_3
	v_cndmask_b32_e32 v3, v119, v3, vcc_lo
	v_and_b32_e32 v30, 3, v30
	v_lshl_add_u32 v3, v3, 23, 0x37800000
	v_cndmask_b32_e32 v2, v2, v30, vcc_lo
	v_and_b32_e32 v30, 0x80000000, v35
	v_lshlrev_b32_e32 v2, 21, v2
	v_or3_b32 v119, v30, v3, v2
.LBB6_1267:                             ;   in Loop: Header=BB6_130 Depth=2
	s_or_b32 exec_lo, exec_lo, s29
	v_cmp_gt_i16_sdwa s29, v29, v57 src0_sel:BYTE_3 src1_sel:DWORD
	s_mov_b32 s13, 0
	s_and_saveexec_b32 s40, s29
	s_xor_b32 s29, exec_lo, s40
	s_cbranch_execz .LBB6_2686
; %bb.1268:                             ;   in Loop: Header=BB6_130 Depth=2
	v_cmp_eq_u16_sdwa s41, v29, v58 src0_sel:BYTE_3 src1_sel:DWORD
	s_mov_b32 s13, -1
	s_and_saveexec_b32 s40, s41
; %bb.1269:                             ;   in Loop: Header=BB6_130 Depth=2
	s_xor_b32 s13, exec_lo, -1
; %bb.1270:                             ;   in Loop: Header=BB6_130 Depth=2
	s_or_b32 exec_lo, exec_lo, s40
	s_and_b32 s13, s13, exec_lo
	s_or_saveexec_b32 s29, s29
	v_mov_b32_e32 v2, 0x7f800001
	s_xor_b32 exec_lo, exec_lo, s29
	s_cbranch_execnz .LBB6_2687
.LBB6_1271:                             ;   in Loop: Header=BB6_130 Depth=2
	s_or_b32 exec_lo, exec_lo, s29
	s_and_saveexec_b32 s29, s13
	s_cbranch_execz .LBB6_1273
.LBB6_1272:                             ;   in Loop: Header=BB6_130 Depth=2
	v_bfe_u32 v2, v29, 24, 2
	v_bfe_u32 v35, v29, 26, 5
	v_ffbh_u32_e32 v3, v2
	v_cmp_eq_u32_e32 vcc_lo, 0, v35
	v_min_u32_e32 v3, 32, v3
	v_subrev_nc_u32_e32 v30, 29, v3
	v_sub_nc_u32_e32 v3, 30, v3
	v_lshlrev_b32_sdwa v30, v30, v29 dst_sel:DWORD dst_unused:UNUSED_PAD src0_sel:DWORD src1_sel:BYTE_3
	v_cndmask_b32_e32 v3, v35, v3, vcc_lo
	v_and_b32_e32 v29, 0x80000000, v29
	v_and_b32_e32 v30, 3, v30
	v_lshl_add_u32 v3, v3, 23, 0x37800000
	v_cndmask_b32_e32 v2, v2, v30, vcc_lo
	v_lshlrev_b32_e32 v2, 21, v2
	v_or3_b32 v2, v29, v3, v2
.LBB6_1273:                             ;   in Loop: Header=BB6_130 Depth=2
	s_or_b32 exec_lo, exec_lo, s29
	v_max_f32_e32 v2, v2, v2
	v_max_f32_e32 v3, v119, v119
	v_min_f32_e32 v119, v3, v2
.LBB6_1274:                             ;   in Loop: Header=BB6_130 Depth=2
	v_and_b32_e32 v2, 0x7f800000, v119
	v_mov_b32_e32 v29, 0x8000
	s_mov_b32 s29, exec_lo
	v_cmpx_ne_u32_e32 0x7f800000, v2
	s_cbranch_execz .LBB6_1282
; %bb.1275:                             ;   in Loop: Header=BB6_130 Depth=2
	v_mov_b32_e32 v29, 0
	s_mov_b32 s40, exec_lo
	v_cmpx_ne_u32_e32 0, v119
	s_cbranch_execz .LBB6_1281
; %bb.1276:                             ;   in Loop: Header=BB6_130 Depth=2
	v_bfe_u32 v2, v119, 23, 8
	v_and_b32_e32 v3, 0x7fffff, v119
	v_sub_nc_u32_e32 v29, 0x70, v2
	v_cmp_gt_u32_e32 vcc_lo, 0x71, v2
	v_or_b32_e32 v30, 0x800000, v3
	v_cndmask_b32_e32 v29, 0, v29, vcc_lo
	v_cmp_eq_u32_e32 vcc_lo, 0, v2
	v_add_nc_u32_e32 v2, 0xffffff91, v2
	v_cndmask_b32_e64 v29, v29, 0x6f, vcc_lo
	v_cndmask_b32_e32 v3, v30, v3, vcc_lo
	v_cndmask_b32_e64 v2, v2, 0xffffff92, vcc_lo
	v_lshl_add_u32 v30, 0x200000, v29, -1
	v_lshrrev_b32_e32 v35, v29, v3
	v_lshlrev_b32_e64 v42, v29, 0x100000
	v_and_b32_e32 v3, v30, v3
	v_bfe_u32 v40, v35, 21, 1
	v_cmp_eq_u32_e64 s13, v3, v42
	v_add_nc_u32_e32 v30, -1, v40
	v_lshrrev_b32_e32 v40, 23, v35
	v_cndmask_b32_e64 v3, 0, v30, s13
	s_mov_b32 s13, exec_lo
	v_add_nc_u32_e32 v30, v3, v35
	v_add_nc_u32_e32 v3, v29, v2
                                        ; implicit-def: $vgpr29
	v_and_b32_e32 v2, 0x1fffff, v30
	v_xor_b32_e32 v30, 1, v40
	v_add_nc_u32_e32 v2, v2, v35
	v_cmpx_ne_u32_e64 v3, v30
	s_xor_b32 s13, exec_lo, s13
; %bb.1277:                             ;   in Loop: Header=BB6_130 Depth=2
	v_cmp_lt_u32_e32 vcc_lo, 0xffffff, v2
	v_sub_nc_u32_e32 v3, v3, v30
	v_cndmask_b32_e64 v30, 0, 1, vcc_lo
	v_add_co_ci_u32_e64 v29, null, 0, v3, vcc_lo
	v_lshrrev_b32_e32 v2, v30, v2
; %bb.1278:                             ;   in Loop: Header=BB6_130 Depth=2
	s_andn2_saveexec_b32 s13, s13
; %bb.1279:                             ;   in Loop: Header=BB6_130 Depth=2
	v_bfe_u32 v29, v2, 23, 1
; %bb.1280:                             ;   in Loop: Header=BB6_130 Depth=2
	s_or_b32 exec_lo, exec_lo, s13
	v_lshrrev_b32_e32 v2, 21, v2
	v_min_i32_e32 v3, 31, v29
	v_cmp_gt_i32_e32 vcc_lo, 32, v29
	v_and_b32_sdwa v30, v119, v58 dst_sel:DWORD dst_unused:UNUSED_PAD src0_sel:BYTE_3 src1_sel:DWORD
	v_lshlrev_b32_e32 v3, 2, v3
	v_cndmask_b32_e32 v2, 3, v2, vcc_lo
	v_and_b32_e32 v3, 0xfc, v3
	v_and_b32_e32 v35, 3, v2
	v_or_b32_e32 v2, v29, v2
	v_or3_b32 v3, v30, v3, v35
	v_cmp_ne_u32_e32 vcc_lo, 0, v2
	v_lshlrev_b32_e32 v3, 8, v3
	v_cndmask_b32_e32 v29, 0, v3, vcc_lo
.LBB6_1281:                             ;   in Loop: Header=BB6_130 Depth=2
	s_or_b32 exec_lo, exec_lo, s40
.LBB6_1282:                             ;   in Loop: Header=BB6_130 Depth=2
	s_or_b32 exec_lo, exec_lo, s29
	v_cmp_gt_i16_sdwa s29, v22, v57 src0_sel:BYTE_0 src1_sel:DWORD
	s_andn2_b32 vcc_lo, exec_lo, s28
	s_mov_b32 s13, -1
                                        ; implicit-def: $vgpr119
	s_cbranch_vccnz .LBB6_1296
; %bb.1283:                             ;   in Loop: Header=BB6_130 Depth=2
	s_mov_b32 s13, 0
	s_and_saveexec_b32 s40, s29
	s_xor_b32 s29, exec_lo, s40
	s_cbranch_execz .LBB6_2688
; %bb.1284:                             ;   in Loop: Header=BB6_130 Depth=2
	v_cmp_eq_u16_sdwa s41, v22, v58 src0_sel:BYTE_0 src1_sel:DWORD
	s_mov_b32 s13, -1
	s_and_saveexec_b32 s40, s41
; %bb.1285:                             ;   in Loop: Header=BB6_130 Depth=2
	s_xor_b32 s13, exec_lo, -1
; %bb.1286:                             ;   in Loop: Header=BB6_130 Depth=2
	s_or_b32 exec_lo, exec_lo, s40
	s_and_b32 s13, s13, exec_lo
	s_or_saveexec_b32 s29, s29
	v_mov_b32_e32 v35, 0x7f800001
	s_xor_b32 exec_lo, exec_lo, s29
	s_cbranch_execnz .LBB6_2689
.LBB6_1287:                             ;   in Loop: Header=BB6_130 Depth=2
	s_or_b32 exec_lo, exec_lo, s29
	s_and_saveexec_b32 s29, s13
	s_cbranch_execz .LBB6_1289
.LBB6_1288:                             ;   in Loop: Header=BB6_130 Depth=2
	v_and_b32_e32 v2, 3, v22
	v_bfe_u32 v35, v22, 2, 5
	v_lshlrev_b32_e32 v119, 24, v22
	v_ffbh_u32_e32 v3, v2
	v_cmp_eq_u32_e32 vcc_lo, 0, v35
	v_min_u32_e32 v3, 32, v3
	v_subrev_nc_u32_e32 v30, 29, v3
	v_sub_nc_u32_e32 v3, 30, v3
	v_lshlrev_b32_e32 v30, v30, v22
	v_cndmask_b32_e32 v3, v35, v3, vcc_lo
	v_and_b32_e32 v30, 3, v30
	v_lshl_add_u32 v3, v3, 23, 0x37800000
	v_cndmask_b32_e32 v2, v2, v30, vcc_lo
	v_and_b32_e32 v30, 0x80000000, v119
	v_lshlrev_b32_e32 v2, 21, v2
	v_or3_b32 v35, v30, v3, v2
.LBB6_1289:                             ;   in Loop: Header=BB6_130 Depth=2
	s_or_b32 exec_lo, exec_lo, s29
	s_waitcnt vmcnt(1)
	v_cmp_gt_i16_sdwa s29, v18, v57 src0_sel:BYTE_0 src1_sel:DWORD
	s_mov_b32 s13, 0
	s_and_saveexec_b32 s40, s29
	s_xor_b32 s29, exec_lo, s40
	s_cbranch_execz .LBB6_2690
; %bb.1290:                             ;   in Loop: Header=BB6_130 Depth=2
	v_cmp_eq_u16_sdwa s41, v18, v58 src0_sel:BYTE_0 src1_sel:DWORD
	s_mov_b32 s13, -1
	s_and_saveexec_b32 s40, s41
; %bb.1291:                             ;   in Loop: Header=BB6_130 Depth=2
	s_xor_b32 s13, exec_lo, -1
; %bb.1292:                             ;   in Loop: Header=BB6_130 Depth=2
	s_or_b32 exec_lo, exec_lo, s40
	s_and_b32 s13, s13, exec_lo
	s_or_saveexec_b32 s29, s29
	v_mov_b32_e32 v2, 0x7f800001
	s_xor_b32 exec_lo, exec_lo, s29
	s_cbranch_execnz .LBB6_2691
.LBB6_1293:                             ;   in Loop: Header=BB6_130 Depth=2
	s_or_b32 exec_lo, exec_lo, s29
	s_and_saveexec_b32 s29, s13
	s_cbranch_execz .LBB6_1295
.LBB6_1294:                             ;   in Loop: Header=BB6_130 Depth=2
	v_and_b32_e32 v2, 3, v18
	v_bfe_u32 v119, v18, 2, 5
	v_lshlrev_b32_e32 v40, 24, v18
	v_ffbh_u32_e32 v3, v2
	v_cmp_eq_u32_e32 vcc_lo, 0, v119
	v_min_u32_e32 v3, 32, v3
	v_subrev_nc_u32_e32 v30, 29, v3
	v_sub_nc_u32_e32 v3, 30, v3
	v_lshlrev_b32_e32 v30, v30, v18
	v_cndmask_b32_e32 v3, v119, v3, vcc_lo
	v_and_b32_e32 v30, 3, v30
	v_lshl_add_u32 v3, v3, 23, 0x37800000
	v_cndmask_b32_e32 v2, v2, v30, vcc_lo
	v_and_b32_e32 v30, 0x80000000, v40
	v_lshlrev_b32_e32 v2, 21, v2
	v_or3_b32 v2, v30, v3, v2
.LBB6_1295:                             ;   in Loop: Header=BB6_130 Depth=2
	s_or_b32 exec_lo, exec_lo, s29
	v_max_f32_e32 v2, v2, v2
	v_max_f32_e32 v3, v35, v35
	s_mov_b32 s13, 0
	v_max_f32_e32 v119, v3, v2
.LBB6_1296:                             ;   in Loop: Header=BB6_130 Depth=2
	s_and_b32 vcc_lo, exec_lo, s13
	s_cbranch_vccz .LBB6_1310
; %bb.1297:                             ;   in Loop: Header=BB6_130 Depth=2
	v_cmp_gt_i16_sdwa s29, v22, v57 src0_sel:BYTE_0 src1_sel:DWORD
	s_mov_b32 s13, 0
	s_and_saveexec_b32 s40, s29
	s_xor_b32 s29, exec_lo, s40
	s_cbranch_execz .LBB6_2692
; %bb.1298:                             ;   in Loop: Header=BB6_130 Depth=2
	v_cmp_eq_u16_sdwa s41, v22, v58 src0_sel:BYTE_0 src1_sel:DWORD
	s_mov_b32 s13, -1
	s_and_saveexec_b32 s40, s41
; %bb.1299:                             ;   in Loop: Header=BB6_130 Depth=2
	s_xor_b32 s13, exec_lo, -1
; %bb.1300:                             ;   in Loop: Header=BB6_130 Depth=2
	s_or_b32 exec_lo, exec_lo, s40
	s_and_b32 s13, s13, exec_lo
	s_or_saveexec_b32 s29, s29
	v_mov_b32_e32 v35, 0x7f800001
	s_xor_b32 exec_lo, exec_lo, s29
	s_cbranch_execnz .LBB6_2693
.LBB6_1301:                             ;   in Loop: Header=BB6_130 Depth=2
	s_or_b32 exec_lo, exec_lo, s29
	s_and_saveexec_b32 s29, s13
	s_cbranch_execz .LBB6_1303
.LBB6_1302:                             ;   in Loop: Header=BB6_130 Depth=2
	v_and_b32_e32 v2, 3, v22
	v_bfe_u32 v35, v22, 2, 5
	v_lshlrev_b32_e32 v119, 24, v22
	v_ffbh_u32_e32 v3, v2
	v_cmp_eq_u32_e32 vcc_lo, 0, v35
	v_min_u32_e32 v3, 32, v3
	v_subrev_nc_u32_e32 v30, 29, v3
	v_sub_nc_u32_e32 v3, 30, v3
	v_lshlrev_b32_e32 v30, v30, v22
	v_cndmask_b32_e32 v3, v35, v3, vcc_lo
	v_and_b32_e32 v30, 3, v30
	v_lshl_add_u32 v3, v3, 23, 0x37800000
	v_cndmask_b32_e32 v2, v2, v30, vcc_lo
	v_and_b32_e32 v30, 0x80000000, v119
	v_lshlrev_b32_e32 v2, 21, v2
	v_or3_b32 v35, v30, v3, v2
.LBB6_1303:                             ;   in Loop: Header=BB6_130 Depth=2
	s_or_b32 exec_lo, exec_lo, s29
	s_waitcnt vmcnt(1)
	v_cmp_gt_i16_sdwa s29, v18, v57 src0_sel:BYTE_0 src1_sel:DWORD
	s_mov_b32 s13, 0
	s_and_saveexec_b32 s40, s29
	s_xor_b32 s29, exec_lo, s40
	s_cbranch_execz .LBB6_2694
; %bb.1304:                             ;   in Loop: Header=BB6_130 Depth=2
	v_cmp_eq_u16_sdwa s41, v18, v58 src0_sel:BYTE_0 src1_sel:DWORD
	s_mov_b32 s13, -1
	s_and_saveexec_b32 s40, s41
; %bb.1305:                             ;   in Loop: Header=BB6_130 Depth=2
	s_xor_b32 s13, exec_lo, -1
; %bb.1306:                             ;   in Loop: Header=BB6_130 Depth=2
	s_or_b32 exec_lo, exec_lo, s40
	s_and_b32 s13, s13, exec_lo
	s_or_saveexec_b32 s29, s29
	v_mov_b32_e32 v2, 0x7f800001
	s_xor_b32 exec_lo, exec_lo, s29
	s_cbranch_execnz .LBB6_2695
.LBB6_1307:                             ;   in Loop: Header=BB6_130 Depth=2
	s_or_b32 exec_lo, exec_lo, s29
	s_and_saveexec_b32 s29, s13
	s_cbranch_execz .LBB6_1309
.LBB6_1308:                             ;   in Loop: Header=BB6_130 Depth=2
	v_and_b32_e32 v2, 3, v18
	v_bfe_u32 v119, v18, 2, 5
	v_lshlrev_b32_e32 v40, 24, v18
	v_ffbh_u32_e32 v3, v2
	v_cmp_eq_u32_e32 vcc_lo, 0, v119
	v_min_u32_e32 v3, 32, v3
	v_subrev_nc_u32_e32 v30, 29, v3
	v_sub_nc_u32_e32 v3, 30, v3
	v_lshlrev_b32_e32 v30, v30, v18
	v_cndmask_b32_e32 v3, v119, v3, vcc_lo
	v_and_b32_e32 v30, 3, v30
	v_lshl_add_u32 v3, v3, 23, 0x37800000
	v_cndmask_b32_e32 v2, v2, v30, vcc_lo
	v_and_b32_e32 v30, 0x80000000, v40
	v_lshlrev_b32_e32 v2, 21, v2
	v_or3_b32 v2, v30, v3, v2
.LBB6_1309:                             ;   in Loop: Header=BB6_130 Depth=2
	s_or_b32 exec_lo, exec_lo, s29
	v_max_f32_e32 v2, v2, v2
	v_max_f32_e32 v3, v35, v35
	v_min_f32_e32 v119, v3, v2
.LBB6_1310:                             ;   in Loop: Header=BB6_130 Depth=2
	v_and_b32_e32 v2, 0x7f800000, v119
	v_mov_b32_e32 v35, 0x80
	s_mov_b32 s29, exec_lo
	v_cmpx_ne_u32_e32 0x7f800000, v2
	s_cbranch_execz .LBB6_1318
; %bb.1311:                             ;   in Loop: Header=BB6_130 Depth=2
	v_mov_b32_e32 v35, 0
	s_mov_b32 s40, exec_lo
	v_cmpx_ne_u32_e32 0, v119
	s_cbranch_execz .LBB6_1317
; %bb.1312:                             ;   in Loop: Header=BB6_130 Depth=2
	v_bfe_u32 v2, v119, 23, 8
	v_and_b32_e32 v3, 0x7fffff, v119
	v_sub_nc_u32_e32 v30, 0x70, v2
	v_cmp_gt_u32_e32 vcc_lo, 0x71, v2
	v_or_b32_e32 v35, 0x800000, v3
	v_cndmask_b32_e32 v30, 0, v30, vcc_lo
	v_cmp_eq_u32_e32 vcc_lo, 0, v2
	v_add_nc_u32_e32 v2, 0xffffff91, v2
	v_cndmask_b32_e64 v30, v30, 0x6f, vcc_lo
	v_cndmask_b32_e32 v3, v35, v3, vcc_lo
	v_cndmask_b32_e64 v2, v2, 0xffffff92, vcc_lo
	v_lshl_add_u32 v35, 0x200000, v30, -1
	v_lshrrev_b32_e32 v40, v30, v3
	v_lshlrev_b32_e64 v104, v30, 0x100000
	v_and_b32_e32 v3, v35, v3
	v_bfe_u32 v42, v40, 21, 1
	v_cmp_eq_u32_e64 s13, v3, v104
	v_add_nc_u32_e32 v35, -1, v42
	v_lshrrev_b32_e32 v42, 23, v40
	v_cndmask_b32_e64 v3, 0, v35, s13
	s_mov_b32 s13, exec_lo
	v_add_nc_u32_e32 v35, v3, v40
	v_add_nc_u32_e32 v3, v30, v2
                                        ; implicit-def: $vgpr30
	v_and_b32_e32 v2, 0x1fffff, v35
	v_xor_b32_e32 v35, 1, v42
	v_add_nc_u32_e32 v2, v2, v40
	v_cmpx_ne_u32_e64 v3, v35
	s_xor_b32 s13, exec_lo, s13
; %bb.1313:                             ;   in Loop: Header=BB6_130 Depth=2
	v_cmp_lt_u32_e32 vcc_lo, 0xffffff, v2
	v_sub_nc_u32_e32 v3, v3, v35
	v_cndmask_b32_e64 v35, 0, 1, vcc_lo
	v_add_co_ci_u32_e64 v30, null, 0, v3, vcc_lo
	v_lshrrev_b32_e32 v2, v35, v2
; %bb.1314:                             ;   in Loop: Header=BB6_130 Depth=2
	s_andn2_saveexec_b32 s13, s13
; %bb.1315:                             ;   in Loop: Header=BB6_130 Depth=2
	v_bfe_u32 v30, v2, 23, 1
; %bb.1316:                             ;   in Loop: Header=BB6_130 Depth=2
	s_or_b32 exec_lo, exec_lo, s13
	v_lshrrev_b32_e32 v2, 21, v2
	v_min_i32_e32 v3, 31, v30
	v_cmp_gt_i32_e32 vcc_lo, 32, v30
	v_and_b32_sdwa v35, v119, v58 dst_sel:DWORD dst_unused:UNUSED_PAD src0_sel:BYTE_3 src1_sel:DWORD
	v_lshlrev_b32_e32 v3, 2, v3
	v_cndmask_b32_e32 v2, 3, v2, vcc_lo
	v_and_b32_e32 v3, 0xfc, v3
	v_and_b32_e32 v119, 3, v2
	v_or_b32_e32 v2, v30, v2
	v_or3_b32 v3, v3, v35, v119
	v_cmp_ne_u32_e32 vcc_lo, 0, v2
	v_cndmask_b32_e32 v35, 0, v3, vcc_lo
.LBB6_1317:                             ;   in Loop: Header=BB6_130 Depth=2
	s_or_b32 exec_lo, exec_lo, s40
.LBB6_1318:                             ;   in Loop: Header=BB6_130 Depth=2
	s_or_b32 exec_lo, exec_lo, s29
	v_cmp_gt_i16_sdwa s29, v22, v57 src0_sel:BYTE_1 src1_sel:DWORD
	s_andn2_b32 vcc_lo, exec_lo, s28
	s_mov_b32 s13, -1
                                        ; implicit-def: $vgpr119
	s_cbranch_vccnz .LBB6_1332
; %bb.1319:                             ;   in Loop: Header=BB6_130 Depth=2
	s_mov_b32 s13, 0
	s_and_saveexec_b32 s40, s29
	s_xor_b32 s29, exec_lo, s40
	s_cbranch_execz .LBB6_2696
; %bb.1320:                             ;   in Loop: Header=BB6_130 Depth=2
	v_cmp_eq_u16_sdwa s41, v22, v58 src0_sel:BYTE_1 src1_sel:DWORD
	s_mov_b32 s13, -1
	s_and_saveexec_b32 s40, s41
; %bb.1321:                             ;   in Loop: Header=BB6_130 Depth=2
	s_xor_b32 s13, exec_lo, -1
; %bb.1322:                             ;   in Loop: Header=BB6_130 Depth=2
	s_or_b32 exec_lo, exec_lo, s40
	s_and_b32 s13, s13, exec_lo
	s_or_saveexec_b32 s29, s29
	v_mov_b32_e32 v119, 0x7f800001
	s_xor_b32 exec_lo, exec_lo, s29
	s_cbranch_execnz .LBB6_2697
.LBB6_1323:                             ;   in Loop: Header=BB6_130 Depth=2
	s_or_b32 exec_lo, exec_lo, s29
	s_and_saveexec_b32 s29, s13
	s_cbranch_execz .LBB6_1325
.LBB6_1324:                             ;   in Loop: Header=BB6_130 Depth=2
	v_and_b32_sdwa v2, v59, v22 dst_sel:DWORD dst_unused:UNUSED_PAD src0_sel:DWORD src1_sel:BYTE_1
	v_and_b32_e32 v3, 3, v2
	v_bfe_u32 v40, v2, 2, 5
	v_ffbh_u32_e32 v30, v3
	v_cmp_eq_u32_e32 vcc_lo, 0, v40
	v_min_u32_e32 v30, 32, v30
	v_subrev_nc_u32_e32 v119, 29, v30
	v_sub_nc_u32_e32 v30, 30, v30
	v_lshlrev_b32_e32 v2, v119, v2
	v_lshlrev_b32_e32 v119, 16, v22
	v_cndmask_b32_e32 v30, v40, v30, vcc_lo
	v_and_b32_e32 v2, 3, v2
	v_lshl_add_u32 v30, v30, 23, 0x37800000
	v_cndmask_b32_e32 v2, v3, v2, vcc_lo
	v_and_b32_e32 v3, 0x80000000, v119
	v_lshlrev_b32_e32 v2, 21, v2
	v_or3_b32 v119, v3, v30, v2
.LBB6_1325:                             ;   in Loop: Header=BB6_130 Depth=2
	s_or_b32 exec_lo, exec_lo, s29
	s_waitcnt vmcnt(1)
	v_cmp_gt_i16_sdwa s29, v18, v57 src0_sel:BYTE_1 src1_sel:DWORD
	s_mov_b32 s13, 0
	s_and_saveexec_b32 s40, s29
	s_xor_b32 s29, exec_lo, s40
	s_cbranch_execz .LBB6_2698
; %bb.1326:                             ;   in Loop: Header=BB6_130 Depth=2
	v_cmp_eq_u16_sdwa s41, v18, v58 src0_sel:BYTE_1 src1_sel:DWORD
	s_mov_b32 s13, -1
	s_and_saveexec_b32 s40, s41
; %bb.1327:                             ;   in Loop: Header=BB6_130 Depth=2
	s_xor_b32 s13, exec_lo, -1
; %bb.1328:                             ;   in Loop: Header=BB6_130 Depth=2
	s_or_b32 exec_lo, exec_lo, s40
	s_and_b32 s13, s13, exec_lo
	s_or_saveexec_b32 s29, s29
	v_mov_b32_e32 v2, 0x7f800001
	s_xor_b32 exec_lo, exec_lo, s29
	s_cbranch_execnz .LBB6_2699
.LBB6_1329:                             ;   in Loop: Header=BB6_130 Depth=2
	s_or_b32 exec_lo, exec_lo, s29
	s_and_saveexec_b32 s29, s13
	s_cbranch_execz .LBB6_1331
.LBB6_1330:                             ;   in Loop: Header=BB6_130 Depth=2
	v_and_b32_sdwa v2, v59, v18 dst_sel:DWORD dst_unused:UNUSED_PAD src0_sel:DWORD src1_sel:BYTE_1
	v_and_b32_e32 v3, 3, v2
	v_bfe_u32 v42, v2, 2, 5
	v_ffbh_u32_e32 v30, v3
	v_cmp_eq_u32_e32 vcc_lo, 0, v42
	v_min_u32_e32 v30, 32, v30
	v_subrev_nc_u32_e32 v40, 29, v30
	v_sub_nc_u32_e32 v30, 30, v30
	v_lshlrev_b32_e32 v2, v40, v2
	v_lshlrev_b32_e32 v40, 16, v18
	v_cndmask_b32_e32 v30, v42, v30, vcc_lo
	v_and_b32_e32 v2, 3, v2
	v_lshl_add_u32 v30, v30, 23, 0x37800000
	v_cndmask_b32_e32 v2, v3, v2, vcc_lo
	v_and_b32_e32 v3, 0x80000000, v40
	v_lshlrev_b32_e32 v2, 21, v2
	v_or3_b32 v2, v3, v30, v2
.LBB6_1331:                             ;   in Loop: Header=BB6_130 Depth=2
	s_or_b32 exec_lo, exec_lo, s29
	v_max_f32_e32 v2, v2, v2
	v_max_f32_e32 v3, v119, v119
	s_mov_b32 s13, 0
	v_max_f32_e32 v119, v3, v2
.LBB6_1332:                             ;   in Loop: Header=BB6_130 Depth=2
	s_and_b32 vcc_lo, exec_lo, s13
	s_cbranch_vccz .LBB6_1346
; %bb.1333:                             ;   in Loop: Header=BB6_130 Depth=2
	v_cmp_gt_i16_sdwa s29, v22, v57 src0_sel:BYTE_1 src1_sel:DWORD
	s_mov_b32 s13, 0
	s_and_saveexec_b32 s40, s29
	s_xor_b32 s29, exec_lo, s40
	s_cbranch_execz .LBB6_2700
; %bb.1334:                             ;   in Loop: Header=BB6_130 Depth=2
	v_cmp_eq_u16_sdwa s41, v22, v58 src0_sel:BYTE_1 src1_sel:DWORD
	s_mov_b32 s13, -1
	s_and_saveexec_b32 s40, s41
; %bb.1335:                             ;   in Loop: Header=BB6_130 Depth=2
	s_xor_b32 s13, exec_lo, -1
; %bb.1336:                             ;   in Loop: Header=BB6_130 Depth=2
	s_or_b32 exec_lo, exec_lo, s40
	s_and_b32 s13, s13, exec_lo
	s_or_saveexec_b32 s29, s29
	v_mov_b32_e32 v119, 0x7f800001
	s_xor_b32 exec_lo, exec_lo, s29
	s_cbranch_execnz .LBB6_2701
.LBB6_1337:                             ;   in Loop: Header=BB6_130 Depth=2
	s_or_b32 exec_lo, exec_lo, s29
	s_and_saveexec_b32 s29, s13
	s_cbranch_execz .LBB6_1339
.LBB6_1338:                             ;   in Loop: Header=BB6_130 Depth=2
	v_and_b32_sdwa v2, v59, v22 dst_sel:DWORD dst_unused:UNUSED_PAD src0_sel:DWORD src1_sel:BYTE_1
	v_and_b32_e32 v3, 3, v2
	v_bfe_u32 v40, v2, 2, 5
	v_ffbh_u32_e32 v30, v3
	v_cmp_eq_u32_e32 vcc_lo, 0, v40
	v_min_u32_e32 v30, 32, v30
	v_subrev_nc_u32_e32 v119, 29, v30
	v_sub_nc_u32_e32 v30, 30, v30
	v_lshlrev_b32_e32 v2, v119, v2
	v_lshlrev_b32_e32 v119, 16, v22
	v_cndmask_b32_e32 v30, v40, v30, vcc_lo
	v_and_b32_e32 v2, 3, v2
	v_lshl_add_u32 v30, v30, 23, 0x37800000
	v_cndmask_b32_e32 v2, v3, v2, vcc_lo
	v_and_b32_e32 v3, 0x80000000, v119
	v_lshlrev_b32_e32 v2, 21, v2
	v_or3_b32 v119, v3, v30, v2
.LBB6_1339:                             ;   in Loop: Header=BB6_130 Depth=2
	s_or_b32 exec_lo, exec_lo, s29
	s_waitcnt vmcnt(1)
	v_cmp_gt_i16_sdwa s29, v18, v57 src0_sel:BYTE_1 src1_sel:DWORD
	s_mov_b32 s13, 0
	s_and_saveexec_b32 s40, s29
	s_xor_b32 s29, exec_lo, s40
	s_cbranch_execz .LBB6_2702
; %bb.1340:                             ;   in Loop: Header=BB6_130 Depth=2
	v_cmp_eq_u16_sdwa s41, v18, v58 src0_sel:BYTE_1 src1_sel:DWORD
	s_mov_b32 s13, -1
	s_and_saveexec_b32 s40, s41
; %bb.1341:                             ;   in Loop: Header=BB6_130 Depth=2
	s_xor_b32 s13, exec_lo, -1
; %bb.1342:                             ;   in Loop: Header=BB6_130 Depth=2
	s_or_b32 exec_lo, exec_lo, s40
	s_and_b32 s13, s13, exec_lo
	s_or_saveexec_b32 s29, s29
	v_mov_b32_e32 v2, 0x7f800001
	s_xor_b32 exec_lo, exec_lo, s29
	s_cbranch_execnz .LBB6_2703
.LBB6_1343:                             ;   in Loop: Header=BB6_130 Depth=2
	s_or_b32 exec_lo, exec_lo, s29
	s_and_saveexec_b32 s29, s13
	s_cbranch_execz .LBB6_1345
.LBB6_1344:                             ;   in Loop: Header=BB6_130 Depth=2
	v_and_b32_sdwa v2, v59, v18 dst_sel:DWORD dst_unused:UNUSED_PAD src0_sel:DWORD src1_sel:BYTE_1
	v_and_b32_e32 v3, 3, v2
	v_bfe_u32 v42, v2, 2, 5
	v_ffbh_u32_e32 v30, v3
	v_cmp_eq_u32_e32 vcc_lo, 0, v42
	v_min_u32_e32 v30, 32, v30
	v_subrev_nc_u32_e32 v40, 29, v30
	v_sub_nc_u32_e32 v30, 30, v30
	v_lshlrev_b32_e32 v2, v40, v2
	v_lshlrev_b32_e32 v40, 16, v18
	v_cndmask_b32_e32 v30, v42, v30, vcc_lo
	v_and_b32_e32 v2, 3, v2
	v_lshl_add_u32 v30, v30, 23, 0x37800000
	v_cndmask_b32_e32 v2, v3, v2, vcc_lo
	v_and_b32_e32 v3, 0x80000000, v40
	v_lshlrev_b32_e32 v2, 21, v2
	v_or3_b32 v2, v3, v30, v2
.LBB6_1345:                             ;   in Loop: Header=BB6_130 Depth=2
	s_or_b32 exec_lo, exec_lo, s29
	v_max_f32_e32 v2, v2, v2
	v_max_f32_e32 v3, v119, v119
	v_min_f32_e32 v119, v3, v2
.LBB6_1346:                             ;   in Loop: Header=BB6_130 Depth=2
	v_and_b32_e32 v2, 0x7f800000, v119
	v_mov_b32_e32 v104, 0x8000
	s_mov_b32 s29, exec_lo
	v_cmpx_ne_u32_e32 0x7f800000, v2
	s_cbranch_execz .LBB6_1354
; %bb.1347:                             ;   in Loop: Header=BB6_130 Depth=2
	v_mov_b32_e32 v104, 0
	s_mov_b32 s40, exec_lo
	v_cmpx_ne_u32_e32 0, v119
	s_cbranch_execz .LBB6_1353
; %bb.1348:                             ;   in Loop: Header=BB6_130 Depth=2
	v_bfe_u32 v2, v119, 23, 8
	v_and_b32_e32 v3, 0x7fffff, v119
	v_sub_nc_u32_e32 v30, 0x70, v2
	v_cmp_gt_u32_e32 vcc_lo, 0x71, v2
	v_or_b32_e32 v40, 0x800000, v3
	v_cndmask_b32_e32 v30, 0, v30, vcc_lo
	v_cmp_eq_u32_e32 vcc_lo, 0, v2
	v_add_nc_u32_e32 v2, 0xffffff91, v2
	v_cndmask_b32_e64 v30, v30, 0x6f, vcc_lo
	v_cndmask_b32_e32 v3, v40, v3, vcc_lo
	v_cndmask_b32_e64 v2, v2, 0xffffff92, vcc_lo
	v_lshl_add_u32 v40, 0x200000, v30, -1
	v_lshrrev_b32_e32 v42, v30, v3
	v_lshlrev_b32_e64 v105, v30, 0x100000
	v_and_b32_e32 v3, v40, v3
	v_bfe_u32 v104, v42, 21, 1
	v_cmp_eq_u32_e64 s13, v3, v105
	v_add_nc_u32_e32 v40, -1, v104
	v_lshrrev_b32_e32 v104, 23, v42
	v_cndmask_b32_e64 v3, 0, v40, s13
	s_mov_b32 s13, exec_lo
	v_add_nc_u32_e32 v40, v3, v42
	v_add_nc_u32_e32 v3, v30, v2
                                        ; implicit-def: $vgpr30
	v_and_b32_e32 v2, 0x1fffff, v40
	v_xor_b32_e32 v40, 1, v104
	v_add_nc_u32_e32 v2, v2, v42
	v_cmpx_ne_u32_e64 v3, v40
	s_xor_b32 s13, exec_lo, s13
; %bb.1349:                             ;   in Loop: Header=BB6_130 Depth=2
	v_cmp_lt_u32_e32 vcc_lo, 0xffffff, v2
	v_sub_nc_u32_e32 v3, v3, v40
	v_cndmask_b32_e64 v40, 0, 1, vcc_lo
	v_add_co_ci_u32_e64 v30, null, 0, v3, vcc_lo
	v_lshrrev_b32_e32 v2, v40, v2
; %bb.1350:                             ;   in Loop: Header=BB6_130 Depth=2
	s_andn2_saveexec_b32 s13, s13
; %bb.1351:                             ;   in Loop: Header=BB6_130 Depth=2
	v_bfe_u32 v30, v2, 23, 1
; %bb.1352:                             ;   in Loop: Header=BB6_130 Depth=2
	s_or_b32 exec_lo, exec_lo, s13
	v_lshrrev_b32_e32 v2, 21, v2
	v_min_i32_e32 v3, 31, v30
	v_cmp_gt_i32_e32 vcc_lo, 32, v30
	v_and_b32_sdwa v119, v119, v58 dst_sel:DWORD dst_unused:UNUSED_PAD src0_sel:BYTE_3 src1_sel:DWORD
	v_lshlrev_b32_e32 v3, 2, v3
	v_cndmask_b32_e32 v2, 3, v2, vcc_lo
	v_and_b32_e32 v3, 0xfc, v3
	v_and_b32_e32 v40, 3, v2
	v_or_b32_e32 v2, v30, v2
	v_or3_b32 v3, v119, v3, v40
	v_cmp_ne_u32_e32 vcc_lo, 0, v2
	v_lshlrev_b32_e32 v3, 8, v3
	v_cndmask_b32_e32 v104, 0, v3, vcc_lo
.LBB6_1353:                             ;   in Loop: Header=BB6_130 Depth=2
	s_or_b32 exec_lo, exec_lo, s40
.LBB6_1354:                             ;   in Loop: Header=BB6_130 Depth=2
	s_or_b32 exec_lo, exec_lo, s29
	v_and_b32_sdwa v119, v22, v60 dst_sel:DWORD dst_unused:UNUSED_PAD src0_sel:WORD_1 src1_sel:DWORD
	s_andn2_b32 vcc_lo, exec_lo, s28
	s_mov_b32 s29, -1
                                        ; implicit-def: $vgpr40
	v_cmp_lt_i16_e64 s13, 0x7f, v119
	s_cbranch_vccnz .LBB6_1368
; %bb.1355:                             ;   in Loop: Header=BB6_130 Depth=2
	s_mov_b32 s29, 0
	s_and_saveexec_b32 s40, s13
	s_xor_b32 s13, exec_lo, s40
	s_cbranch_execz .LBB6_2704
; %bb.1356:                             ;   in Loop: Header=BB6_130 Depth=2
	s_mov_b32 s29, -1
	s_mov_b32 s40, exec_lo
	v_cmpx_eq_u16_e32 0x80, v119
; %bb.1357:                             ;   in Loop: Header=BB6_130 Depth=2
	s_xor_b32 s29, exec_lo, -1
; %bb.1358:                             ;   in Loop: Header=BB6_130 Depth=2
	s_or_b32 exec_lo, exec_lo, s40
	s_and_b32 s29, s29, exec_lo
	s_or_saveexec_b32 s13, s13
	v_mov_b32_e32 v40, 0x7f800001
	s_xor_b32 exec_lo, exec_lo, s13
	s_cbranch_execnz .LBB6_2705
.LBB6_1359:                             ;   in Loop: Header=BB6_130 Depth=2
	s_or_b32 exec_lo, exec_lo, s13
	s_and_saveexec_b32 s13, s29
	s_cbranch_execz .LBB6_1361
.LBB6_1360:                             ;   in Loop: Header=BB6_130 Depth=2
	v_bfe_u32 v2, v22, 16, 2
	v_bfe_u32 v40, v22, 18, 5
	v_lshlrev_b32_sdwa v42, v61, v22 dst_sel:DWORD dst_unused:UNUSED_PAD src0_sel:DWORD src1_sel:WORD_1
	v_ffbh_u32_e32 v3, v2
	v_cmp_eq_u32_e32 vcc_lo, 0, v40
	v_min_u32_e32 v3, 32, v3
	v_subrev_nc_u32_e32 v30, 29, v3
	v_sub_nc_u32_e32 v3, 30, v3
	v_lshlrev_b32_sdwa v30, v30, v22 dst_sel:DWORD dst_unused:UNUSED_PAD src0_sel:DWORD src1_sel:WORD_1
	v_cndmask_b32_e32 v3, v40, v3, vcc_lo
	v_and_b32_e32 v30, 3, v30
	v_lshl_add_u32 v3, v3, 23, 0x37800000
	v_cndmask_b32_e32 v2, v2, v30, vcc_lo
	v_and_b32_e32 v30, 0x80000000, v42
	v_lshlrev_b32_e32 v2, 21, v2
	v_or3_b32 v40, v30, v3, v2
.LBB6_1361:                             ;   in Loop: Header=BB6_130 Depth=2
	s_or_b32 exec_lo, exec_lo, s13
	s_waitcnt vmcnt(1)
	v_and_b32_sdwa v3, v18, v60 dst_sel:DWORD dst_unused:UNUSED_PAD src0_sel:WORD_1 src1_sel:DWORD
	s_mov_b32 s13, 0
	s_mov_b32 s29, exec_lo
	v_cmpx_lt_i16_e32 0x7f, v3
	s_xor_b32 s29, exec_lo, s29
	s_cbranch_execz .LBB6_2706
; %bb.1362:                             ;   in Loop: Header=BB6_130 Depth=2
	s_mov_b32 s13, -1
	s_mov_b32 s40, exec_lo
	v_cmpx_eq_u16_e32 0x80, v3
; %bb.1363:                             ;   in Loop: Header=BB6_130 Depth=2
	s_xor_b32 s13, exec_lo, -1
; %bb.1364:                             ;   in Loop: Header=BB6_130 Depth=2
	s_or_b32 exec_lo, exec_lo, s40
	s_and_b32 s13, s13, exec_lo
                                        ; implicit-def: $vgpr3
	s_or_saveexec_b32 s29, s29
	v_mov_b32_e32 v2, 0x7f800001
	s_xor_b32 exec_lo, exec_lo, s29
	s_cbranch_execnz .LBB6_2707
.LBB6_1365:                             ;   in Loop: Header=BB6_130 Depth=2
	s_or_b32 exec_lo, exec_lo, s29
	s_and_saveexec_b32 s29, s13
	s_cbranch_execz .LBB6_1367
.LBB6_1366:                             ;   in Loop: Header=BB6_130 Depth=2
	v_bfe_u32 v2, v18, 16, 2
	v_bfe_u32 v42, v18, 18, 5
	v_lshlrev_b32_sdwa v105, v61, v18 dst_sel:DWORD dst_unused:UNUSED_PAD src0_sel:DWORD src1_sel:WORD_1
	v_ffbh_u32_e32 v3, v2
	v_cmp_eq_u32_e32 vcc_lo, 0, v42
	v_min_u32_e32 v3, 32, v3
	v_subrev_nc_u32_e32 v30, 29, v3
	v_sub_nc_u32_e32 v3, 30, v3
	v_lshlrev_b32_sdwa v30, v30, v18 dst_sel:DWORD dst_unused:UNUSED_PAD src0_sel:DWORD src1_sel:WORD_1
	v_cndmask_b32_e32 v3, v42, v3, vcc_lo
	v_and_b32_e32 v30, 3, v30
	v_lshl_add_u32 v3, v3, 23, 0x37800000
	v_cndmask_b32_e32 v2, v2, v30, vcc_lo
	v_and_b32_e32 v30, 0x80000000, v105
	v_lshlrev_b32_e32 v2, 21, v2
	v_or3_b32 v2, v30, v3, v2
.LBB6_1367:                             ;   in Loop: Header=BB6_130 Depth=2
	s_or_b32 exec_lo, exec_lo, s29
	v_max_f32_e32 v2, v2, v2
	v_max_f32_e32 v3, v40, v40
	s_mov_b32 s29, 0
	v_max_f32_e32 v40, v3, v2
.LBB6_1368:                             ;   in Loop: Header=BB6_130 Depth=2
	s_and_b32 vcc_lo, exec_lo, s29
	s_cbranch_vccz .LBB6_1382
; %bb.1369:                             ;   in Loop: Header=BB6_130 Depth=2
	s_mov_b32 s13, 0
	s_mov_b32 s29, exec_lo
	v_cmpx_lt_i16_e32 0x7f, v119
	s_xor_b32 s29, exec_lo, s29
	s_cbranch_execz .LBB6_2708
; %bb.1370:                             ;   in Loop: Header=BB6_130 Depth=2
	s_mov_b32 s13, -1
	s_mov_b32 s40, exec_lo
	v_cmpx_eq_u16_e32 0x80, v119
; %bb.1371:                             ;   in Loop: Header=BB6_130 Depth=2
	s_xor_b32 s13, exec_lo, -1
; %bb.1372:                             ;   in Loop: Header=BB6_130 Depth=2
	s_or_b32 exec_lo, exec_lo, s40
	s_and_b32 s13, s13, exec_lo
                                        ; implicit-def: $vgpr119
	s_or_saveexec_b32 s29, s29
	v_mov_b32_e32 v40, 0x7f800001
	s_xor_b32 exec_lo, exec_lo, s29
	s_cbranch_execnz .LBB6_2709
.LBB6_1373:                             ;   in Loop: Header=BB6_130 Depth=2
	s_or_b32 exec_lo, exec_lo, s29
	s_and_saveexec_b32 s29, s13
	s_cbranch_execz .LBB6_1375
.LBB6_1374:                             ;   in Loop: Header=BB6_130 Depth=2
	v_bfe_u32 v2, v22, 16, 2
	v_bfe_u32 v119, v22, 18, 5
	v_lshlrev_b32_sdwa v40, v61, v22 dst_sel:DWORD dst_unused:UNUSED_PAD src0_sel:DWORD src1_sel:WORD_1
	v_ffbh_u32_e32 v3, v2
	v_cmp_eq_u32_e32 vcc_lo, 0, v119
	v_min_u32_e32 v3, 32, v3
	v_subrev_nc_u32_e32 v30, 29, v3
	v_sub_nc_u32_e32 v3, 30, v3
	v_lshlrev_b32_sdwa v30, v30, v22 dst_sel:DWORD dst_unused:UNUSED_PAD src0_sel:DWORD src1_sel:WORD_1
	v_cndmask_b32_e32 v3, v119, v3, vcc_lo
	v_and_b32_e32 v30, 3, v30
	v_lshl_add_u32 v3, v3, 23, 0x37800000
	v_cndmask_b32_e32 v2, v2, v30, vcc_lo
	v_and_b32_e32 v30, 0x80000000, v40
	v_lshlrev_b32_e32 v2, 21, v2
	v_or3_b32 v40, v30, v3, v2
.LBB6_1375:                             ;   in Loop: Header=BB6_130 Depth=2
	s_or_b32 exec_lo, exec_lo, s29
	s_waitcnt vmcnt(1)
	v_and_b32_sdwa v3, v18, v60 dst_sel:DWORD dst_unused:UNUSED_PAD src0_sel:WORD_1 src1_sel:DWORD
	s_mov_b32 s13, 0
	s_mov_b32 s29, exec_lo
	v_cmpx_lt_i16_e32 0x7f, v3
	s_xor_b32 s29, exec_lo, s29
	s_cbranch_execz .LBB6_2710
; %bb.1376:                             ;   in Loop: Header=BB6_130 Depth=2
	s_mov_b32 s13, -1
	s_mov_b32 s40, exec_lo
	v_cmpx_eq_u16_e32 0x80, v3
; %bb.1377:                             ;   in Loop: Header=BB6_130 Depth=2
	s_xor_b32 s13, exec_lo, -1
; %bb.1378:                             ;   in Loop: Header=BB6_130 Depth=2
	s_or_b32 exec_lo, exec_lo, s40
	s_and_b32 s13, s13, exec_lo
                                        ; implicit-def: $vgpr3
	s_or_saveexec_b32 s29, s29
	v_mov_b32_e32 v2, 0x7f800001
	s_xor_b32 exec_lo, exec_lo, s29
	s_cbranch_execnz .LBB6_2711
.LBB6_1379:                             ;   in Loop: Header=BB6_130 Depth=2
	s_or_b32 exec_lo, exec_lo, s29
	s_and_saveexec_b32 s29, s13
	s_cbranch_execz .LBB6_1381
.LBB6_1380:                             ;   in Loop: Header=BB6_130 Depth=2
	v_bfe_u32 v2, v18, 16, 2
	v_bfe_u32 v119, v18, 18, 5
	v_lshlrev_b32_sdwa v42, v61, v18 dst_sel:DWORD dst_unused:UNUSED_PAD src0_sel:DWORD src1_sel:WORD_1
	v_ffbh_u32_e32 v3, v2
	v_cmp_eq_u32_e32 vcc_lo, 0, v119
	v_min_u32_e32 v3, 32, v3
	v_subrev_nc_u32_e32 v30, 29, v3
	v_sub_nc_u32_e32 v3, 30, v3
	v_lshlrev_b32_sdwa v30, v30, v18 dst_sel:DWORD dst_unused:UNUSED_PAD src0_sel:DWORD src1_sel:WORD_1
	v_cndmask_b32_e32 v3, v119, v3, vcc_lo
	v_and_b32_e32 v30, 3, v30
	v_lshl_add_u32 v3, v3, 23, 0x37800000
	v_cndmask_b32_e32 v2, v2, v30, vcc_lo
	v_and_b32_e32 v30, 0x80000000, v42
	v_lshlrev_b32_e32 v2, 21, v2
	v_or3_b32 v2, v30, v3, v2
.LBB6_1381:                             ;   in Loop: Header=BB6_130 Depth=2
	s_or_b32 exec_lo, exec_lo, s29
	v_max_f32_e32 v2, v2, v2
	v_max_f32_e32 v3, v40, v40
	v_min_f32_e32 v40, v3, v2
.LBB6_1382:                             ;   in Loop: Header=BB6_130 Depth=2
	v_and_b32_e32 v2, 0x7f800000, v40
	v_mov_b32_e32 v105, 0x80
	s_mov_b32 s29, exec_lo
	v_cmpx_ne_u32_e32 0x7f800000, v2
	s_cbranch_execz .LBB6_1390
; %bb.1383:                             ;   in Loop: Header=BB6_130 Depth=2
	v_mov_b32_e32 v105, 0
	s_mov_b32 s40, exec_lo
	v_cmpx_ne_u32_e32 0, v40
	s_cbranch_execz .LBB6_1389
; %bb.1384:                             ;   in Loop: Header=BB6_130 Depth=2
	v_bfe_u32 v2, v40, 23, 8
	v_and_b32_e32 v3, 0x7fffff, v40
	v_sub_nc_u32_e32 v30, 0x70, v2
	v_cmp_gt_u32_e32 vcc_lo, 0x71, v2
	v_or_b32_e32 v119, 0x800000, v3
	v_cndmask_b32_e32 v30, 0, v30, vcc_lo
	v_cmp_eq_u32_e32 vcc_lo, 0, v2
	v_add_nc_u32_e32 v2, 0xffffff91, v2
	v_cndmask_b32_e64 v30, v30, 0x6f, vcc_lo
	v_cndmask_b32_e32 v3, v119, v3, vcc_lo
	v_cndmask_b32_e64 v2, v2, 0xffffff92, vcc_lo
	v_lshl_add_u32 v119, 0x200000, v30, -1
	v_lshrrev_b32_e32 v42, v30, v3
	v_lshlrev_b32_e64 v106, v30, 0x100000
	v_and_b32_e32 v3, v119, v3
	v_bfe_u32 v105, v42, 21, 1
	v_cmp_eq_u32_e64 s13, v3, v106
	v_add_nc_u32_e32 v119, -1, v105
	v_lshrrev_b32_e32 v105, 23, v42
	v_cndmask_b32_e64 v3, 0, v119, s13
	s_mov_b32 s13, exec_lo
	v_add_nc_u32_e32 v119, v3, v42
	v_add_nc_u32_e32 v3, v30, v2
                                        ; implicit-def: $vgpr30
	v_and_b32_e32 v2, 0x1fffff, v119
	v_xor_b32_e32 v119, 1, v105
	v_add_nc_u32_e32 v2, v2, v42
	v_cmpx_ne_u32_e64 v3, v119
	s_xor_b32 s13, exec_lo, s13
; %bb.1385:                             ;   in Loop: Header=BB6_130 Depth=2
	v_cmp_lt_u32_e32 vcc_lo, 0xffffff, v2
	v_sub_nc_u32_e32 v3, v3, v119
	v_cndmask_b32_e64 v119, 0, 1, vcc_lo
	v_add_co_ci_u32_e64 v30, null, 0, v3, vcc_lo
	v_lshrrev_b32_e32 v2, v119, v2
; %bb.1386:                             ;   in Loop: Header=BB6_130 Depth=2
	s_andn2_saveexec_b32 s13, s13
; %bb.1387:                             ;   in Loop: Header=BB6_130 Depth=2
	v_bfe_u32 v30, v2, 23, 1
; %bb.1388:                             ;   in Loop: Header=BB6_130 Depth=2
	s_or_b32 exec_lo, exec_lo, s13
	v_lshrrev_b32_e32 v2, 21, v2
	v_min_i32_e32 v3, 31, v30
	v_cmp_gt_i32_e32 vcc_lo, 32, v30
	v_and_b32_sdwa v119, v40, v58 dst_sel:DWORD dst_unused:UNUSED_PAD src0_sel:BYTE_3 src1_sel:DWORD
	v_lshlrev_b32_e32 v3, 2, v3
	v_cndmask_b32_e32 v2, 3, v2, vcc_lo
	v_and_b32_e32 v3, 0xfc, v3
	v_and_b32_e32 v40, 3, v2
	v_or_b32_e32 v2, v30, v2
	v_or3_b32 v3, v3, v119, v40
	v_cmp_ne_u32_e32 vcc_lo, 0, v2
	v_cndmask_b32_e32 v105, 0, v3, vcc_lo
.LBB6_1389:                             ;   in Loop: Header=BB6_130 Depth=2
	s_or_b32 exec_lo, exec_lo, s40
.LBB6_1390:                             ;   in Loop: Header=BB6_130 Depth=2
	s_or_b32 exec_lo, exec_lo, s29
	v_cmp_gt_i16_sdwa s29, v22, v57 src0_sel:BYTE_3 src1_sel:DWORD
	s_andn2_b32 vcc_lo, exec_lo, s28
	s_mov_b32 s13, -1
                                        ; implicit-def: $vgpr119
	s_cbranch_vccnz .LBB6_1404
; %bb.1391:                             ;   in Loop: Header=BB6_130 Depth=2
	s_mov_b32 s13, 0
	s_and_saveexec_b32 s40, s29
	s_xor_b32 s29, exec_lo, s40
	s_cbranch_execz .LBB6_2712
; %bb.1392:                             ;   in Loop: Header=BB6_130 Depth=2
	v_cmp_eq_u16_sdwa s41, v22, v58 src0_sel:BYTE_3 src1_sel:DWORD
	s_mov_b32 s13, -1
	s_and_saveexec_b32 s40, s41
; %bb.1393:                             ;   in Loop: Header=BB6_130 Depth=2
	s_xor_b32 s13, exec_lo, -1
; %bb.1394:                             ;   in Loop: Header=BB6_130 Depth=2
	s_or_b32 exec_lo, exec_lo, s40
	s_and_b32 s13, s13, exec_lo
	s_or_saveexec_b32 s29, s29
	v_mov_b32_e32 v119, 0x7f800001
	s_xor_b32 exec_lo, exec_lo, s29
	s_cbranch_execnz .LBB6_2713
.LBB6_1395:                             ;   in Loop: Header=BB6_130 Depth=2
	s_or_b32 exec_lo, exec_lo, s29
	s_and_saveexec_b32 s29, s13
	s_cbranch_execz .LBB6_1397
.LBB6_1396:                             ;   in Loop: Header=BB6_130 Depth=2
	v_bfe_u32 v2, v22, 24, 2
	v_bfe_u32 v119, v22, 26, 5
	v_ffbh_u32_e32 v3, v2
	v_cmp_eq_u32_e32 vcc_lo, 0, v119
	v_min_u32_e32 v3, 32, v3
	v_subrev_nc_u32_e32 v30, 29, v3
	v_sub_nc_u32_e32 v3, 30, v3
	v_lshlrev_b32_sdwa v30, v30, v22 dst_sel:DWORD dst_unused:UNUSED_PAD src0_sel:DWORD src1_sel:BYTE_3
	v_cndmask_b32_e32 v3, v119, v3, vcc_lo
	v_and_b32_e32 v30, 3, v30
	v_lshl_add_u32 v3, v3, 23, 0x37800000
	v_cndmask_b32_e32 v2, v2, v30, vcc_lo
	v_and_b32_e32 v30, 0x80000000, v22
	v_lshlrev_b32_e32 v2, 21, v2
	v_or3_b32 v119, v30, v3, v2
.LBB6_1397:                             ;   in Loop: Header=BB6_130 Depth=2
	s_or_b32 exec_lo, exec_lo, s29
	s_waitcnt vmcnt(1)
	v_cmp_gt_i16_sdwa s29, v18, v57 src0_sel:BYTE_3 src1_sel:DWORD
	s_mov_b32 s13, 0
	s_and_saveexec_b32 s40, s29
	s_xor_b32 s29, exec_lo, s40
	s_cbranch_execz .LBB6_2714
; %bb.1398:                             ;   in Loop: Header=BB6_130 Depth=2
	v_cmp_eq_u16_sdwa s41, v18, v58 src0_sel:BYTE_3 src1_sel:DWORD
	s_mov_b32 s13, -1
	s_and_saveexec_b32 s40, s41
; %bb.1399:                             ;   in Loop: Header=BB6_130 Depth=2
	s_xor_b32 s13, exec_lo, -1
; %bb.1400:                             ;   in Loop: Header=BB6_130 Depth=2
	s_or_b32 exec_lo, exec_lo, s40
	s_and_b32 s13, s13, exec_lo
	s_or_saveexec_b32 s29, s29
	v_mov_b32_e32 v2, 0x7f800001
	s_xor_b32 exec_lo, exec_lo, s29
	s_cbranch_execnz .LBB6_2715
.LBB6_1401:                             ;   in Loop: Header=BB6_130 Depth=2
	s_or_b32 exec_lo, exec_lo, s29
	s_and_saveexec_b32 s29, s13
	s_cbranch_execz .LBB6_1403
.LBB6_1402:                             ;   in Loop: Header=BB6_130 Depth=2
	v_bfe_u32 v2, v18, 24, 2
	v_bfe_u32 v40, v18, 26, 5
	v_ffbh_u32_e32 v3, v2
	v_cmp_eq_u32_e32 vcc_lo, 0, v40
	v_min_u32_e32 v3, 32, v3
	v_subrev_nc_u32_e32 v30, 29, v3
	v_sub_nc_u32_e32 v3, 30, v3
	v_lshlrev_b32_sdwa v30, v30, v18 dst_sel:DWORD dst_unused:UNUSED_PAD src0_sel:DWORD src1_sel:BYTE_3
	v_cndmask_b32_e32 v3, v40, v3, vcc_lo
	v_and_b32_e32 v30, 3, v30
	v_lshl_add_u32 v3, v3, 23, 0x37800000
	v_cndmask_b32_e32 v2, v2, v30, vcc_lo
	v_and_b32_e32 v30, 0x80000000, v18
	v_lshlrev_b32_e32 v2, 21, v2
	v_or3_b32 v2, v30, v3, v2
.LBB6_1403:                             ;   in Loop: Header=BB6_130 Depth=2
	s_or_b32 exec_lo, exec_lo, s29
	v_max_f32_e32 v2, v2, v2
	v_max_f32_e32 v3, v119, v119
	s_mov_b32 s13, 0
	v_max_f32_e32 v119, v3, v2
.LBB6_1404:                             ;   in Loop: Header=BB6_130 Depth=2
	s_and_b32 vcc_lo, exec_lo, s13
	s_cbranch_vccz .LBB6_1418
; %bb.1405:                             ;   in Loop: Header=BB6_130 Depth=2
	v_cmp_gt_i16_sdwa s29, v22, v57 src0_sel:BYTE_3 src1_sel:DWORD
	s_mov_b32 s13, 0
	s_and_saveexec_b32 s40, s29
	s_xor_b32 s29, exec_lo, s40
	s_cbranch_execz .LBB6_2716
; %bb.1406:                             ;   in Loop: Header=BB6_130 Depth=2
	v_cmp_eq_u16_sdwa s41, v22, v58 src0_sel:BYTE_3 src1_sel:DWORD
	s_mov_b32 s13, -1
	s_and_saveexec_b32 s40, s41
; %bb.1407:                             ;   in Loop: Header=BB6_130 Depth=2
	s_xor_b32 s13, exec_lo, -1
; %bb.1408:                             ;   in Loop: Header=BB6_130 Depth=2
	s_or_b32 exec_lo, exec_lo, s40
	s_and_b32 s13, s13, exec_lo
	s_or_saveexec_b32 s29, s29
	v_mov_b32_e32 v119, 0x7f800001
	s_xor_b32 exec_lo, exec_lo, s29
	s_cbranch_execnz .LBB6_2717
.LBB6_1409:                             ;   in Loop: Header=BB6_130 Depth=2
	s_or_b32 exec_lo, exec_lo, s29
	s_and_saveexec_b32 s29, s13
	s_cbranch_execz .LBB6_1411
.LBB6_1410:                             ;   in Loop: Header=BB6_130 Depth=2
	v_bfe_u32 v2, v22, 24, 2
	v_bfe_u32 v119, v22, 26, 5
	v_ffbh_u32_e32 v3, v2
	v_cmp_eq_u32_e32 vcc_lo, 0, v119
	v_min_u32_e32 v3, 32, v3
	v_subrev_nc_u32_e32 v30, 29, v3
	v_sub_nc_u32_e32 v3, 30, v3
	v_lshlrev_b32_sdwa v30, v30, v22 dst_sel:DWORD dst_unused:UNUSED_PAD src0_sel:DWORD src1_sel:BYTE_3
	v_cndmask_b32_e32 v3, v119, v3, vcc_lo
	v_and_b32_e32 v22, 0x80000000, v22
	v_and_b32_e32 v30, 3, v30
	v_lshl_add_u32 v3, v3, 23, 0x37800000
	v_cndmask_b32_e32 v2, v2, v30, vcc_lo
	v_lshlrev_b32_e32 v2, 21, v2
	v_or3_b32 v119, v22, v3, v2
.LBB6_1411:                             ;   in Loop: Header=BB6_130 Depth=2
	s_or_b32 exec_lo, exec_lo, s29
	s_waitcnt vmcnt(1)
	v_cmp_gt_i16_sdwa s29, v18, v57 src0_sel:BYTE_3 src1_sel:DWORD
	s_mov_b32 s13, 0
	s_and_saveexec_b32 s40, s29
	s_xor_b32 s29, exec_lo, s40
	s_cbranch_execz .LBB6_2718
; %bb.1412:                             ;   in Loop: Header=BB6_130 Depth=2
	v_cmp_eq_u16_sdwa s41, v18, v58 src0_sel:BYTE_3 src1_sel:DWORD
	s_mov_b32 s13, -1
	s_and_saveexec_b32 s40, s41
; %bb.1413:                             ;   in Loop: Header=BB6_130 Depth=2
	s_xor_b32 s13, exec_lo, -1
; %bb.1414:                             ;   in Loop: Header=BB6_130 Depth=2
	s_or_b32 exec_lo, exec_lo, s40
	s_and_b32 s13, s13, exec_lo
	s_or_saveexec_b32 s29, s29
	v_mov_b32_e32 v2, 0x7f800001
	s_xor_b32 exec_lo, exec_lo, s29
	s_cbranch_execnz .LBB6_2719
.LBB6_1415:                             ;   in Loop: Header=BB6_130 Depth=2
	s_or_b32 exec_lo, exec_lo, s29
	s_and_saveexec_b32 s29, s13
	s_cbranch_execz .LBB6_1417
.LBB6_1416:                             ;   in Loop: Header=BB6_130 Depth=2
	v_bfe_u32 v2, v18, 24, 2
	v_bfe_u32 v30, v18, 26, 5
	v_ffbh_u32_e32 v3, v2
	v_cmp_eq_u32_e32 vcc_lo, 0, v30
	v_min_u32_e32 v3, 32, v3
	v_subrev_nc_u32_e32 v22, 29, v3
	v_sub_nc_u32_e32 v3, 30, v3
	v_lshlrev_b32_sdwa v22, v22, v18 dst_sel:DWORD dst_unused:UNUSED_PAD src0_sel:DWORD src1_sel:BYTE_3
	v_cndmask_b32_e32 v3, v30, v3, vcc_lo
	v_and_b32_e32 v18, 0x80000000, v18
	v_and_b32_e32 v22, 3, v22
	v_lshl_add_u32 v3, v3, 23, 0x37800000
	v_cndmask_b32_e32 v2, v2, v22, vcc_lo
	v_lshlrev_b32_e32 v2, 21, v2
	v_or3_b32 v2, v18, v3, v2
.LBB6_1417:                             ;   in Loop: Header=BB6_130 Depth=2
	s_or_b32 exec_lo, exec_lo, s29
	v_max_f32_e32 v2, v2, v2
	v_max_f32_e32 v3, v119, v119
	v_min_f32_e32 v119, v3, v2
.LBB6_1418:                             ;   in Loop: Header=BB6_130 Depth=2
	v_and_b32_e32 v2, 0x7f800000, v119
	s_waitcnt vmcnt(1)
	v_mov_b32_e32 v18, 0x8000
	s_mov_b32 s29, exec_lo
	v_cmpx_ne_u32_e32 0x7f800000, v2
	s_cbranch_execz .LBB6_1426
; %bb.1419:                             ;   in Loop: Header=BB6_130 Depth=2
	v_mov_b32_e32 v18, 0
	s_mov_b32 s40, exec_lo
	v_cmpx_ne_u32_e32 0, v119
	s_cbranch_execz .LBB6_1425
; %bb.1420:                             ;   in Loop: Header=BB6_130 Depth=2
	v_bfe_u32 v2, v119, 23, 8
	v_and_b32_e32 v3, 0x7fffff, v119
	v_sub_nc_u32_e32 v18, 0x70, v2
	v_cmp_gt_u32_e32 vcc_lo, 0x71, v2
	v_or_b32_e32 v22, 0x800000, v3
	v_cndmask_b32_e32 v18, 0, v18, vcc_lo
	v_cmp_eq_u32_e32 vcc_lo, 0, v2
	v_add_nc_u32_e32 v2, 0xffffff91, v2
	v_cndmask_b32_e64 v18, v18, 0x6f, vcc_lo
	v_cndmask_b32_e32 v3, v22, v3, vcc_lo
	v_cndmask_b32_e64 v2, v2, 0xffffff92, vcc_lo
	v_lshl_add_u32 v22, 0x200000, v18, -1
	v_lshrrev_b32_e32 v30, v18, v3
	v_lshlrev_b32_e64 v42, v18, 0x100000
	v_and_b32_e32 v3, v22, v3
	v_bfe_u32 v40, v30, 21, 1
	v_cmp_eq_u32_e64 s13, v3, v42
	v_add_nc_u32_e32 v22, -1, v40
	v_lshrrev_b32_e32 v40, 23, v30
	v_cndmask_b32_e64 v3, 0, v22, s13
	s_mov_b32 s13, exec_lo
	v_add_nc_u32_e32 v22, v3, v30
	v_add_nc_u32_e32 v3, v18, v2
                                        ; implicit-def: $vgpr18
	v_and_b32_e32 v2, 0x1fffff, v22
	v_xor_b32_e32 v22, 1, v40
	v_add_nc_u32_e32 v2, v2, v30
	v_cmpx_ne_u32_e64 v3, v22
	s_xor_b32 s13, exec_lo, s13
; %bb.1421:                             ;   in Loop: Header=BB6_130 Depth=2
	v_cmp_lt_u32_e32 vcc_lo, 0xffffff, v2
	v_sub_nc_u32_e32 v3, v3, v22
	v_cndmask_b32_e64 v22, 0, 1, vcc_lo
	v_add_co_ci_u32_e64 v18, null, 0, v3, vcc_lo
	v_lshrrev_b32_e32 v2, v22, v2
; %bb.1422:                             ;   in Loop: Header=BB6_130 Depth=2
	s_andn2_saveexec_b32 s13, s13
; %bb.1423:                             ;   in Loop: Header=BB6_130 Depth=2
	v_bfe_u32 v18, v2, 23, 1
; %bb.1424:                             ;   in Loop: Header=BB6_130 Depth=2
	s_or_b32 exec_lo, exec_lo, s13
	v_lshrrev_b32_e32 v2, 21, v2
	v_min_i32_e32 v3, 31, v18
	v_cmp_gt_i32_e32 vcc_lo, 32, v18
	v_and_b32_sdwa v22, v119, v58 dst_sel:DWORD dst_unused:UNUSED_PAD src0_sel:BYTE_3 src1_sel:DWORD
	v_lshlrev_b32_e32 v3, 2, v3
	v_cndmask_b32_e32 v2, 3, v2, vcc_lo
	v_and_b32_e32 v3, 0xfc, v3
	v_and_b32_e32 v30, 3, v2
	v_or_b32_e32 v2, v18, v2
	v_or3_b32 v3, v22, v3, v30
	v_cmp_ne_u32_e32 vcc_lo, 0, v2
	v_lshlrev_b32_e32 v3, 8, v3
	v_cndmask_b32_e32 v18, 0, v3, vcc_lo
.LBB6_1425:                             ;   in Loop: Header=BB6_130 Depth=2
	s_or_b32 exec_lo, exec_lo, s40
.LBB6_1426:                             ;   in Loop: Header=BB6_130 Depth=2
	s_or_b32 exec_lo, exec_lo, s29
	v_cmp_gt_i16_sdwa s29, v23, v57 src0_sel:BYTE_0 src1_sel:DWORD
	s_andn2_b32 vcc_lo, exec_lo, s28
	s_mov_b32 s13, -1
                                        ; implicit-def: $vgpr119
	s_cbranch_vccnz .LBB6_1440
; %bb.1427:                             ;   in Loop: Header=BB6_130 Depth=2
	s_mov_b32 s13, 0
	s_and_saveexec_b32 s40, s29
	s_xor_b32 s29, exec_lo, s40
	s_cbranch_execz .LBB6_2720
; %bb.1428:                             ;   in Loop: Header=BB6_130 Depth=2
	v_cmp_eq_u16_sdwa s41, v23, v58 src0_sel:BYTE_0 src1_sel:DWORD
	s_mov_b32 s13, -1
	s_and_saveexec_b32 s40, s41
; %bb.1429:                             ;   in Loop: Header=BB6_130 Depth=2
	s_xor_b32 s13, exec_lo, -1
; %bb.1430:                             ;   in Loop: Header=BB6_130 Depth=2
	s_or_b32 exec_lo, exec_lo, s40
	s_and_b32 s13, s13, exec_lo
	s_or_saveexec_b32 s29, s29
	v_mov_b32_e32 v22, 0x7f800001
	s_xor_b32 exec_lo, exec_lo, s29
	s_cbranch_execnz .LBB6_2721
.LBB6_1431:                             ;   in Loop: Header=BB6_130 Depth=2
	s_or_b32 exec_lo, exec_lo, s29
	s_and_saveexec_b32 s29, s13
	s_cbranch_execz .LBB6_1433
.LBB6_1432:                             ;   in Loop: Header=BB6_130 Depth=2
	v_and_b32_e32 v2, 3, v23
	v_bfe_u32 v30, v23, 2, 5
	v_lshlrev_b32_e32 v119, 24, v23
	v_ffbh_u32_e32 v3, v2
	v_cmp_eq_u32_e32 vcc_lo, 0, v30
	v_min_u32_e32 v3, 32, v3
	v_subrev_nc_u32_e32 v22, 29, v3
	v_sub_nc_u32_e32 v3, 30, v3
	v_lshlrev_b32_e32 v22, v22, v23
	v_cndmask_b32_e32 v3, v30, v3, vcc_lo
	v_and_b32_e32 v22, 3, v22
	v_lshl_add_u32 v3, v3, 23, 0x37800000
	v_cndmask_b32_e32 v2, v2, v22, vcc_lo
	v_and_b32_e32 v22, 0x80000000, v119
	v_lshlrev_b32_e32 v2, 21, v2
	v_or3_b32 v22, v22, v3, v2
.LBB6_1433:                             ;   in Loop: Header=BB6_130 Depth=2
	s_or_b32 exec_lo, exec_lo, s29
	v_cmp_gt_i16_sdwa s29, v19, v57 src0_sel:BYTE_0 src1_sel:DWORD
	s_mov_b32 s13, 0
	s_and_saveexec_b32 s40, s29
	s_xor_b32 s29, exec_lo, s40
	s_cbranch_execz .LBB6_2722
; %bb.1434:                             ;   in Loop: Header=BB6_130 Depth=2
	v_cmp_eq_u16_sdwa s41, v19, v58 src0_sel:BYTE_0 src1_sel:DWORD
	s_mov_b32 s13, -1
	s_and_saveexec_b32 s40, s41
; %bb.1435:                             ;   in Loop: Header=BB6_130 Depth=2
	s_xor_b32 s13, exec_lo, -1
; %bb.1436:                             ;   in Loop: Header=BB6_130 Depth=2
	s_or_b32 exec_lo, exec_lo, s40
	s_and_b32 s13, s13, exec_lo
	s_or_saveexec_b32 s29, s29
	v_mov_b32_e32 v2, 0x7f800001
	s_xor_b32 exec_lo, exec_lo, s29
	s_cbranch_execnz .LBB6_2723
.LBB6_1437:                             ;   in Loop: Header=BB6_130 Depth=2
	s_or_b32 exec_lo, exec_lo, s29
	s_and_saveexec_b32 s29, s13
	s_cbranch_execz .LBB6_1439
.LBB6_1438:                             ;   in Loop: Header=BB6_130 Depth=2
	v_and_b32_e32 v2, 3, v19
	v_bfe_u32 v119, v19, 2, 5
	v_lshlrev_b32_e32 v40, 24, v19
	v_ffbh_u32_e32 v3, v2
	v_cmp_eq_u32_e32 vcc_lo, 0, v119
	v_min_u32_e32 v3, 32, v3
	v_subrev_nc_u32_e32 v30, 29, v3
	v_sub_nc_u32_e32 v3, 30, v3
	v_lshlrev_b32_e32 v30, v30, v19
	v_cndmask_b32_e32 v3, v119, v3, vcc_lo
	v_and_b32_e32 v30, 3, v30
	v_lshl_add_u32 v3, v3, 23, 0x37800000
	v_cndmask_b32_e32 v2, v2, v30, vcc_lo
	v_and_b32_e32 v30, 0x80000000, v40
	v_lshlrev_b32_e32 v2, 21, v2
	v_or3_b32 v2, v30, v3, v2
.LBB6_1439:                             ;   in Loop: Header=BB6_130 Depth=2
	s_or_b32 exec_lo, exec_lo, s29
	v_max_f32_e32 v2, v2, v2
	v_max_f32_e32 v3, v22, v22
	s_mov_b32 s13, 0
	v_max_f32_e32 v119, v3, v2
.LBB6_1440:                             ;   in Loop: Header=BB6_130 Depth=2
	s_and_b32 vcc_lo, exec_lo, s13
	s_cbranch_vccz .LBB6_1454
; %bb.1441:                             ;   in Loop: Header=BB6_130 Depth=2
	v_cmp_gt_i16_sdwa s29, v23, v57 src0_sel:BYTE_0 src1_sel:DWORD
	s_mov_b32 s13, 0
	s_and_saveexec_b32 s40, s29
	s_xor_b32 s29, exec_lo, s40
	s_cbranch_execz .LBB6_2724
; %bb.1442:                             ;   in Loop: Header=BB6_130 Depth=2
	v_cmp_eq_u16_sdwa s41, v23, v58 src0_sel:BYTE_0 src1_sel:DWORD
	s_mov_b32 s13, -1
	s_and_saveexec_b32 s40, s41
; %bb.1443:                             ;   in Loop: Header=BB6_130 Depth=2
	s_xor_b32 s13, exec_lo, -1
; %bb.1444:                             ;   in Loop: Header=BB6_130 Depth=2
	s_or_b32 exec_lo, exec_lo, s40
	s_and_b32 s13, s13, exec_lo
	s_or_saveexec_b32 s29, s29
	v_mov_b32_e32 v22, 0x7f800001
	s_xor_b32 exec_lo, exec_lo, s29
	s_cbranch_execnz .LBB6_2725
.LBB6_1445:                             ;   in Loop: Header=BB6_130 Depth=2
	s_or_b32 exec_lo, exec_lo, s29
	s_and_saveexec_b32 s29, s13
	s_cbranch_execz .LBB6_1447
.LBB6_1446:                             ;   in Loop: Header=BB6_130 Depth=2
	v_and_b32_e32 v2, 3, v23
	v_bfe_u32 v30, v23, 2, 5
	v_lshlrev_b32_e32 v119, 24, v23
	v_ffbh_u32_e32 v3, v2
	v_cmp_eq_u32_e32 vcc_lo, 0, v30
	v_min_u32_e32 v3, 32, v3
	v_subrev_nc_u32_e32 v22, 29, v3
	v_sub_nc_u32_e32 v3, 30, v3
	v_lshlrev_b32_e32 v22, v22, v23
	v_cndmask_b32_e32 v3, v30, v3, vcc_lo
	v_and_b32_e32 v22, 3, v22
	v_lshl_add_u32 v3, v3, 23, 0x37800000
	v_cndmask_b32_e32 v2, v2, v22, vcc_lo
	v_and_b32_e32 v22, 0x80000000, v119
	v_lshlrev_b32_e32 v2, 21, v2
	v_or3_b32 v22, v22, v3, v2
.LBB6_1447:                             ;   in Loop: Header=BB6_130 Depth=2
	s_or_b32 exec_lo, exec_lo, s29
	v_cmp_gt_i16_sdwa s29, v19, v57 src0_sel:BYTE_0 src1_sel:DWORD
	s_mov_b32 s13, 0
	s_and_saveexec_b32 s40, s29
	s_xor_b32 s29, exec_lo, s40
	s_cbranch_execz .LBB6_2726
; %bb.1448:                             ;   in Loop: Header=BB6_130 Depth=2
	v_cmp_eq_u16_sdwa s41, v19, v58 src0_sel:BYTE_0 src1_sel:DWORD
	s_mov_b32 s13, -1
	s_and_saveexec_b32 s40, s41
; %bb.1449:                             ;   in Loop: Header=BB6_130 Depth=2
	s_xor_b32 s13, exec_lo, -1
; %bb.1450:                             ;   in Loop: Header=BB6_130 Depth=2
	s_or_b32 exec_lo, exec_lo, s40
	s_and_b32 s13, s13, exec_lo
	s_or_saveexec_b32 s29, s29
	v_mov_b32_e32 v2, 0x7f800001
	s_xor_b32 exec_lo, exec_lo, s29
	s_cbranch_execnz .LBB6_2727
.LBB6_1451:                             ;   in Loop: Header=BB6_130 Depth=2
	s_or_b32 exec_lo, exec_lo, s29
	s_and_saveexec_b32 s29, s13
	s_cbranch_execz .LBB6_1453
.LBB6_1452:                             ;   in Loop: Header=BB6_130 Depth=2
	v_and_b32_e32 v2, 3, v19
	v_bfe_u32 v119, v19, 2, 5
	v_lshlrev_b32_e32 v40, 24, v19
	v_ffbh_u32_e32 v3, v2
	v_cmp_eq_u32_e32 vcc_lo, 0, v119
	v_min_u32_e32 v3, 32, v3
	v_subrev_nc_u32_e32 v30, 29, v3
	v_sub_nc_u32_e32 v3, 30, v3
	v_lshlrev_b32_e32 v30, v30, v19
	v_cndmask_b32_e32 v3, v119, v3, vcc_lo
	v_and_b32_e32 v30, 3, v30
	v_lshl_add_u32 v3, v3, 23, 0x37800000
	v_cndmask_b32_e32 v2, v2, v30, vcc_lo
	v_and_b32_e32 v30, 0x80000000, v40
	v_lshlrev_b32_e32 v2, 21, v2
	v_or3_b32 v2, v30, v3, v2
.LBB6_1453:                             ;   in Loop: Header=BB6_130 Depth=2
	s_or_b32 exec_lo, exec_lo, s29
	v_max_f32_e32 v2, v2, v2
	v_max_f32_e32 v3, v22, v22
	v_min_f32_e32 v119, v3, v2
.LBB6_1454:                             ;   in Loop: Header=BB6_130 Depth=2
	v_and_b32_e32 v2, 0x7f800000, v119
	v_mov_b32_e32 v22, 0x80
	s_mov_b32 s29, exec_lo
	v_cmpx_ne_u32_e32 0x7f800000, v2
	s_cbranch_execz .LBB6_1462
; %bb.1455:                             ;   in Loop: Header=BB6_130 Depth=2
	v_mov_b32_e32 v22, 0
	s_mov_b32 s40, exec_lo
	v_cmpx_ne_u32_e32 0, v119
	s_cbranch_execz .LBB6_1461
; %bb.1456:                             ;   in Loop: Header=BB6_130 Depth=2
	v_bfe_u32 v2, v119, 23, 8
	v_and_b32_e32 v3, 0x7fffff, v119
	v_sub_nc_u32_e32 v22, 0x70, v2
	v_cmp_gt_u32_e32 vcc_lo, 0x71, v2
	v_or_b32_e32 v30, 0x800000, v3
	v_cndmask_b32_e32 v22, 0, v22, vcc_lo
	v_cmp_eq_u32_e32 vcc_lo, 0, v2
	v_add_nc_u32_e32 v2, 0xffffff91, v2
	v_cndmask_b32_e64 v22, v22, 0x6f, vcc_lo
	v_cndmask_b32_e32 v3, v30, v3, vcc_lo
	v_cndmask_b32_e64 v2, v2, 0xffffff92, vcc_lo
	v_lshl_add_u32 v30, 0x200000, v22, -1
	v_lshrrev_b32_e32 v40, v22, v3
	v_lshlrev_b32_e64 v106, v22, 0x100000
	v_and_b32_e32 v3, v30, v3
	v_bfe_u32 v42, v40, 21, 1
	v_cmp_eq_u32_e64 s13, v3, v106
	v_add_nc_u32_e32 v30, -1, v42
	v_lshrrev_b32_e32 v42, 23, v40
	v_cndmask_b32_e64 v3, 0, v30, s13
	s_mov_b32 s13, exec_lo
	v_add_nc_u32_e32 v30, v3, v40
	v_add_nc_u32_e32 v3, v22, v2
                                        ; implicit-def: $vgpr22
	v_and_b32_e32 v2, 0x1fffff, v30
	v_xor_b32_e32 v30, 1, v42
	v_add_nc_u32_e32 v2, v2, v40
	v_cmpx_ne_u32_e64 v3, v30
	s_xor_b32 s13, exec_lo, s13
; %bb.1457:                             ;   in Loop: Header=BB6_130 Depth=2
	v_cmp_lt_u32_e32 vcc_lo, 0xffffff, v2
	v_sub_nc_u32_e32 v3, v3, v30
	v_cndmask_b32_e64 v30, 0, 1, vcc_lo
	v_add_co_ci_u32_e64 v22, null, 0, v3, vcc_lo
	v_lshrrev_b32_e32 v2, v30, v2
; %bb.1458:                             ;   in Loop: Header=BB6_130 Depth=2
	s_andn2_saveexec_b32 s13, s13
; %bb.1459:                             ;   in Loop: Header=BB6_130 Depth=2
	v_bfe_u32 v22, v2, 23, 1
; %bb.1460:                             ;   in Loop: Header=BB6_130 Depth=2
	s_or_b32 exec_lo, exec_lo, s13
	v_lshrrev_b32_e32 v2, 21, v2
	v_min_i32_e32 v3, 31, v22
	v_cmp_gt_i32_e32 vcc_lo, 32, v22
	v_and_b32_sdwa v30, v119, v58 dst_sel:DWORD dst_unused:UNUSED_PAD src0_sel:BYTE_3 src1_sel:DWORD
	v_lshlrev_b32_e32 v3, 2, v3
	v_cndmask_b32_e32 v2, 3, v2, vcc_lo
	v_and_b32_e32 v3, 0xfc, v3
	v_and_b32_e32 v119, 3, v2
	v_or_b32_e32 v2, v22, v2
	v_or3_b32 v3, v3, v30, v119
	v_cmp_ne_u32_e32 vcc_lo, 0, v2
	v_cndmask_b32_e32 v22, 0, v3, vcc_lo
.LBB6_1461:                             ;   in Loop: Header=BB6_130 Depth=2
	s_or_b32 exec_lo, exec_lo, s40
.LBB6_1462:                             ;   in Loop: Header=BB6_130 Depth=2
	s_or_b32 exec_lo, exec_lo, s29
	v_cmp_gt_i16_sdwa s29, v23, v57 src0_sel:BYTE_1 src1_sel:DWORD
	s_andn2_b32 vcc_lo, exec_lo, s28
	s_mov_b32 s13, -1
                                        ; implicit-def: $vgpr119
	s_cbranch_vccnz .LBB6_1476
; %bb.1463:                             ;   in Loop: Header=BB6_130 Depth=2
	s_mov_b32 s13, 0
	s_and_saveexec_b32 s40, s29
	s_xor_b32 s29, exec_lo, s40
	s_cbranch_execz .LBB6_2728
; %bb.1464:                             ;   in Loop: Header=BB6_130 Depth=2
	v_cmp_eq_u16_sdwa s41, v23, v58 src0_sel:BYTE_1 src1_sel:DWORD
	s_mov_b32 s13, -1
	s_and_saveexec_b32 s40, s41
; %bb.1465:                             ;   in Loop: Header=BB6_130 Depth=2
	s_xor_b32 s13, exec_lo, -1
; %bb.1466:                             ;   in Loop: Header=BB6_130 Depth=2
	s_or_b32 exec_lo, exec_lo, s40
	s_and_b32 s13, s13, exec_lo
	s_or_saveexec_b32 s29, s29
	v_mov_b32_e32 v119, 0x7f800001
	s_xor_b32 exec_lo, exec_lo, s29
	s_cbranch_execnz .LBB6_2729
.LBB6_1467:                             ;   in Loop: Header=BB6_130 Depth=2
	s_or_b32 exec_lo, exec_lo, s29
	s_and_saveexec_b32 s29, s13
	s_cbranch_execz .LBB6_1469
.LBB6_1468:                             ;   in Loop: Header=BB6_130 Depth=2
	v_and_b32_sdwa v2, v59, v23 dst_sel:DWORD dst_unused:UNUSED_PAD src0_sel:DWORD src1_sel:BYTE_1
	v_and_b32_e32 v3, 3, v2
	v_bfe_u32 v40, v2, 2, 5
	v_ffbh_u32_e32 v30, v3
	v_cmp_eq_u32_e32 vcc_lo, 0, v40
	v_min_u32_e32 v30, 32, v30
	v_subrev_nc_u32_e32 v119, 29, v30
	v_sub_nc_u32_e32 v30, 30, v30
	v_lshlrev_b32_e32 v2, v119, v2
	v_lshlrev_b32_e32 v119, 16, v23
	v_cndmask_b32_e32 v30, v40, v30, vcc_lo
	v_and_b32_e32 v2, 3, v2
	v_lshl_add_u32 v30, v30, 23, 0x37800000
	v_cndmask_b32_e32 v2, v3, v2, vcc_lo
	v_and_b32_e32 v3, 0x80000000, v119
	v_lshlrev_b32_e32 v2, 21, v2
	v_or3_b32 v119, v3, v30, v2
.LBB6_1469:                             ;   in Loop: Header=BB6_130 Depth=2
	s_or_b32 exec_lo, exec_lo, s29
	v_cmp_gt_i16_sdwa s29, v19, v57 src0_sel:BYTE_1 src1_sel:DWORD
	s_mov_b32 s13, 0
	s_and_saveexec_b32 s40, s29
	s_xor_b32 s29, exec_lo, s40
	s_cbranch_execz .LBB6_2730
; %bb.1470:                             ;   in Loop: Header=BB6_130 Depth=2
	v_cmp_eq_u16_sdwa s41, v19, v58 src0_sel:BYTE_1 src1_sel:DWORD
	s_mov_b32 s13, -1
	s_and_saveexec_b32 s40, s41
; %bb.1471:                             ;   in Loop: Header=BB6_130 Depth=2
	s_xor_b32 s13, exec_lo, -1
; %bb.1472:                             ;   in Loop: Header=BB6_130 Depth=2
	s_or_b32 exec_lo, exec_lo, s40
	s_and_b32 s13, s13, exec_lo
	s_or_saveexec_b32 s29, s29
	v_mov_b32_e32 v2, 0x7f800001
	s_xor_b32 exec_lo, exec_lo, s29
	s_cbranch_execnz .LBB6_2731
.LBB6_1473:                             ;   in Loop: Header=BB6_130 Depth=2
	s_or_b32 exec_lo, exec_lo, s29
	s_and_saveexec_b32 s29, s13
	s_cbranch_execz .LBB6_1475
.LBB6_1474:                             ;   in Loop: Header=BB6_130 Depth=2
	v_and_b32_sdwa v2, v59, v19 dst_sel:DWORD dst_unused:UNUSED_PAD src0_sel:DWORD src1_sel:BYTE_1
	v_and_b32_e32 v3, 3, v2
	v_bfe_u32 v42, v2, 2, 5
	v_ffbh_u32_e32 v30, v3
	v_cmp_eq_u32_e32 vcc_lo, 0, v42
	v_min_u32_e32 v30, 32, v30
	v_subrev_nc_u32_e32 v40, 29, v30
	v_sub_nc_u32_e32 v30, 30, v30
	v_lshlrev_b32_e32 v2, v40, v2
	v_lshlrev_b32_e32 v40, 16, v19
	v_cndmask_b32_e32 v30, v42, v30, vcc_lo
	v_and_b32_e32 v2, 3, v2
	v_lshl_add_u32 v30, v30, 23, 0x37800000
	v_cndmask_b32_e32 v2, v3, v2, vcc_lo
	v_and_b32_e32 v3, 0x80000000, v40
	v_lshlrev_b32_e32 v2, 21, v2
	v_or3_b32 v2, v3, v30, v2
.LBB6_1475:                             ;   in Loop: Header=BB6_130 Depth=2
	s_or_b32 exec_lo, exec_lo, s29
	v_max_f32_e32 v2, v2, v2
	v_max_f32_e32 v3, v119, v119
	s_mov_b32 s13, 0
	v_max_f32_e32 v119, v3, v2
.LBB6_1476:                             ;   in Loop: Header=BB6_130 Depth=2
	s_and_b32 vcc_lo, exec_lo, s13
	s_cbranch_vccz .LBB6_1490
; %bb.1477:                             ;   in Loop: Header=BB6_130 Depth=2
	v_cmp_gt_i16_sdwa s29, v23, v57 src0_sel:BYTE_1 src1_sel:DWORD
	s_mov_b32 s13, 0
	s_and_saveexec_b32 s40, s29
	s_xor_b32 s29, exec_lo, s40
	s_cbranch_execz .LBB6_2732
; %bb.1478:                             ;   in Loop: Header=BB6_130 Depth=2
	v_cmp_eq_u16_sdwa s41, v23, v58 src0_sel:BYTE_1 src1_sel:DWORD
	s_mov_b32 s13, -1
	s_and_saveexec_b32 s40, s41
; %bb.1479:                             ;   in Loop: Header=BB6_130 Depth=2
	s_xor_b32 s13, exec_lo, -1
; %bb.1480:                             ;   in Loop: Header=BB6_130 Depth=2
	s_or_b32 exec_lo, exec_lo, s40
	s_and_b32 s13, s13, exec_lo
	s_or_saveexec_b32 s29, s29
	v_mov_b32_e32 v119, 0x7f800001
	s_xor_b32 exec_lo, exec_lo, s29
	s_cbranch_execnz .LBB6_2733
.LBB6_1481:                             ;   in Loop: Header=BB6_130 Depth=2
	s_or_b32 exec_lo, exec_lo, s29
	s_and_saveexec_b32 s29, s13
	s_cbranch_execz .LBB6_1483
.LBB6_1482:                             ;   in Loop: Header=BB6_130 Depth=2
	v_and_b32_sdwa v2, v59, v23 dst_sel:DWORD dst_unused:UNUSED_PAD src0_sel:DWORD src1_sel:BYTE_1
	v_and_b32_e32 v3, 3, v2
	v_bfe_u32 v40, v2, 2, 5
	v_ffbh_u32_e32 v30, v3
	v_cmp_eq_u32_e32 vcc_lo, 0, v40
	v_min_u32_e32 v30, 32, v30
	v_subrev_nc_u32_e32 v119, 29, v30
	v_sub_nc_u32_e32 v30, 30, v30
	v_lshlrev_b32_e32 v2, v119, v2
	v_lshlrev_b32_e32 v119, 16, v23
	v_cndmask_b32_e32 v30, v40, v30, vcc_lo
	v_and_b32_e32 v2, 3, v2
	v_lshl_add_u32 v30, v30, 23, 0x37800000
	v_cndmask_b32_e32 v2, v3, v2, vcc_lo
	v_and_b32_e32 v3, 0x80000000, v119
	v_lshlrev_b32_e32 v2, 21, v2
	v_or3_b32 v119, v3, v30, v2
.LBB6_1483:                             ;   in Loop: Header=BB6_130 Depth=2
	s_or_b32 exec_lo, exec_lo, s29
	v_cmp_gt_i16_sdwa s29, v19, v57 src0_sel:BYTE_1 src1_sel:DWORD
	s_mov_b32 s13, 0
	s_and_saveexec_b32 s40, s29
	s_xor_b32 s29, exec_lo, s40
	s_cbranch_execz .LBB6_2734
; %bb.1484:                             ;   in Loop: Header=BB6_130 Depth=2
	v_cmp_eq_u16_sdwa s41, v19, v58 src0_sel:BYTE_1 src1_sel:DWORD
	s_mov_b32 s13, -1
	s_and_saveexec_b32 s40, s41
; %bb.1485:                             ;   in Loop: Header=BB6_130 Depth=2
	s_xor_b32 s13, exec_lo, -1
; %bb.1486:                             ;   in Loop: Header=BB6_130 Depth=2
	s_or_b32 exec_lo, exec_lo, s40
	s_and_b32 s13, s13, exec_lo
	s_or_saveexec_b32 s29, s29
	v_mov_b32_e32 v2, 0x7f800001
	s_xor_b32 exec_lo, exec_lo, s29
	s_cbranch_execnz .LBB6_2735
.LBB6_1487:                             ;   in Loop: Header=BB6_130 Depth=2
	s_or_b32 exec_lo, exec_lo, s29
	s_and_saveexec_b32 s29, s13
	s_cbranch_execz .LBB6_1489
.LBB6_1488:                             ;   in Loop: Header=BB6_130 Depth=2
	v_and_b32_sdwa v2, v59, v19 dst_sel:DWORD dst_unused:UNUSED_PAD src0_sel:DWORD src1_sel:BYTE_1
	v_and_b32_e32 v3, 3, v2
	v_bfe_u32 v42, v2, 2, 5
	v_ffbh_u32_e32 v30, v3
	v_cmp_eq_u32_e32 vcc_lo, 0, v42
	v_min_u32_e32 v30, 32, v30
	v_subrev_nc_u32_e32 v40, 29, v30
	v_sub_nc_u32_e32 v30, 30, v30
	v_lshlrev_b32_e32 v2, v40, v2
	v_lshlrev_b32_e32 v40, 16, v19
	v_cndmask_b32_e32 v30, v42, v30, vcc_lo
	v_and_b32_e32 v2, 3, v2
	v_lshl_add_u32 v30, v30, 23, 0x37800000
	v_cndmask_b32_e32 v2, v3, v2, vcc_lo
	v_and_b32_e32 v3, 0x80000000, v40
	v_lshlrev_b32_e32 v2, 21, v2
	v_or3_b32 v2, v3, v30, v2
.LBB6_1489:                             ;   in Loop: Header=BB6_130 Depth=2
	s_or_b32 exec_lo, exec_lo, s29
	v_max_f32_e32 v2, v2, v2
	v_max_f32_e32 v3, v119, v119
	v_min_f32_e32 v119, v3, v2
.LBB6_1490:                             ;   in Loop: Header=BB6_130 Depth=2
	v_and_b32_e32 v2, 0x7f800000, v119
	v_mov_b32_e32 v106, 0x8000
	s_mov_b32 s29, exec_lo
	v_cmpx_ne_u32_e32 0x7f800000, v2
	s_cbranch_execz .LBB6_1498
; %bb.1491:                             ;   in Loop: Header=BB6_130 Depth=2
	v_mov_b32_e32 v106, 0
	s_mov_b32 s40, exec_lo
	v_cmpx_ne_u32_e32 0, v119
	s_cbranch_execz .LBB6_1497
; %bb.1492:                             ;   in Loop: Header=BB6_130 Depth=2
	v_bfe_u32 v2, v119, 23, 8
	v_and_b32_e32 v3, 0x7fffff, v119
	v_sub_nc_u32_e32 v30, 0x70, v2
	v_cmp_gt_u32_e32 vcc_lo, 0x71, v2
	v_or_b32_e32 v40, 0x800000, v3
	v_cndmask_b32_e32 v30, 0, v30, vcc_lo
	v_cmp_eq_u32_e32 vcc_lo, 0, v2
	v_add_nc_u32_e32 v2, 0xffffff91, v2
	v_cndmask_b32_e64 v30, v30, 0x6f, vcc_lo
	v_cndmask_b32_e32 v3, v40, v3, vcc_lo
	v_cndmask_b32_e64 v2, v2, 0xffffff92, vcc_lo
	v_lshl_add_u32 v40, 0x200000, v30, -1
	v_lshrrev_b32_e32 v42, v30, v3
	v_lshlrev_b32_e64 v107, v30, 0x100000
	v_and_b32_e32 v3, v40, v3
	v_bfe_u32 v106, v42, 21, 1
	v_cmp_eq_u32_e64 s13, v3, v107
	v_add_nc_u32_e32 v40, -1, v106
	v_lshrrev_b32_e32 v106, 23, v42
	v_cndmask_b32_e64 v3, 0, v40, s13
	s_mov_b32 s13, exec_lo
	v_add_nc_u32_e32 v40, v3, v42
	v_add_nc_u32_e32 v3, v30, v2
                                        ; implicit-def: $vgpr30
	v_and_b32_e32 v2, 0x1fffff, v40
	v_xor_b32_e32 v40, 1, v106
	v_add_nc_u32_e32 v2, v2, v42
	v_cmpx_ne_u32_e64 v3, v40
	s_xor_b32 s13, exec_lo, s13
; %bb.1493:                             ;   in Loop: Header=BB6_130 Depth=2
	v_cmp_lt_u32_e32 vcc_lo, 0xffffff, v2
	v_sub_nc_u32_e32 v3, v3, v40
	v_cndmask_b32_e64 v40, 0, 1, vcc_lo
	v_add_co_ci_u32_e64 v30, null, 0, v3, vcc_lo
	v_lshrrev_b32_e32 v2, v40, v2
; %bb.1494:                             ;   in Loop: Header=BB6_130 Depth=2
	s_andn2_saveexec_b32 s13, s13
; %bb.1495:                             ;   in Loop: Header=BB6_130 Depth=2
	v_bfe_u32 v30, v2, 23, 1
; %bb.1496:                             ;   in Loop: Header=BB6_130 Depth=2
	s_or_b32 exec_lo, exec_lo, s13
	v_lshrrev_b32_e32 v2, 21, v2
	v_min_i32_e32 v3, 31, v30
	v_cmp_gt_i32_e32 vcc_lo, 32, v30
	v_and_b32_sdwa v119, v119, v58 dst_sel:DWORD dst_unused:UNUSED_PAD src0_sel:BYTE_3 src1_sel:DWORD
	v_lshlrev_b32_e32 v3, 2, v3
	v_cndmask_b32_e32 v2, 3, v2, vcc_lo
	v_and_b32_e32 v3, 0xfc, v3
	v_and_b32_e32 v40, 3, v2
	v_or_b32_e32 v2, v30, v2
	v_or3_b32 v3, v119, v3, v40
	v_cmp_ne_u32_e32 vcc_lo, 0, v2
	v_lshlrev_b32_e32 v3, 8, v3
	v_cndmask_b32_e32 v106, 0, v3, vcc_lo
.LBB6_1497:                             ;   in Loop: Header=BB6_130 Depth=2
	s_or_b32 exec_lo, exec_lo, s40
.LBB6_1498:                             ;   in Loop: Header=BB6_130 Depth=2
	s_or_b32 exec_lo, exec_lo, s29
	v_and_b32_sdwa v119, v23, v60 dst_sel:DWORD dst_unused:UNUSED_PAD src0_sel:WORD_1 src1_sel:DWORD
	s_andn2_b32 vcc_lo, exec_lo, s28
	s_mov_b32 s29, -1
                                        ; implicit-def: $vgpr40
	v_cmp_lt_i16_e64 s13, 0x7f, v119
	s_cbranch_vccnz .LBB6_1512
; %bb.1499:                             ;   in Loop: Header=BB6_130 Depth=2
	s_mov_b32 s29, 0
	s_and_saveexec_b32 s40, s13
	s_xor_b32 s13, exec_lo, s40
	s_cbranch_execz .LBB6_2736
; %bb.1500:                             ;   in Loop: Header=BB6_130 Depth=2
	s_mov_b32 s29, -1
	s_mov_b32 s40, exec_lo
	v_cmpx_eq_u16_e32 0x80, v119
; %bb.1501:                             ;   in Loop: Header=BB6_130 Depth=2
	s_xor_b32 s29, exec_lo, -1
; %bb.1502:                             ;   in Loop: Header=BB6_130 Depth=2
	s_or_b32 exec_lo, exec_lo, s40
	s_and_b32 s29, s29, exec_lo
	s_or_saveexec_b32 s13, s13
	v_mov_b32_e32 v40, 0x7f800001
	s_xor_b32 exec_lo, exec_lo, s13
	s_cbranch_execnz .LBB6_2737
.LBB6_1503:                             ;   in Loop: Header=BB6_130 Depth=2
	s_or_b32 exec_lo, exec_lo, s13
	s_and_saveexec_b32 s13, s29
	s_cbranch_execz .LBB6_1505
.LBB6_1504:                             ;   in Loop: Header=BB6_130 Depth=2
	v_bfe_u32 v2, v23, 16, 2
	v_bfe_u32 v40, v23, 18, 5
	v_lshlrev_b32_sdwa v42, v61, v23 dst_sel:DWORD dst_unused:UNUSED_PAD src0_sel:DWORD src1_sel:WORD_1
	v_ffbh_u32_e32 v3, v2
	v_cmp_eq_u32_e32 vcc_lo, 0, v40
	v_min_u32_e32 v3, 32, v3
	v_subrev_nc_u32_e32 v30, 29, v3
	v_sub_nc_u32_e32 v3, 30, v3
	v_lshlrev_b32_sdwa v30, v30, v23 dst_sel:DWORD dst_unused:UNUSED_PAD src0_sel:DWORD src1_sel:WORD_1
	v_cndmask_b32_e32 v3, v40, v3, vcc_lo
	v_and_b32_e32 v30, 3, v30
	v_lshl_add_u32 v3, v3, 23, 0x37800000
	v_cndmask_b32_e32 v2, v2, v30, vcc_lo
	v_and_b32_e32 v30, 0x80000000, v42
	v_lshlrev_b32_e32 v2, 21, v2
	v_or3_b32 v40, v30, v3, v2
.LBB6_1505:                             ;   in Loop: Header=BB6_130 Depth=2
	s_or_b32 exec_lo, exec_lo, s13
	v_and_b32_sdwa v3, v19, v60 dst_sel:DWORD dst_unused:UNUSED_PAD src0_sel:WORD_1 src1_sel:DWORD
	s_mov_b32 s13, 0
	s_mov_b32 s29, exec_lo
	v_cmpx_lt_i16_e32 0x7f, v3
	s_xor_b32 s29, exec_lo, s29
	s_cbranch_execz .LBB6_2738
; %bb.1506:                             ;   in Loop: Header=BB6_130 Depth=2
	s_mov_b32 s13, -1
	s_mov_b32 s40, exec_lo
	v_cmpx_eq_u16_e32 0x80, v3
; %bb.1507:                             ;   in Loop: Header=BB6_130 Depth=2
	s_xor_b32 s13, exec_lo, -1
; %bb.1508:                             ;   in Loop: Header=BB6_130 Depth=2
	s_or_b32 exec_lo, exec_lo, s40
	s_and_b32 s13, s13, exec_lo
                                        ; implicit-def: $vgpr3
	s_or_saveexec_b32 s29, s29
	v_mov_b32_e32 v2, 0x7f800001
	s_xor_b32 exec_lo, exec_lo, s29
	s_cbranch_execnz .LBB6_2739
.LBB6_1509:                             ;   in Loop: Header=BB6_130 Depth=2
	s_or_b32 exec_lo, exec_lo, s29
	s_and_saveexec_b32 s29, s13
	s_cbranch_execz .LBB6_1511
.LBB6_1510:                             ;   in Loop: Header=BB6_130 Depth=2
	v_bfe_u32 v2, v19, 16, 2
	v_bfe_u32 v42, v19, 18, 5
	v_lshlrev_b32_sdwa v107, v61, v19 dst_sel:DWORD dst_unused:UNUSED_PAD src0_sel:DWORD src1_sel:WORD_1
	v_ffbh_u32_e32 v3, v2
	v_cmp_eq_u32_e32 vcc_lo, 0, v42
	v_min_u32_e32 v3, 32, v3
	v_subrev_nc_u32_e32 v30, 29, v3
	v_sub_nc_u32_e32 v3, 30, v3
	v_lshlrev_b32_sdwa v30, v30, v19 dst_sel:DWORD dst_unused:UNUSED_PAD src0_sel:DWORD src1_sel:WORD_1
	v_cndmask_b32_e32 v3, v42, v3, vcc_lo
	v_and_b32_e32 v30, 3, v30
	v_lshl_add_u32 v3, v3, 23, 0x37800000
	v_cndmask_b32_e32 v2, v2, v30, vcc_lo
	v_and_b32_e32 v30, 0x80000000, v107
	v_lshlrev_b32_e32 v2, 21, v2
	v_or3_b32 v2, v30, v3, v2
.LBB6_1511:                             ;   in Loop: Header=BB6_130 Depth=2
	s_or_b32 exec_lo, exec_lo, s29
	v_max_f32_e32 v2, v2, v2
	v_max_f32_e32 v3, v40, v40
	s_mov_b32 s29, 0
	v_max_f32_e32 v40, v3, v2
.LBB6_1512:                             ;   in Loop: Header=BB6_130 Depth=2
	s_and_b32 vcc_lo, exec_lo, s29
	s_cbranch_vccz .LBB6_1526
; %bb.1513:                             ;   in Loop: Header=BB6_130 Depth=2
	s_mov_b32 s13, 0
	s_mov_b32 s29, exec_lo
	v_cmpx_lt_i16_e32 0x7f, v119
	s_xor_b32 s29, exec_lo, s29
	s_cbranch_execz .LBB6_2740
; %bb.1514:                             ;   in Loop: Header=BB6_130 Depth=2
	s_mov_b32 s13, -1
	s_mov_b32 s40, exec_lo
	v_cmpx_eq_u16_e32 0x80, v119
; %bb.1515:                             ;   in Loop: Header=BB6_130 Depth=2
	s_xor_b32 s13, exec_lo, -1
; %bb.1516:                             ;   in Loop: Header=BB6_130 Depth=2
	s_or_b32 exec_lo, exec_lo, s40
	s_and_b32 s13, s13, exec_lo
                                        ; implicit-def: $vgpr119
	s_or_saveexec_b32 s29, s29
	v_mov_b32_e32 v40, 0x7f800001
	s_xor_b32 exec_lo, exec_lo, s29
	s_cbranch_execnz .LBB6_2741
.LBB6_1517:                             ;   in Loop: Header=BB6_130 Depth=2
	s_or_b32 exec_lo, exec_lo, s29
	s_and_saveexec_b32 s29, s13
	s_cbranch_execz .LBB6_1519
.LBB6_1518:                             ;   in Loop: Header=BB6_130 Depth=2
	v_bfe_u32 v2, v23, 16, 2
	v_bfe_u32 v119, v23, 18, 5
	v_lshlrev_b32_sdwa v40, v61, v23 dst_sel:DWORD dst_unused:UNUSED_PAD src0_sel:DWORD src1_sel:WORD_1
	v_ffbh_u32_e32 v3, v2
	v_cmp_eq_u32_e32 vcc_lo, 0, v119
	v_min_u32_e32 v3, 32, v3
	v_subrev_nc_u32_e32 v30, 29, v3
	v_sub_nc_u32_e32 v3, 30, v3
	v_lshlrev_b32_sdwa v30, v30, v23 dst_sel:DWORD dst_unused:UNUSED_PAD src0_sel:DWORD src1_sel:WORD_1
	v_cndmask_b32_e32 v3, v119, v3, vcc_lo
	v_and_b32_e32 v30, 3, v30
	v_lshl_add_u32 v3, v3, 23, 0x37800000
	v_cndmask_b32_e32 v2, v2, v30, vcc_lo
	v_and_b32_e32 v30, 0x80000000, v40
	v_lshlrev_b32_e32 v2, 21, v2
	v_or3_b32 v40, v30, v3, v2
.LBB6_1519:                             ;   in Loop: Header=BB6_130 Depth=2
	s_or_b32 exec_lo, exec_lo, s29
	v_and_b32_sdwa v3, v19, v60 dst_sel:DWORD dst_unused:UNUSED_PAD src0_sel:WORD_1 src1_sel:DWORD
	s_mov_b32 s13, 0
	s_mov_b32 s29, exec_lo
	v_cmpx_lt_i16_e32 0x7f, v3
	s_xor_b32 s29, exec_lo, s29
	s_cbranch_execz .LBB6_2742
; %bb.1520:                             ;   in Loop: Header=BB6_130 Depth=2
	s_mov_b32 s13, -1
	s_mov_b32 s40, exec_lo
	v_cmpx_eq_u16_e32 0x80, v3
; %bb.1521:                             ;   in Loop: Header=BB6_130 Depth=2
	s_xor_b32 s13, exec_lo, -1
; %bb.1522:                             ;   in Loop: Header=BB6_130 Depth=2
	s_or_b32 exec_lo, exec_lo, s40
	s_and_b32 s13, s13, exec_lo
                                        ; implicit-def: $vgpr3
	s_or_saveexec_b32 s29, s29
	v_mov_b32_e32 v2, 0x7f800001
	s_xor_b32 exec_lo, exec_lo, s29
	s_cbranch_execnz .LBB6_2743
.LBB6_1523:                             ;   in Loop: Header=BB6_130 Depth=2
	s_or_b32 exec_lo, exec_lo, s29
	s_and_saveexec_b32 s29, s13
	s_cbranch_execz .LBB6_1525
.LBB6_1524:                             ;   in Loop: Header=BB6_130 Depth=2
	v_bfe_u32 v2, v19, 16, 2
	v_bfe_u32 v119, v19, 18, 5
	v_lshlrev_b32_sdwa v42, v61, v19 dst_sel:DWORD dst_unused:UNUSED_PAD src0_sel:DWORD src1_sel:WORD_1
	v_ffbh_u32_e32 v3, v2
	v_cmp_eq_u32_e32 vcc_lo, 0, v119
	v_min_u32_e32 v3, 32, v3
	v_subrev_nc_u32_e32 v30, 29, v3
	v_sub_nc_u32_e32 v3, 30, v3
	v_lshlrev_b32_sdwa v30, v30, v19 dst_sel:DWORD dst_unused:UNUSED_PAD src0_sel:DWORD src1_sel:WORD_1
	v_cndmask_b32_e32 v3, v119, v3, vcc_lo
	v_and_b32_e32 v30, 3, v30
	v_lshl_add_u32 v3, v3, 23, 0x37800000
	v_cndmask_b32_e32 v2, v2, v30, vcc_lo
	v_and_b32_e32 v30, 0x80000000, v42
	v_lshlrev_b32_e32 v2, 21, v2
	v_or3_b32 v2, v30, v3, v2
.LBB6_1525:                             ;   in Loop: Header=BB6_130 Depth=2
	s_or_b32 exec_lo, exec_lo, s29
	v_max_f32_e32 v2, v2, v2
	v_max_f32_e32 v3, v40, v40
	v_min_f32_e32 v40, v3, v2
.LBB6_1526:                             ;   in Loop: Header=BB6_130 Depth=2
	v_and_b32_e32 v2, 0x7f800000, v40
	v_mov_b32_e32 v107, 0x80
	s_mov_b32 s29, exec_lo
	v_cmpx_ne_u32_e32 0x7f800000, v2
	s_cbranch_execz .LBB6_1534
; %bb.1527:                             ;   in Loop: Header=BB6_130 Depth=2
	v_mov_b32_e32 v107, 0
	s_mov_b32 s40, exec_lo
	v_cmpx_ne_u32_e32 0, v40
	s_cbranch_execz .LBB6_1533
; %bb.1528:                             ;   in Loop: Header=BB6_130 Depth=2
	v_bfe_u32 v2, v40, 23, 8
	v_and_b32_e32 v3, 0x7fffff, v40
	v_sub_nc_u32_e32 v30, 0x70, v2
	v_cmp_gt_u32_e32 vcc_lo, 0x71, v2
	v_or_b32_e32 v119, 0x800000, v3
	v_cndmask_b32_e32 v30, 0, v30, vcc_lo
	v_cmp_eq_u32_e32 vcc_lo, 0, v2
	v_add_nc_u32_e32 v2, 0xffffff91, v2
	v_cndmask_b32_e64 v30, v30, 0x6f, vcc_lo
	v_cndmask_b32_e32 v3, v119, v3, vcc_lo
	v_cndmask_b32_e64 v2, v2, 0xffffff92, vcc_lo
	v_lshl_add_u32 v119, 0x200000, v30, -1
	v_lshrrev_b32_e32 v42, v30, v3
	v_lshlrev_b32_e64 v108, v30, 0x100000
	v_and_b32_e32 v3, v119, v3
	v_bfe_u32 v107, v42, 21, 1
	v_cmp_eq_u32_e64 s13, v3, v108
	v_add_nc_u32_e32 v119, -1, v107
	v_lshrrev_b32_e32 v107, 23, v42
	v_cndmask_b32_e64 v3, 0, v119, s13
	s_mov_b32 s13, exec_lo
	v_add_nc_u32_e32 v119, v3, v42
	v_add_nc_u32_e32 v3, v30, v2
                                        ; implicit-def: $vgpr30
	v_and_b32_e32 v2, 0x1fffff, v119
	v_xor_b32_e32 v119, 1, v107
	v_add_nc_u32_e32 v2, v2, v42
	v_cmpx_ne_u32_e64 v3, v119
	s_xor_b32 s13, exec_lo, s13
; %bb.1529:                             ;   in Loop: Header=BB6_130 Depth=2
	v_cmp_lt_u32_e32 vcc_lo, 0xffffff, v2
	v_sub_nc_u32_e32 v3, v3, v119
	v_cndmask_b32_e64 v119, 0, 1, vcc_lo
	v_add_co_ci_u32_e64 v30, null, 0, v3, vcc_lo
	v_lshrrev_b32_e32 v2, v119, v2
; %bb.1530:                             ;   in Loop: Header=BB6_130 Depth=2
	s_andn2_saveexec_b32 s13, s13
; %bb.1531:                             ;   in Loop: Header=BB6_130 Depth=2
	v_bfe_u32 v30, v2, 23, 1
; %bb.1532:                             ;   in Loop: Header=BB6_130 Depth=2
	s_or_b32 exec_lo, exec_lo, s13
	v_lshrrev_b32_e32 v2, 21, v2
	v_min_i32_e32 v3, 31, v30
	v_cmp_gt_i32_e32 vcc_lo, 32, v30
	v_and_b32_sdwa v119, v40, v58 dst_sel:DWORD dst_unused:UNUSED_PAD src0_sel:BYTE_3 src1_sel:DWORD
	v_lshlrev_b32_e32 v3, 2, v3
	v_cndmask_b32_e32 v2, 3, v2, vcc_lo
	v_and_b32_e32 v3, 0xfc, v3
	v_and_b32_e32 v40, 3, v2
	v_or_b32_e32 v2, v30, v2
	v_or3_b32 v3, v3, v119, v40
	v_cmp_ne_u32_e32 vcc_lo, 0, v2
	v_cndmask_b32_e32 v107, 0, v3, vcc_lo
.LBB6_1533:                             ;   in Loop: Header=BB6_130 Depth=2
	s_or_b32 exec_lo, exec_lo, s40
.LBB6_1534:                             ;   in Loop: Header=BB6_130 Depth=2
	s_or_b32 exec_lo, exec_lo, s29
	v_cmp_gt_i16_sdwa s29, v23, v57 src0_sel:BYTE_3 src1_sel:DWORD
	s_andn2_b32 vcc_lo, exec_lo, s28
	s_mov_b32 s13, -1
                                        ; implicit-def: $vgpr119
	s_cbranch_vccnz .LBB6_1548
; %bb.1535:                             ;   in Loop: Header=BB6_130 Depth=2
	s_mov_b32 s13, 0
	s_and_saveexec_b32 s40, s29
	s_xor_b32 s29, exec_lo, s40
	s_cbranch_execz .LBB6_2744
; %bb.1536:                             ;   in Loop: Header=BB6_130 Depth=2
	v_cmp_eq_u16_sdwa s41, v23, v58 src0_sel:BYTE_3 src1_sel:DWORD
	s_mov_b32 s13, -1
	s_and_saveexec_b32 s40, s41
; %bb.1537:                             ;   in Loop: Header=BB6_130 Depth=2
	s_xor_b32 s13, exec_lo, -1
; %bb.1538:                             ;   in Loop: Header=BB6_130 Depth=2
	s_or_b32 exec_lo, exec_lo, s40
	s_and_b32 s13, s13, exec_lo
	s_or_saveexec_b32 s29, s29
	v_mov_b32_e32 v119, 0x7f800001
	s_xor_b32 exec_lo, exec_lo, s29
	s_cbranch_execnz .LBB6_2745
.LBB6_1539:                             ;   in Loop: Header=BB6_130 Depth=2
	s_or_b32 exec_lo, exec_lo, s29
	s_and_saveexec_b32 s29, s13
	s_cbranch_execz .LBB6_1541
.LBB6_1540:                             ;   in Loop: Header=BB6_130 Depth=2
	v_bfe_u32 v2, v23, 24, 2
	v_bfe_u32 v119, v23, 26, 5
	v_ffbh_u32_e32 v3, v2
	v_cmp_eq_u32_e32 vcc_lo, 0, v119
	v_min_u32_e32 v3, 32, v3
	v_subrev_nc_u32_e32 v30, 29, v3
	v_sub_nc_u32_e32 v3, 30, v3
	v_lshlrev_b32_sdwa v30, v30, v23 dst_sel:DWORD dst_unused:UNUSED_PAD src0_sel:DWORD src1_sel:BYTE_3
	v_cndmask_b32_e32 v3, v119, v3, vcc_lo
	v_and_b32_e32 v30, 3, v30
	v_lshl_add_u32 v3, v3, 23, 0x37800000
	v_cndmask_b32_e32 v2, v2, v30, vcc_lo
	v_and_b32_e32 v30, 0x80000000, v23
	v_lshlrev_b32_e32 v2, 21, v2
	v_or3_b32 v119, v30, v3, v2
.LBB6_1541:                             ;   in Loop: Header=BB6_130 Depth=2
	s_or_b32 exec_lo, exec_lo, s29
	v_cmp_gt_i16_sdwa s29, v19, v57 src0_sel:BYTE_3 src1_sel:DWORD
	s_mov_b32 s13, 0
	s_and_saveexec_b32 s40, s29
	s_xor_b32 s29, exec_lo, s40
	s_cbranch_execz .LBB6_2746
; %bb.1542:                             ;   in Loop: Header=BB6_130 Depth=2
	v_cmp_eq_u16_sdwa s41, v19, v58 src0_sel:BYTE_3 src1_sel:DWORD
	s_mov_b32 s13, -1
	s_and_saveexec_b32 s40, s41
; %bb.1543:                             ;   in Loop: Header=BB6_130 Depth=2
	s_xor_b32 s13, exec_lo, -1
; %bb.1544:                             ;   in Loop: Header=BB6_130 Depth=2
	s_or_b32 exec_lo, exec_lo, s40
	s_and_b32 s13, s13, exec_lo
	s_or_saveexec_b32 s29, s29
	v_mov_b32_e32 v2, 0x7f800001
	s_xor_b32 exec_lo, exec_lo, s29
	s_cbranch_execnz .LBB6_2747
.LBB6_1545:                             ;   in Loop: Header=BB6_130 Depth=2
	s_or_b32 exec_lo, exec_lo, s29
	s_and_saveexec_b32 s29, s13
	s_cbranch_execz .LBB6_1547
.LBB6_1546:                             ;   in Loop: Header=BB6_130 Depth=2
	v_bfe_u32 v2, v19, 24, 2
	v_bfe_u32 v40, v19, 26, 5
	v_ffbh_u32_e32 v3, v2
	v_cmp_eq_u32_e32 vcc_lo, 0, v40
	v_min_u32_e32 v3, 32, v3
	v_subrev_nc_u32_e32 v30, 29, v3
	v_sub_nc_u32_e32 v3, 30, v3
	v_lshlrev_b32_sdwa v30, v30, v19 dst_sel:DWORD dst_unused:UNUSED_PAD src0_sel:DWORD src1_sel:BYTE_3
	v_cndmask_b32_e32 v3, v40, v3, vcc_lo
	v_and_b32_e32 v30, 3, v30
	v_lshl_add_u32 v3, v3, 23, 0x37800000
	v_cndmask_b32_e32 v2, v2, v30, vcc_lo
	v_and_b32_e32 v30, 0x80000000, v19
	v_lshlrev_b32_e32 v2, 21, v2
	v_or3_b32 v2, v30, v3, v2
.LBB6_1547:                             ;   in Loop: Header=BB6_130 Depth=2
	s_or_b32 exec_lo, exec_lo, s29
	v_max_f32_e32 v2, v2, v2
	v_max_f32_e32 v3, v119, v119
	s_mov_b32 s13, 0
	v_max_f32_e32 v119, v3, v2
.LBB6_1548:                             ;   in Loop: Header=BB6_130 Depth=2
	s_and_b32 vcc_lo, exec_lo, s13
	s_cbranch_vccz .LBB6_1562
; %bb.1549:                             ;   in Loop: Header=BB6_130 Depth=2
	v_cmp_gt_i16_sdwa s29, v23, v57 src0_sel:BYTE_3 src1_sel:DWORD
	s_mov_b32 s13, 0
	s_and_saveexec_b32 s40, s29
	s_xor_b32 s29, exec_lo, s40
	s_cbranch_execz .LBB6_2748
; %bb.1550:                             ;   in Loop: Header=BB6_130 Depth=2
	v_cmp_eq_u16_sdwa s41, v23, v58 src0_sel:BYTE_3 src1_sel:DWORD
	s_mov_b32 s13, -1
	s_and_saveexec_b32 s40, s41
; %bb.1551:                             ;   in Loop: Header=BB6_130 Depth=2
	s_xor_b32 s13, exec_lo, -1
; %bb.1552:                             ;   in Loop: Header=BB6_130 Depth=2
	s_or_b32 exec_lo, exec_lo, s40
	s_and_b32 s13, s13, exec_lo
	s_or_saveexec_b32 s29, s29
	v_mov_b32_e32 v119, 0x7f800001
	s_xor_b32 exec_lo, exec_lo, s29
	s_cbranch_execnz .LBB6_2749
.LBB6_1553:                             ;   in Loop: Header=BB6_130 Depth=2
	s_or_b32 exec_lo, exec_lo, s29
	s_and_saveexec_b32 s29, s13
	s_cbranch_execz .LBB6_1555
.LBB6_1554:                             ;   in Loop: Header=BB6_130 Depth=2
	v_bfe_u32 v2, v23, 24, 2
	v_bfe_u32 v119, v23, 26, 5
	v_ffbh_u32_e32 v3, v2
	v_cmp_eq_u32_e32 vcc_lo, 0, v119
	v_min_u32_e32 v3, 32, v3
	v_subrev_nc_u32_e32 v30, 29, v3
	v_sub_nc_u32_e32 v3, 30, v3
	v_lshlrev_b32_sdwa v30, v30, v23 dst_sel:DWORD dst_unused:UNUSED_PAD src0_sel:DWORD src1_sel:BYTE_3
	v_cndmask_b32_e32 v3, v119, v3, vcc_lo
	v_and_b32_e32 v23, 0x80000000, v23
	v_and_b32_e32 v30, 3, v30
	v_lshl_add_u32 v3, v3, 23, 0x37800000
	v_cndmask_b32_e32 v2, v2, v30, vcc_lo
	v_lshlrev_b32_e32 v2, 21, v2
	v_or3_b32 v119, v23, v3, v2
.LBB6_1555:                             ;   in Loop: Header=BB6_130 Depth=2
	s_or_b32 exec_lo, exec_lo, s29
	v_cmp_gt_i16_sdwa s29, v19, v57 src0_sel:BYTE_3 src1_sel:DWORD
	s_mov_b32 s13, 0
	s_and_saveexec_b32 s40, s29
	s_xor_b32 s29, exec_lo, s40
	s_cbranch_execz .LBB6_2750
; %bb.1556:                             ;   in Loop: Header=BB6_130 Depth=2
	v_cmp_eq_u16_sdwa s41, v19, v58 src0_sel:BYTE_3 src1_sel:DWORD
	s_mov_b32 s13, -1
	s_and_saveexec_b32 s40, s41
; %bb.1557:                             ;   in Loop: Header=BB6_130 Depth=2
	s_xor_b32 s13, exec_lo, -1
; %bb.1558:                             ;   in Loop: Header=BB6_130 Depth=2
	s_or_b32 exec_lo, exec_lo, s40
	s_and_b32 s13, s13, exec_lo
	s_or_saveexec_b32 s29, s29
	v_mov_b32_e32 v2, 0x7f800001
	s_xor_b32 exec_lo, exec_lo, s29
	s_cbranch_execnz .LBB6_2751
.LBB6_1559:                             ;   in Loop: Header=BB6_130 Depth=2
	s_or_b32 exec_lo, exec_lo, s29
	s_and_saveexec_b32 s29, s13
	s_cbranch_execz .LBB6_1561
.LBB6_1560:                             ;   in Loop: Header=BB6_130 Depth=2
	v_bfe_u32 v2, v19, 24, 2
	v_bfe_u32 v30, v19, 26, 5
	v_ffbh_u32_e32 v3, v2
	v_cmp_eq_u32_e32 vcc_lo, 0, v30
	v_min_u32_e32 v3, 32, v3
	v_subrev_nc_u32_e32 v23, 29, v3
	v_sub_nc_u32_e32 v3, 30, v3
	v_lshlrev_b32_sdwa v23, v23, v19 dst_sel:DWORD dst_unused:UNUSED_PAD src0_sel:DWORD src1_sel:BYTE_3
	v_cndmask_b32_e32 v3, v30, v3, vcc_lo
	v_and_b32_e32 v19, 0x80000000, v19
	v_and_b32_e32 v23, 3, v23
	v_lshl_add_u32 v3, v3, 23, 0x37800000
	v_cndmask_b32_e32 v2, v2, v23, vcc_lo
	v_lshlrev_b32_e32 v2, 21, v2
	v_or3_b32 v2, v19, v3, v2
.LBB6_1561:                             ;   in Loop: Header=BB6_130 Depth=2
	s_or_b32 exec_lo, exec_lo, s29
	v_max_f32_e32 v2, v2, v2
	v_max_f32_e32 v3, v119, v119
	v_min_f32_e32 v119, v3, v2
.LBB6_1562:                             ;   in Loop: Header=BB6_130 Depth=2
	v_and_b32_e32 v2, 0x7f800000, v119
	v_mov_b32_e32 v19, 0x8000
	s_mov_b32 s29, exec_lo
	v_cmpx_ne_u32_e32 0x7f800000, v2
	s_cbranch_execz .LBB6_1570
; %bb.1563:                             ;   in Loop: Header=BB6_130 Depth=2
	v_mov_b32_e32 v19, 0
	s_mov_b32 s40, exec_lo
	v_cmpx_ne_u32_e32 0, v119
	s_cbranch_execz .LBB6_1569
; %bb.1564:                             ;   in Loop: Header=BB6_130 Depth=2
	v_bfe_u32 v2, v119, 23, 8
	v_and_b32_e32 v3, 0x7fffff, v119
	v_sub_nc_u32_e32 v19, 0x70, v2
	v_cmp_gt_u32_e32 vcc_lo, 0x71, v2
	v_or_b32_e32 v23, 0x800000, v3
	v_cndmask_b32_e32 v19, 0, v19, vcc_lo
	v_cmp_eq_u32_e32 vcc_lo, 0, v2
	v_add_nc_u32_e32 v2, 0xffffff91, v2
	v_cndmask_b32_e64 v19, v19, 0x6f, vcc_lo
	v_cndmask_b32_e32 v3, v23, v3, vcc_lo
	v_cndmask_b32_e64 v2, v2, 0xffffff92, vcc_lo
	v_lshl_add_u32 v23, 0x200000, v19, -1
	v_lshrrev_b32_e32 v30, v19, v3
	v_lshlrev_b32_e64 v42, v19, 0x100000
	v_and_b32_e32 v3, v23, v3
	v_bfe_u32 v40, v30, 21, 1
	v_cmp_eq_u32_e64 s13, v3, v42
	v_add_nc_u32_e32 v23, -1, v40
	v_lshrrev_b32_e32 v40, 23, v30
	v_cndmask_b32_e64 v3, 0, v23, s13
	s_mov_b32 s13, exec_lo
	v_add_nc_u32_e32 v23, v3, v30
	v_add_nc_u32_e32 v3, v19, v2
                                        ; implicit-def: $vgpr19
	v_and_b32_e32 v2, 0x1fffff, v23
	v_xor_b32_e32 v23, 1, v40
	v_add_nc_u32_e32 v2, v2, v30
	v_cmpx_ne_u32_e64 v3, v23
	s_xor_b32 s13, exec_lo, s13
; %bb.1565:                             ;   in Loop: Header=BB6_130 Depth=2
	v_cmp_lt_u32_e32 vcc_lo, 0xffffff, v2
	v_sub_nc_u32_e32 v3, v3, v23
	v_cndmask_b32_e64 v23, 0, 1, vcc_lo
	v_add_co_ci_u32_e64 v19, null, 0, v3, vcc_lo
	v_lshrrev_b32_e32 v2, v23, v2
; %bb.1566:                             ;   in Loop: Header=BB6_130 Depth=2
	s_andn2_saveexec_b32 s13, s13
; %bb.1567:                             ;   in Loop: Header=BB6_130 Depth=2
	v_bfe_u32 v19, v2, 23, 1
; %bb.1568:                             ;   in Loop: Header=BB6_130 Depth=2
	s_or_b32 exec_lo, exec_lo, s13
	v_lshrrev_b32_e32 v2, 21, v2
	v_min_i32_e32 v3, 31, v19
	v_cmp_gt_i32_e32 vcc_lo, 32, v19
	v_and_b32_sdwa v23, v119, v58 dst_sel:DWORD dst_unused:UNUSED_PAD src0_sel:BYTE_3 src1_sel:DWORD
	v_lshlrev_b32_e32 v3, 2, v3
	v_cndmask_b32_e32 v2, 3, v2, vcc_lo
	v_and_b32_e32 v3, 0xfc, v3
	v_and_b32_e32 v30, 3, v2
	v_or_b32_e32 v2, v19, v2
	v_or3_b32 v3, v23, v3, v30
	v_cmp_ne_u32_e32 vcc_lo, 0, v2
	v_lshlrev_b32_e32 v3, 8, v3
	v_cndmask_b32_e32 v19, 0, v3, vcc_lo
.LBB6_1569:                             ;   in Loop: Header=BB6_130 Depth=2
	s_or_b32 exec_lo, exec_lo, s40
.LBB6_1570:                             ;   in Loop: Header=BB6_130 Depth=2
	s_or_b32 exec_lo, exec_lo, s29
	v_cmp_gt_i16_sdwa s29, v24, v57 src0_sel:BYTE_0 src1_sel:DWORD
	s_andn2_b32 vcc_lo, exec_lo, s28
	s_mov_b32 s13, -1
                                        ; implicit-def: $vgpr119
	s_cbranch_vccnz .LBB6_1584
; %bb.1571:                             ;   in Loop: Header=BB6_130 Depth=2
	s_mov_b32 s13, 0
	s_and_saveexec_b32 s40, s29
	s_xor_b32 s29, exec_lo, s40
	s_cbranch_execz .LBB6_2752
; %bb.1572:                             ;   in Loop: Header=BB6_130 Depth=2
	v_cmp_eq_u16_sdwa s41, v24, v58 src0_sel:BYTE_0 src1_sel:DWORD
	s_mov_b32 s13, -1
	s_and_saveexec_b32 s40, s41
; %bb.1573:                             ;   in Loop: Header=BB6_130 Depth=2
	s_xor_b32 s13, exec_lo, -1
; %bb.1574:                             ;   in Loop: Header=BB6_130 Depth=2
	s_or_b32 exec_lo, exec_lo, s40
	s_and_b32 s13, s13, exec_lo
	s_or_saveexec_b32 s29, s29
	v_mov_b32_e32 v23, 0x7f800001
	s_xor_b32 exec_lo, exec_lo, s29
	s_cbranch_execnz .LBB6_2753
.LBB6_1575:                             ;   in Loop: Header=BB6_130 Depth=2
	s_or_b32 exec_lo, exec_lo, s29
	s_and_saveexec_b32 s29, s13
	s_cbranch_execz .LBB6_1577
.LBB6_1576:                             ;   in Loop: Header=BB6_130 Depth=2
	v_and_b32_e32 v2, 3, v24
	v_bfe_u32 v30, v24, 2, 5
	v_lshlrev_b32_e32 v119, 24, v24
	v_ffbh_u32_e32 v3, v2
	v_cmp_eq_u32_e32 vcc_lo, 0, v30
	v_min_u32_e32 v3, 32, v3
	v_subrev_nc_u32_e32 v23, 29, v3
	v_sub_nc_u32_e32 v3, 30, v3
	v_lshlrev_b32_e32 v23, v23, v24
	v_cndmask_b32_e32 v3, v30, v3, vcc_lo
	v_and_b32_e32 v23, 3, v23
	v_lshl_add_u32 v3, v3, 23, 0x37800000
	v_cndmask_b32_e32 v2, v2, v23, vcc_lo
	v_and_b32_e32 v23, 0x80000000, v119
	v_lshlrev_b32_e32 v2, 21, v2
	v_or3_b32 v23, v23, v3, v2
.LBB6_1577:                             ;   in Loop: Header=BB6_130 Depth=2
	s_or_b32 exec_lo, exec_lo, s29
	v_cmp_gt_i16_sdwa s29, v20, v57 src0_sel:BYTE_0 src1_sel:DWORD
	s_mov_b32 s13, 0
	s_and_saveexec_b32 s40, s29
	s_xor_b32 s29, exec_lo, s40
	s_cbranch_execz .LBB6_2754
; %bb.1578:                             ;   in Loop: Header=BB6_130 Depth=2
	v_cmp_eq_u16_sdwa s41, v20, v58 src0_sel:BYTE_0 src1_sel:DWORD
	s_mov_b32 s13, -1
	s_and_saveexec_b32 s40, s41
; %bb.1579:                             ;   in Loop: Header=BB6_130 Depth=2
	s_xor_b32 s13, exec_lo, -1
; %bb.1580:                             ;   in Loop: Header=BB6_130 Depth=2
	s_or_b32 exec_lo, exec_lo, s40
	s_and_b32 s13, s13, exec_lo
	s_or_saveexec_b32 s29, s29
	v_mov_b32_e32 v2, 0x7f800001
	s_xor_b32 exec_lo, exec_lo, s29
	s_cbranch_execnz .LBB6_2755
.LBB6_1581:                             ;   in Loop: Header=BB6_130 Depth=2
	s_or_b32 exec_lo, exec_lo, s29
	s_and_saveexec_b32 s29, s13
	s_cbranch_execz .LBB6_1583
.LBB6_1582:                             ;   in Loop: Header=BB6_130 Depth=2
	v_and_b32_e32 v2, 3, v20
	v_bfe_u32 v119, v20, 2, 5
	v_lshlrev_b32_e32 v40, 24, v20
	v_ffbh_u32_e32 v3, v2
	v_cmp_eq_u32_e32 vcc_lo, 0, v119
	v_min_u32_e32 v3, 32, v3
	v_subrev_nc_u32_e32 v30, 29, v3
	v_sub_nc_u32_e32 v3, 30, v3
	v_lshlrev_b32_e32 v30, v30, v20
	v_cndmask_b32_e32 v3, v119, v3, vcc_lo
	v_and_b32_e32 v30, 3, v30
	v_lshl_add_u32 v3, v3, 23, 0x37800000
	v_cndmask_b32_e32 v2, v2, v30, vcc_lo
	v_and_b32_e32 v30, 0x80000000, v40
	v_lshlrev_b32_e32 v2, 21, v2
	v_or3_b32 v2, v30, v3, v2
.LBB6_1583:                             ;   in Loop: Header=BB6_130 Depth=2
	s_or_b32 exec_lo, exec_lo, s29
	v_max_f32_e32 v2, v2, v2
	v_max_f32_e32 v3, v23, v23
	s_mov_b32 s13, 0
	v_max_f32_e32 v119, v3, v2
.LBB6_1584:                             ;   in Loop: Header=BB6_130 Depth=2
	s_and_b32 vcc_lo, exec_lo, s13
	s_cbranch_vccz .LBB6_1598
; %bb.1585:                             ;   in Loop: Header=BB6_130 Depth=2
	v_cmp_gt_i16_sdwa s29, v24, v57 src0_sel:BYTE_0 src1_sel:DWORD
	s_mov_b32 s13, 0
	s_and_saveexec_b32 s40, s29
	s_xor_b32 s29, exec_lo, s40
	s_cbranch_execz .LBB6_2756
; %bb.1586:                             ;   in Loop: Header=BB6_130 Depth=2
	v_cmp_eq_u16_sdwa s41, v24, v58 src0_sel:BYTE_0 src1_sel:DWORD
	s_mov_b32 s13, -1
	s_and_saveexec_b32 s40, s41
; %bb.1587:                             ;   in Loop: Header=BB6_130 Depth=2
	s_xor_b32 s13, exec_lo, -1
; %bb.1588:                             ;   in Loop: Header=BB6_130 Depth=2
	s_or_b32 exec_lo, exec_lo, s40
	s_and_b32 s13, s13, exec_lo
	s_or_saveexec_b32 s29, s29
	v_mov_b32_e32 v23, 0x7f800001
	s_xor_b32 exec_lo, exec_lo, s29
	s_cbranch_execnz .LBB6_2757
.LBB6_1589:                             ;   in Loop: Header=BB6_130 Depth=2
	s_or_b32 exec_lo, exec_lo, s29
	s_and_saveexec_b32 s29, s13
	s_cbranch_execz .LBB6_1591
.LBB6_1590:                             ;   in Loop: Header=BB6_130 Depth=2
	v_and_b32_e32 v2, 3, v24
	v_bfe_u32 v30, v24, 2, 5
	v_lshlrev_b32_e32 v119, 24, v24
	v_ffbh_u32_e32 v3, v2
	v_cmp_eq_u32_e32 vcc_lo, 0, v30
	v_min_u32_e32 v3, 32, v3
	v_subrev_nc_u32_e32 v23, 29, v3
	v_sub_nc_u32_e32 v3, 30, v3
	v_lshlrev_b32_e32 v23, v23, v24
	v_cndmask_b32_e32 v3, v30, v3, vcc_lo
	v_and_b32_e32 v23, 3, v23
	v_lshl_add_u32 v3, v3, 23, 0x37800000
	v_cndmask_b32_e32 v2, v2, v23, vcc_lo
	v_and_b32_e32 v23, 0x80000000, v119
	v_lshlrev_b32_e32 v2, 21, v2
	v_or3_b32 v23, v23, v3, v2
.LBB6_1591:                             ;   in Loop: Header=BB6_130 Depth=2
	s_or_b32 exec_lo, exec_lo, s29
	v_cmp_gt_i16_sdwa s29, v20, v57 src0_sel:BYTE_0 src1_sel:DWORD
	s_mov_b32 s13, 0
	s_and_saveexec_b32 s40, s29
	s_xor_b32 s29, exec_lo, s40
	s_cbranch_execz .LBB6_2758
; %bb.1592:                             ;   in Loop: Header=BB6_130 Depth=2
	v_cmp_eq_u16_sdwa s41, v20, v58 src0_sel:BYTE_0 src1_sel:DWORD
	s_mov_b32 s13, -1
	s_and_saveexec_b32 s40, s41
; %bb.1593:                             ;   in Loop: Header=BB6_130 Depth=2
	s_xor_b32 s13, exec_lo, -1
; %bb.1594:                             ;   in Loop: Header=BB6_130 Depth=2
	s_or_b32 exec_lo, exec_lo, s40
	s_and_b32 s13, s13, exec_lo
	s_or_saveexec_b32 s29, s29
	v_mov_b32_e32 v2, 0x7f800001
	s_xor_b32 exec_lo, exec_lo, s29
	s_cbranch_execnz .LBB6_2759
.LBB6_1595:                             ;   in Loop: Header=BB6_130 Depth=2
	s_or_b32 exec_lo, exec_lo, s29
	s_and_saveexec_b32 s29, s13
	s_cbranch_execz .LBB6_1597
.LBB6_1596:                             ;   in Loop: Header=BB6_130 Depth=2
	v_and_b32_e32 v2, 3, v20
	v_bfe_u32 v119, v20, 2, 5
	v_lshlrev_b32_e32 v40, 24, v20
	v_ffbh_u32_e32 v3, v2
	v_cmp_eq_u32_e32 vcc_lo, 0, v119
	v_min_u32_e32 v3, 32, v3
	v_subrev_nc_u32_e32 v30, 29, v3
	v_sub_nc_u32_e32 v3, 30, v3
	v_lshlrev_b32_e32 v30, v30, v20
	v_cndmask_b32_e32 v3, v119, v3, vcc_lo
	v_and_b32_e32 v30, 3, v30
	v_lshl_add_u32 v3, v3, 23, 0x37800000
	v_cndmask_b32_e32 v2, v2, v30, vcc_lo
	v_and_b32_e32 v30, 0x80000000, v40
	v_lshlrev_b32_e32 v2, 21, v2
	v_or3_b32 v2, v30, v3, v2
.LBB6_1597:                             ;   in Loop: Header=BB6_130 Depth=2
	s_or_b32 exec_lo, exec_lo, s29
	v_max_f32_e32 v2, v2, v2
	v_max_f32_e32 v3, v23, v23
	v_min_f32_e32 v119, v3, v2
.LBB6_1598:                             ;   in Loop: Header=BB6_130 Depth=2
	v_and_b32_e32 v2, 0x7f800000, v119
	v_mov_b32_e32 v23, 0x80
	s_mov_b32 s29, exec_lo
	v_cmpx_ne_u32_e32 0x7f800000, v2
	s_cbranch_execz .LBB6_1606
; %bb.1599:                             ;   in Loop: Header=BB6_130 Depth=2
	v_mov_b32_e32 v23, 0
	s_mov_b32 s40, exec_lo
	v_cmpx_ne_u32_e32 0, v119
	s_cbranch_execz .LBB6_1605
; %bb.1600:                             ;   in Loop: Header=BB6_130 Depth=2
	v_bfe_u32 v2, v119, 23, 8
	v_and_b32_e32 v3, 0x7fffff, v119
	v_sub_nc_u32_e32 v23, 0x70, v2
	v_cmp_gt_u32_e32 vcc_lo, 0x71, v2
	v_or_b32_e32 v30, 0x800000, v3
	v_cndmask_b32_e32 v23, 0, v23, vcc_lo
	v_cmp_eq_u32_e32 vcc_lo, 0, v2
	v_add_nc_u32_e32 v2, 0xffffff91, v2
	v_cndmask_b32_e64 v23, v23, 0x6f, vcc_lo
	v_cndmask_b32_e32 v3, v30, v3, vcc_lo
	v_cndmask_b32_e64 v2, v2, 0xffffff92, vcc_lo
	v_lshl_add_u32 v30, 0x200000, v23, -1
	v_lshrrev_b32_e32 v40, v23, v3
	v_lshlrev_b32_e64 v108, v23, 0x100000
	v_and_b32_e32 v3, v30, v3
	v_bfe_u32 v42, v40, 21, 1
	v_cmp_eq_u32_e64 s13, v3, v108
	v_add_nc_u32_e32 v30, -1, v42
	v_lshrrev_b32_e32 v42, 23, v40
	v_cndmask_b32_e64 v3, 0, v30, s13
	s_mov_b32 s13, exec_lo
	v_add_nc_u32_e32 v30, v3, v40
	v_add_nc_u32_e32 v3, v23, v2
                                        ; implicit-def: $vgpr23
	v_and_b32_e32 v2, 0x1fffff, v30
	v_xor_b32_e32 v30, 1, v42
	v_add_nc_u32_e32 v2, v2, v40
	v_cmpx_ne_u32_e64 v3, v30
	s_xor_b32 s13, exec_lo, s13
; %bb.1601:                             ;   in Loop: Header=BB6_130 Depth=2
	v_cmp_lt_u32_e32 vcc_lo, 0xffffff, v2
	v_sub_nc_u32_e32 v3, v3, v30
	v_cndmask_b32_e64 v30, 0, 1, vcc_lo
	v_add_co_ci_u32_e64 v23, null, 0, v3, vcc_lo
	v_lshrrev_b32_e32 v2, v30, v2
; %bb.1602:                             ;   in Loop: Header=BB6_130 Depth=2
	s_andn2_saveexec_b32 s13, s13
; %bb.1603:                             ;   in Loop: Header=BB6_130 Depth=2
	v_bfe_u32 v23, v2, 23, 1
; %bb.1604:                             ;   in Loop: Header=BB6_130 Depth=2
	s_or_b32 exec_lo, exec_lo, s13
	v_lshrrev_b32_e32 v2, 21, v2
	v_min_i32_e32 v3, 31, v23
	v_cmp_gt_i32_e32 vcc_lo, 32, v23
	v_and_b32_sdwa v30, v119, v58 dst_sel:DWORD dst_unused:UNUSED_PAD src0_sel:BYTE_3 src1_sel:DWORD
	v_lshlrev_b32_e32 v3, 2, v3
	v_cndmask_b32_e32 v2, 3, v2, vcc_lo
	v_and_b32_e32 v3, 0xfc, v3
	v_and_b32_e32 v119, 3, v2
	v_or_b32_e32 v2, v23, v2
	v_or3_b32 v3, v3, v30, v119
	v_cmp_ne_u32_e32 vcc_lo, 0, v2
	v_cndmask_b32_e32 v23, 0, v3, vcc_lo
.LBB6_1605:                             ;   in Loop: Header=BB6_130 Depth=2
	s_or_b32 exec_lo, exec_lo, s40
.LBB6_1606:                             ;   in Loop: Header=BB6_130 Depth=2
	s_or_b32 exec_lo, exec_lo, s29
	v_cmp_gt_i16_sdwa s29, v24, v57 src0_sel:BYTE_1 src1_sel:DWORD
	s_andn2_b32 vcc_lo, exec_lo, s28
	s_mov_b32 s13, -1
                                        ; implicit-def: $vgpr119
	s_cbranch_vccnz .LBB6_1620
; %bb.1607:                             ;   in Loop: Header=BB6_130 Depth=2
	s_mov_b32 s13, 0
	s_and_saveexec_b32 s40, s29
	s_xor_b32 s29, exec_lo, s40
	s_cbranch_execz .LBB6_2760
; %bb.1608:                             ;   in Loop: Header=BB6_130 Depth=2
	v_cmp_eq_u16_sdwa s41, v24, v58 src0_sel:BYTE_1 src1_sel:DWORD
	s_mov_b32 s13, -1
	s_and_saveexec_b32 s40, s41
; %bb.1609:                             ;   in Loop: Header=BB6_130 Depth=2
	s_xor_b32 s13, exec_lo, -1
; %bb.1610:                             ;   in Loop: Header=BB6_130 Depth=2
	s_or_b32 exec_lo, exec_lo, s40
	s_and_b32 s13, s13, exec_lo
	s_or_saveexec_b32 s29, s29
	v_mov_b32_e32 v119, 0x7f800001
	s_xor_b32 exec_lo, exec_lo, s29
	s_cbranch_execnz .LBB6_2761
.LBB6_1611:                             ;   in Loop: Header=BB6_130 Depth=2
	s_or_b32 exec_lo, exec_lo, s29
	s_and_saveexec_b32 s29, s13
	s_cbranch_execz .LBB6_1613
.LBB6_1612:                             ;   in Loop: Header=BB6_130 Depth=2
	v_and_b32_sdwa v2, v59, v24 dst_sel:DWORD dst_unused:UNUSED_PAD src0_sel:DWORD src1_sel:BYTE_1
	v_and_b32_e32 v3, 3, v2
	v_bfe_u32 v40, v2, 2, 5
	v_ffbh_u32_e32 v30, v3
	v_cmp_eq_u32_e32 vcc_lo, 0, v40
	v_min_u32_e32 v30, 32, v30
	v_subrev_nc_u32_e32 v119, 29, v30
	v_sub_nc_u32_e32 v30, 30, v30
	v_lshlrev_b32_e32 v2, v119, v2
	v_lshlrev_b32_e32 v119, 16, v24
	v_cndmask_b32_e32 v30, v40, v30, vcc_lo
	v_and_b32_e32 v2, 3, v2
	v_lshl_add_u32 v30, v30, 23, 0x37800000
	v_cndmask_b32_e32 v2, v3, v2, vcc_lo
	v_and_b32_e32 v3, 0x80000000, v119
	v_lshlrev_b32_e32 v2, 21, v2
	v_or3_b32 v119, v3, v30, v2
.LBB6_1613:                             ;   in Loop: Header=BB6_130 Depth=2
	s_or_b32 exec_lo, exec_lo, s29
	v_cmp_gt_i16_sdwa s29, v20, v57 src0_sel:BYTE_1 src1_sel:DWORD
	s_mov_b32 s13, 0
	s_and_saveexec_b32 s40, s29
	s_xor_b32 s29, exec_lo, s40
	s_cbranch_execz .LBB6_2762
; %bb.1614:                             ;   in Loop: Header=BB6_130 Depth=2
	v_cmp_eq_u16_sdwa s41, v20, v58 src0_sel:BYTE_1 src1_sel:DWORD
	s_mov_b32 s13, -1
	s_and_saveexec_b32 s40, s41
; %bb.1615:                             ;   in Loop: Header=BB6_130 Depth=2
	s_xor_b32 s13, exec_lo, -1
; %bb.1616:                             ;   in Loop: Header=BB6_130 Depth=2
	s_or_b32 exec_lo, exec_lo, s40
	s_and_b32 s13, s13, exec_lo
	s_or_saveexec_b32 s29, s29
	v_mov_b32_e32 v2, 0x7f800001
	s_xor_b32 exec_lo, exec_lo, s29
	s_cbranch_execnz .LBB6_2763
.LBB6_1617:                             ;   in Loop: Header=BB6_130 Depth=2
	s_or_b32 exec_lo, exec_lo, s29
	s_and_saveexec_b32 s29, s13
	s_cbranch_execz .LBB6_1619
.LBB6_1618:                             ;   in Loop: Header=BB6_130 Depth=2
	v_and_b32_sdwa v2, v59, v20 dst_sel:DWORD dst_unused:UNUSED_PAD src0_sel:DWORD src1_sel:BYTE_1
	v_and_b32_e32 v3, 3, v2
	v_bfe_u32 v42, v2, 2, 5
	v_ffbh_u32_e32 v30, v3
	v_cmp_eq_u32_e32 vcc_lo, 0, v42
	v_min_u32_e32 v30, 32, v30
	v_subrev_nc_u32_e32 v40, 29, v30
	v_sub_nc_u32_e32 v30, 30, v30
	v_lshlrev_b32_e32 v2, v40, v2
	v_lshlrev_b32_e32 v40, 16, v20
	v_cndmask_b32_e32 v30, v42, v30, vcc_lo
	v_and_b32_e32 v2, 3, v2
	v_lshl_add_u32 v30, v30, 23, 0x37800000
	v_cndmask_b32_e32 v2, v3, v2, vcc_lo
	v_and_b32_e32 v3, 0x80000000, v40
	v_lshlrev_b32_e32 v2, 21, v2
	v_or3_b32 v2, v3, v30, v2
.LBB6_1619:                             ;   in Loop: Header=BB6_130 Depth=2
	s_or_b32 exec_lo, exec_lo, s29
	v_max_f32_e32 v2, v2, v2
	v_max_f32_e32 v3, v119, v119
	s_mov_b32 s13, 0
	v_max_f32_e32 v119, v3, v2
.LBB6_1620:                             ;   in Loop: Header=BB6_130 Depth=2
	s_and_b32 vcc_lo, exec_lo, s13
	s_cbranch_vccz .LBB6_1634
; %bb.1621:                             ;   in Loop: Header=BB6_130 Depth=2
	v_cmp_gt_i16_sdwa s29, v24, v57 src0_sel:BYTE_1 src1_sel:DWORD
	s_mov_b32 s13, 0
	s_and_saveexec_b32 s40, s29
	s_xor_b32 s29, exec_lo, s40
	s_cbranch_execz .LBB6_2764
; %bb.1622:                             ;   in Loop: Header=BB6_130 Depth=2
	v_cmp_eq_u16_sdwa s41, v24, v58 src0_sel:BYTE_1 src1_sel:DWORD
	s_mov_b32 s13, -1
	s_and_saveexec_b32 s40, s41
; %bb.1623:                             ;   in Loop: Header=BB6_130 Depth=2
	s_xor_b32 s13, exec_lo, -1
; %bb.1624:                             ;   in Loop: Header=BB6_130 Depth=2
	s_or_b32 exec_lo, exec_lo, s40
	s_and_b32 s13, s13, exec_lo
	s_or_saveexec_b32 s29, s29
	v_mov_b32_e32 v119, 0x7f800001
	s_xor_b32 exec_lo, exec_lo, s29
	s_cbranch_execnz .LBB6_2765
.LBB6_1625:                             ;   in Loop: Header=BB6_130 Depth=2
	s_or_b32 exec_lo, exec_lo, s29
	s_and_saveexec_b32 s29, s13
	s_cbranch_execz .LBB6_1627
.LBB6_1626:                             ;   in Loop: Header=BB6_130 Depth=2
	v_and_b32_sdwa v2, v59, v24 dst_sel:DWORD dst_unused:UNUSED_PAD src0_sel:DWORD src1_sel:BYTE_1
	v_and_b32_e32 v3, 3, v2
	v_bfe_u32 v40, v2, 2, 5
	v_ffbh_u32_e32 v30, v3
	v_cmp_eq_u32_e32 vcc_lo, 0, v40
	v_min_u32_e32 v30, 32, v30
	v_subrev_nc_u32_e32 v119, 29, v30
	v_sub_nc_u32_e32 v30, 30, v30
	v_lshlrev_b32_e32 v2, v119, v2
	v_lshlrev_b32_e32 v119, 16, v24
	v_cndmask_b32_e32 v30, v40, v30, vcc_lo
	v_and_b32_e32 v2, 3, v2
	v_lshl_add_u32 v30, v30, 23, 0x37800000
	v_cndmask_b32_e32 v2, v3, v2, vcc_lo
	v_and_b32_e32 v3, 0x80000000, v119
	v_lshlrev_b32_e32 v2, 21, v2
	v_or3_b32 v119, v3, v30, v2
.LBB6_1627:                             ;   in Loop: Header=BB6_130 Depth=2
	s_or_b32 exec_lo, exec_lo, s29
	v_cmp_gt_i16_sdwa s29, v20, v57 src0_sel:BYTE_1 src1_sel:DWORD
	s_mov_b32 s13, 0
	s_and_saveexec_b32 s40, s29
	s_xor_b32 s29, exec_lo, s40
	s_cbranch_execz .LBB6_2766
; %bb.1628:                             ;   in Loop: Header=BB6_130 Depth=2
	v_cmp_eq_u16_sdwa s41, v20, v58 src0_sel:BYTE_1 src1_sel:DWORD
	s_mov_b32 s13, -1
	s_and_saveexec_b32 s40, s41
; %bb.1629:                             ;   in Loop: Header=BB6_130 Depth=2
	s_xor_b32 s13, exec_lo, -1
; %bb.1630:                             ;   in Loop: Header=BB6_130 Depth=2
	s_or_b32 exec_lo, exec_lo, s40
	s_and_b32 s13, s13, exec_lo
	s_or_saveexec_b32 s29, s29
	v_mov_b32_e32 v2, 0x7f800001
	s_xor_b32 exec_lo, exec_lo, s29
	s_cbranch_execnz .LBB6_2767
.LBB6_1631:                             ;   in Loop: Header=BB6_130 Depth=2
	s_or_b32 exec_lo, exec_lo, s29
	s_and_saveexec_b32 s29, s13
	s_cbranch_execz .LBB6_1633
.LBB6_1632:                             ;   in Loop: Header=BB6_130 Depth=2
	v_and_b32_sdwa v2, v59, v20 dst_sel:DWORD dst_unused:UNUSED_PAD src0_sel:DWORD src1_sel:BYTE_1
	v_and_b32_e32 v3, 3, v2
	v_bfe_u32 v42, v2, 2, 5
	v_ffbh_u32_e32 v30, v3
	v_cmp_eq_u32_e32 vcc_lo, 0, v42
	v_min_u32_e32 v30, 32, v30
	v_subrev_nc_u32_e32 v40, 29, v30
	v_sub_nc_u32_e32 v30, 30, v30
	v_lshlrev_b32_e32 v2, v40, v2
	v_lshlrev_b32_e32 v40, 16, v20
	v_cndmask_b32_e32 v30, v42, v30, vcc_lo
	v_and_b32_e32 v2, 3, v2
	v_lshl_add_u32 v30, v30, 23, 0x37800000
	v_cndmask_b32_e32 v2, v3, v2, vcc_lo
	v_and_b32_e32 v3, 0x80000000, v40
	v_lshlrev_b32_e32 v2, 21, v2
	v_or3_b32 v2, v3, v30, v2
.LBB6_1633:                             ;   in Loop: Header=BB6_130 Depth=2
	s_or_b32 exec_lo, exec_lo, s29
	v_max_f32_e32 v2, v2, v2
	v_max_f32_e32 v3, v119, v119
	v_min_f32_e32 v119, v3, v2
.LBB6_1634:                             ;   in Loop: Header=BB6_130 Depth=2
	v_and_b32_e32 v2, 0x7f800000, v119
	v_mov_b32_e32 v108, 0x8000
	s_mov_b32 s29, exec_lo
	v_cmpx_ne_u32_e32 0x7f800000, v2
	s_cbranch_execz .LBB6_1642
; %bb.1635:                             ;   in Loop: Header=BB6_130 Depth=2
	v_mov_b32_e32 v108, 0
	s_mov_b32 s40, exec_lo
	v_cmpx_ne_u32_e32 0, v119
	s_cbranch_execz .LBB6_1641
; %bb.1636:                             ;   in Loop: Header=BB6_130 Depth=2
	v_bfe_u32 v2, v119, 23, 8
	v_and_b32_e32 v3, 0x7fffff, v119
	v_sub_nc_u32_e32 v30, 0x70, v2
	v_cmp_gt_u32_e32 vcc_lo, 0x71, v2
	v_or_b32_e32 v40, 0x800000, v3
	v_cndmask_b32_e32 v30, 0, v30, vcc_lo
	v_cmp_eq_u32_e32 vcc_lo, 0, v2
	v_add_nc_u32_e32 v2, 0xffffff91, v2
	v_cndmask_b32_e64 v30, v30, 0x6f, vcc_lo
	v_cndmask_b32_e32 v3, v40, v3, vcc_lo
	v_cndmask_b32_e64 v2, v2, 0xffffff92, vcc_lo
	v_lshl_add_u32 v40, 0x200000, v30, -1
	v_lshrrev_b32_e32 v42, v30, v3
	v_lshlrev_b32_e64 v109, v30, 0x100000
	v_and_b32_e32 v3, v40, v3
	v_bfe_u32 v108, v42, 21, 1
	v_cmp_eq_u32_e64 s13, v3, v109
	v_add_nc_u32_e32 v40, -1, v108
	v_lshrrev_b32_e32 v108, 23, v42
	v_cndmask_b32_e64 v3, 0, v40, s13
	s_mov_b32 s13, exec_lo
	v_add_nc_u32_e32 v40, v3, v42
	v_add_nc_u32_e32 v3, v30, v2
                                        ; implicit-def: $vgpr30
	v_and_b32_e32 v2, 0x1fffff, v40
	v_xor_b32_e32 v40, 1, v108
	v_add_nc_u32_e32 v2, v2, v42
	v_cmpx_ne_u32_e64 v3, v40
	s_xor_b32 s13, exec_lo, s13
; %bb.1637:                             ;   in Loop: Header=BB6_130 Depth=2
	v_cmp_lt_u32_e32 vcc_lo, 0xffffff, v2
	v_sub_nc_u32_e32 v3, v3, v40
	v_cndmask_b32_e64 v40, 0, 1, vcc_lo
	v_add_co_ci_u32_e64 v30, null, 0, v3, vcc_lo
	v_lshrrev_b32_e32 v2, v40, v2
; %bb.1638:                             ;   in Loop: Header=BB6_130 Depth=2
	s_andn2_saveexec_b32 s13, s13
; %bb.1639:                             ;   in Loop: Header=BB6_130 Depth=2
	v_bfe_u32 v30, v2, 23, 1
; %bb.1640:                             ;   in Loop: Header=BB6_130 Depth=2
	s_or_b32 exec_lo, exec_lo, s13
	v_lshrrev_b32_e32 v2, 21, v2
	v_min_i32_e32 v3, 31, v30
	v_cmp_gt_i32_e32 vcc_lo, 32, v30
	v_and_b32_sdwa v119, v119, v58 dst_sel:DWORD dst_unused:UNUSED_PAD src0_sel:BYTE_3 src1_sel:DWORD
	v_lshlrev_b32_e32 v3, 2, v3
	v_cndmask_b32_e32 v2, 3, v2, vcc_lo
	v_and_b32_e32 v3, 0xfc, v3
	v_and_b32_e32 v40, 3, v2
	v_or_b32_e32 v2, v30, v2
	v_or3_b32 v3, v119, v3, v40
	v_cmp_ne_u32_e32 vcc_lo, 0, v2
	v_lshlrev_b32_e32 v3, 8, v3
	v_cndmask_b32_e32 v108, 0, v3, vcc_lo
.LBB6_1641:                             ;   in Loop: Header=BB6_130 Depth=2
	s_or_b32 exec_lo, exec_lo, s40
.LBB6_1642:                             ;   in Loop: Header=BB6_130 Depth=2
	s_or_b32 exec_lo, exec_lo, s29
	v_and_b32_sdwa v119, v24, v60 dst_sel:DWORD dst_unused:UNUSED_PAD src0_sel:WORD_1 src1_sel:DWORD
	s_andn2_b32 vcc_lo, exec_lo, s28
	s_mov_b32 s29, -1
                                        ; implicit-def: $vgpr40
	v_cmp_lt_i16_e64 s13, 0x7f, v119
	s_cbranch_vccnz .LBB6_1656
; %bb.1643:                             ;   in Loop: Header=BB6_130 Depth=2
	s_mov_b32 s29, 0
	s_and_saveexec_b32 s40, s13
	s_xor_b32 s13, exec_lo, s40
	s_cbranch_execz .LBB6_2768
; %bb.1644:                             ;   in Loop: Header=BB6_130 Depth=2
	s_mov_b32 s29, -1
	s_mov_b32 s40, exec_lo
	v_cmpx_eq_u16_e32 0x80, v119
; %bb.1645:                             ;   in Loop: Header=BB6_130 Depth=2
	s_xor_b32 s29, exec_lo, -1
; %bb.1646:                             ;   in Loop: Header=BB6_130 Depth=2
	s_or_b32 exec_lo, exec_lo, s40
	s_and_b32 s29, s29, exec_lo
	s_or_saveexec_b32 s13, s13
	v_mov_b32_e32 v40, 0x7f800001
	s_xor_b32 exec_lo, exec_lo, s13
	s_cbranch_execnz .LBB6_2769
.LBB6_1647:                             ;   in Loop: Header=BB6_130 Depth=2
	s_or_b32 exec_lo, exec_lo, s13
	s_and_saveexec_b32 s13, s29
	s_cbranch_execz .LBB6_1649
.LBB6_1648:                             ;   in Loop: Header=BB6_130 Depth=2
	v_bfe_u32 v2, v24, 16, 2
	v_bfe_u32 v40, v24, 18, 5
	v_lshlrev_b32_sdwa v42, v61, v24 dst_sel:DWORD dst_unused:UNUSED_PAD src0_sel:DWORD src1_sel:WORD_1
	v_ffbh_u32_e32 v3, v2
	v_cmp_eq_u32_e32 vcc_lo, 0, v40
	v_min_u32_e32 v3, 32, v3
	v_subrev_nc_u32_e32 v30, 29, v3
	v_sub_nc_u32_e32 v3, 30, v3
	v_lshlrev_b32_sdwa v30, v30, v24 dst_sel:DWORD dst_unused:UNUSED_PAD src0_sel:DWORD src1_sel:WORD_1
	v_cndmask_b32_e32 v3, v40, v3, vcc_lo
	v_and_b32_e32 v30, 3, v30
	v_lshl_add_u32 v3, v3, 23, 0x37800000
	v_cndmask_b32_e32 v2, v2, v30, vcc_lo
	v_and_b32_e32 v30, 0x80000000, v42
	v_lshlrev_b32_e32 v2, 21, v2
	v_or3_b32 v40, v30, v3, v2
.LBB6_1649:                             ;   in Loop: Header=BB6_130 Depth=2
	s_or_b32 exec_lo, exec_lo, s13
	v_and_b32_sdwa v3, v20, v60 dst_sel:DWORD dst_unused:UNUSED_PAD src0_sel:WORD_1 src1_sel:DWORD
	s_mov_b32 s13, 0
	s_mov_b32 s29, exec_lo
	v_cmpx_lt_i16_e32 0x7f, v3
	s_xor_b32 s29, exec_lo, s29
	s_cbranch_execz .LBB6_2770
; %bb.1650:                             ;   in Loop: Header=BB6_130 Depth=2
	s_mov_b32 s13, -1
	s_mov_b32 s40, exec_lo
	v_cmpx_eq_u16_e32 0x80, v3
; %bb.1651:                             ;   in Loop: Header=BB6_130 Depth=2
	s_xor_b32 s13, exec_lo, -1
; %bb.1652:                             ;   in Loop: Header=BB6_130 Depth=2
	s_or_b32 exec_lo, exec_lo, s40
	s_and_b32 s13, s13, exec_lo
                                        ; implicit-def: $vgpr3
	s_or_saveexec_b32 s29, s29
	v_mov_b32_e32 v2, 0x7f800001
	s_xor_b32 exec_lo, exec_lo, s29
	s_cbranch_execnz .LBB6_2771
.LBB6_1653:                             ;   in Loop: Header=BB6_130 Depth=2
	s_or_b32 exec_lo, exec_lo, s29
	s_and_saveexec_b32 s29, s13
	s_cbranch_execz .LBB6_1655
.LBB6_1654:                             ;   in Loop: Header=BB6_130 Depth=2
	v_bfe_u32 v2, v20, 16, 2
	v_bfe_u32 v42, v20, 18, 5
	v_lshlrev_b32_sdwa v109, v61, v20 dst_sel:DWORD dst_unused:UNUSED_PAD src0_sel:DWORD src1_sel:WORD_1
	v_ffbh_u32_e32 v3, v2
	v_cmp_eq_u32_e32 vcc_lo, 0, v42
	v_min_u32_e32 v3, 32, v3
	v_subrev_nc_u32_e32 v30, 29, v3
	v_sub_nc_u32_e32 v3, 30, v3
	v_lshlrev_b32_sdwa v30, v30, v20 dst_sel:DWORD dst_unused:UNUSED_PAD src0_sel:DWORD src1_sel:WORD_1
	v_cndmask_b32_e32 v3, v42, v3, vcc_lo
	v_and_b32_e32 v30, 3, v30
	v_lshl_add_u32 v3, v3, 23, 0x37800000
	v_cndmask_b32_e32 v2, v2, v30, vcc_lo
	v_and_b32_e32 v30, 0x80000000, v109
	v_lshlrev_b32_e32 v2, 21, v2
	v_or3_b32 v2, v30, v3, v2
.LBB6_1655:                             ;   in Loop: Header=BB6_130 Depth=2
	s_or_b32 exec_lo, exec_lo, s29
	v_max_f32_e32 v2, v2, v2
	v_max_f32_e32 v3, v40, v40
	s_mov_b32 s29, 0
	v_max_f32_e32 v40, v3, v2
.LBB6_1656:                             ;   in Loop: Header=BB6_130 Depth=2
	s_and_b32 vcc_lo, exec_lo, s29
	s_cbranch_vccz .LBB6_1670
; %bb.1657:                             ;   in Loop: Header=BB6_130 Depth=2
	s_mov_b32 s13, 0
	s_mov_b32 s29, exec_lo
	v_cmpx_lt_i16_e32 0x7f, v119
	s_xor_b32 s29, exec_lo, s29
	s_cbranch_execz .LBB6_2772
; %bb.1658:                             ;   in Loop: Header=BB6_130 Depth=2
	s_mov_b32 s13, -1
	s_mov_b32 s40, exec_lo
	v_cmpx_eq_u16_e32 0x80, v119
; %bb.1659:                             ;   in Loop: Header=BB6_130 Depth=2
	s_xor_b32 s13, exec_lo, -1
; %bb.1660:                             ;   in Loop: Header=BB6_130 Depth=2
	s_or_b32 exec_lo, exec_lo, s40
	s_and_b32 s13, s13, exec_lo
                                        ; implicit-def: $vgpr119
	s_or_saveexec_b32 s29, s29
	v_mov_b32_e32 v40, 0x7f800001
	s_xor_b32 exec_lo, exec_lo, s29
	s_cbranch_execnz .LBB6_2773
.LBB6_1661:                             ;   in Loop: Header=BB6_130 Depth=2
	s_or_b32 exec_lo, exec_lo, s29
	s_and_saveexec_b32 s29, s13
	s_cbranch_execz .LBB6_1663
.LBB6_1662:                             ;   in Loop: Header=BB6_130 Depth=2
	v_bfe_u32 v2, v24, 16, 2
	v_bfe_u32 v119, v24, 18, 5
	v_lshlrev_b32_sdwa v40, v61, v24 dst_sel:DWORD dst_unused:UNUSED_PAD src0_sel:DWORD src1_sel:WORD_1
	v_ffbh_u32_e32 v3, v2
	v_cmp_eq_u32_e32 vcc_lo, 0, v119
	v_min_u32_e32 v3, 32, v3
	v_subrev_nc_u32_e32 v30, 29, v3
	v_sub_nc_u32_e32 v3, 30, v3
	v_lshlrev_b32_sdwa v30, v30, v24 dst_sel:DWORD dst_unused:UNUSED_PAD src0_sel:DWORD src1_sel:WORD_1
	v_cndmask_b32_e32 v3, v119, v3, vcc_lo
	v_and_b32_e32 v30, 3, v30
	v_lshl_add_u32 v3, v3, 23, 0x37800000
	v_cndmask_b32_e32 v2, v2, v30, vcc_lo
	v_and_b32_e32 v30, 0x80000000, v40
	v_lshlrev_b32_e32 v2, 21, v2
	v_or3_b32 v40, v30, v3, v2
.LBB6_1663:                             ;   in Loop: Header=BB6_130 Depth=2
	s_or_b32 exec_lo, exec_lo, s29
	v_and_b32_sdwa v3, v20, v60 dst_sel:DWORD dst_unused:UNUSED_PAD src0_sel:WORD_1 src1_sel:DWORD
	s_mov_b32 s13, 0
	s_mov_b32 s29, exec_lo
	v_cmpx_lt_i16_e32 0x7f, v3
	s_xor_b32 s29, exec_lo, s29
	s_cbranch_execz .LBB6_2774
; %bb.1664:                             ;   in Loop: Header=BB6_130 Depth=2
	s_mov_b32 s13, -1
	s_mov_b32 s40, exec_lo
	v_cmpx_eq_u16_e32 0x80, v3
; %bb.1665:                             ;   in Loop: Header=BB6_130 Depth=2
	s_xor_b32 s13, exec_lo, -1
; %bb.1666:                             ;   in Loop: Header=BB6_130 Depth=2
	s_or_b32 exec_lo, exec_lo, s40
	s_and_b32 s13, s13, exec_lo
                                        ; implicit-def: $vgpr3
	s_or_saveexec_b32 s29, s29
	v_mov_b32_e32 v2, 0x7f800001
	s_xor_b32 exec_lo, exec_lo, s29
	s_cbranch_execnz .LBB6_2775
.LBB6_1667:                             ;   in Loop: Header=BB6_130 Depth=2
	s_or_b32 exec_lo, exec_lo, s29
	s_and_saveexec_b32 s29, s13
	s_cbranch_execz .LBB6_1669
.LBB6_1668:                             ;   in Loop: Header=BB6_130 Depth=2
	v_bfe_u32 v2, v20, 16, 2
	v_bfe_u32 v119, v20, 18, 5
	v_lshlrev_b32_sdwa v42, v61, v20 dst_sel:DWORD dst_unused:UNUSED_PAD src0_sel:DWORD src1_sel:WORD_1
	v_ffbh_u32_e32 v3, v2
	v_cmp_eq_u32_e32 vcc_lo, 0, v119
	v_min_u32_e32 v3, 32, v3
	v_subrev_nc_u32_e32 v30, 29, v3
	v_sub_nc_u32_e32 v3, 30, v3
	v_lshlrev_b32_sdwa v30, v30, v20 dst_sel:DWORD dst_unused:UNUSED_PAD src0_sel:DWORD src1_sel:WORD_1
	v_cndmask_b32_e32 v3, v119, v3, vcc_lo
	v_and_b32_e32 v30, 3, v30
	v_lshl_add_u32 v3, v3, 23, 0x37800000
	v_cndmask_b32_e32 v2, v2, v30, vcc_lo
	v_and_b32_e32 v30, 0x80000000, v42
	v_lshlrev_b32_e32 v2, 21, v2
	v_or3_b32 v2, v30, v3, v2
.LBB6_1669:                             ;   in Loop: Header=BB6_130 Depth=2
	s_or_b32 exec_lo, exec_lo, s29
	v_max_f32_e32 v2, v2, v2
	v_max_f32_e32 v3, v40, v40
	v_min_f32_e32 v40, v3, v2
.LBB6_1670:                             ;   in Loop: Header=BB6_130 Depth=2
	v_and_b32_e32 v2, 0x7f800000, v40
	v_mov_b32_e32 v109, 0x80
	s_mov_b32 s29, exec_lo
	v_cmpx_ne_u32_e32 0x7f800000, v2
	s_cbranch_execz .LBB6_1678
; %bb.1671:                             ;   in Loop: Header=BB6_130 Depth=2
	v_mov_b32_e32 v109, 0
	s_mov_b32 s40, exec_lo
	v_cmpx_ne_u32_e32 0, v40
	s_cbranch_execz .LBB6_1677
; %bb.1672:                             ;   in Loop: Header=BB6_130 Depth=2
	v_bfe_u32 v2, v40, 23, 8
	v_and_b32_e32 v3, 0x7fffff, v40
	v_sub_nc_u32_e32 v30, 0x70, v2
	v_cmp_gt_u32_e32 vcc_lo, 0x71, v2
	v_or_b32_e32 v119, 0x800000, v3
	v_cndmask_b32_e32 v30, 0, v30, vcc_lo
	v_cmp_eq_u32_e32 vcc_lo, 0, v2
	v_add_nc_u32_e32 v2, 0xffffff91, v2
	v_cndmask_b32_e64 v30, v30, 0x6f, vcc_lo
	v_cndmask_b32_e32 v3, v119, v3, vcc_lo
	v_cndmask_b32_e64 v2, v2, 0xffffff92, vcc_lo
	v_lshl_add_u32 v119, 0x200000, v30, -1
	v_lshrrev_b32_e32 v42, v30, v3
	v_lshlrev_b32_e64 v110, v30, 0x100000
	v_and_b32_e32 v3, v119, v3
	v_bfe_u32 v109, v42, 21, 1
	v_cmp_eq_u32_e64 s13, v3, v110
	v_add_nc_u32_e32 v119, -1, v109
	v_lshrrev_b32_e32 v109, 23, v42
	v_cndmask_b32_e64 v3, 0, v119, s13
	s_mov_b32 s13, exec_lo
	v_add_nc_u32_e32 v119, v3, v42
	v_add_nc_u32_e32 v3, v30, v2
                                        ; implicit-def: $vgpr30
	v_and_b32_e32 v2, 0x1fffff, v119
	v_xor_b32_e32 v119, 1, v109
	v_add_nc_u32_e32 v2, v2, v42
	v_cmpx_ne_u32_e64 v3, v119
	s_xor_b32 s13, exec_lo, s13
; %bb.1673:                             ;   in Loop: Header=BB6_130 Depth=2
	v_cmp_lt_u32_e32 vcc_lo, 0xffffff, v2
	v_sub_nc_u32_e32 v3, v3, v119
	v_cndmask_b32_e64 v119, 0, 1, vcc_lo
	v_add_co_ci_u32_e64 v30, null, 0, v3, vcc_lo
	v_lshrrev_b32_e32 v2, v119, v2
; %bb.1674:                             ;   in Loop: Header=BB6_130 Depth=2
	s_andn2_saveexec_b32 s13, s13
; %bb.1675:                             ;   in Loop: Header=BB6_130 Depth=2
	v_bfe_u32 v30, v2, 23, 1
; %bb.1676:                             ;   in Loop: Header=BB6_130 Depth=2
	s_or_b32 exec_lo, exec_lo, s13
	v_lshrrev_b32_e32 v2, 21, v2
	v_min_i32_e32 v3, 31, v30
	v_cmp_gt_i32_e32 vcc_lo, 32, v30
	v_and_b32_sdwa v119, v40, v58 dst_sel:DWORD dst_unused:UNUSED_PAD src0_sel:BYTE_3 src1_sel:DWORD
	v_lshlrev_b32_e32 v3, 2, v3
	v_cndmask_b32_e32 v2, 3, v2, vcc_lo
	v_and_b32_e32 v3, 0xfc, v3
	v_and_b32_e32 v40, 3, v2
	v_or_b32_e32 v2, v30, v2
	v_or3_b32 v3, v3, v119, v40
	v_cmp_ne_u32_e32 vcc_lo, 0, v2
	v_cndmask_b32_e32 v109, 0, v3, vcc_lo
.LBB6_1677:                             ;   in Loop: Header=BB6_130 Depth=2
	s_or_b32 exec_lo, exec_lo, s40
.LBB6_1678:                             ;   in Loop: Header=BB6_130 Depth=2
	s_or_b32 exec_lo, exec_lo, s29
	v_cmp_gt_i16_sdwa s29, v24, v57 src0_sel:BYTE_3 src1_sel:DWORD
	s_andn2_b32 vcc_lo, exec_lo, s28
	s_mov_b32 s13, -1
                                        ; implicit-def: $vgpr119
	s_cbranch_vccnz .LBB6_1692
; %bb.1679:                             ;   in Loop: Header=BB6_130 Depth=2
	s_mov_b32 s13, 0
	s_and_saveexec_b32 s40, s29
	s_xor_b32 s29, exec_lo, s40
	s_cbranch_execz .LBB6_2776
; %bb.1680:                             ;   in Loop: Header=BB6_130 Depth=2
	v_cmp_eq_u16_sdwa s41, v24, v58 src0_sel:BYTE_3 src1_sel:DWORD
	s_mov_b32 s13, -1
	s_and_saveexec_b32 s40, s41
; %bb.1681:                             ;   in Loop: Header=BB6_130 Depth=2
	s_xor_b32 s13, exec_lo, -1
; %bb.1682:                             ;   in Loop: Header=BB6_130 Depth=2
	s_or_b32 exec_lo, exec_lo, s40
	s_and_b32 s13, s13, exec_lo
	s_or_saveexec_b32 s29, s29
	v_mov_b32_e32 v119, 0x7f800001
	s_xor_b32 exec_lo, exec_lo, s29
	s_cbranch_execnz .LBB6_2777
.LBB6_1683:                             ;   in Loop: Header=BB6_130 Depth=2
	s_or_b32 exec_lo, exec_lo, s29
	s_and_saveexec_b32 s29, s13
	s_cbranch_execz .LBB6_1685
.LBB6_1684:                             ;   in Loop: Header=BB6_130 Depth=2
	v_bfe_u32 v2, v24, 24, 2
	v_bfe_u32 v119, v24, 26, 5
	v_ffbh_u32_e32 v3, v2
	v_cmp_eq_u32_e32 vcc_lo, 0, v119
	v_min_u32_e32 v3, 32, v3
	v_subrev_nc_u32_e32 v30, 29, v3
	v_sub_nc_u32_e32 v3, 30, v3
	v_lshlrev_b32_sdwa v30, v30, v24 dst_sel:DWORD dst_unused:UNUSED_PAD src0_sel:DWORD src1_sel:BYTE_3
	v_cndmask_b32_e32 v3, v119, v3, vcc_lo
	v_and_b32_e32 v30, 3, v30
	v_lshl_add_u32 v3, v3, 23, 0x37800000
	v_cndmask_b32_e32 v2, v2, v30, vcc_lo
	v_and_b32_e32 v30, 0x80000000, v24
	v_lshlrev_b32_e32 v2, 21, v2
	v_or3_b32 v119, v30, v3, v2
.LBB6_1685:                             ;   in Loop: Header=BB6_130 Depth=2
	s_or_b32 exec_lo, exec_lo, s29
	v_cmp_gt_i16_sdwa s29, v20, v57 src0_sel:BYTE_3 src1_sel:DWORD
	s_mov_b32 s13, 0
	s_and_saveexec_b32 s40, s29
	s_xor_b32 s29, exec_lo, s40
	s_cbranch_execz .LBB6_2778
; %bb.1686:                             ;   in Loop: Header=BB6_130 Depth=2
	v_cmp_eq_u16_sdwa s41, v20, v58 src0_sel:BYTE_3 src1_sel:DWORD
	s_mov_b32 s13, -1
	s_and_saveexec_b32 s40, s41
; %bb.1687:                             ;   in Loop: Header=BB6_130 Depth=2
	s_xor_b32 s13, exec_lo, -1
; %bb.1688:                             ;   in Loop: Header=BB6_130 Depth=2
	s_or_b32 exec_lo, exec_lo, s40
	s_and_b32 s13, s13, exec_lo
	s_or_saveexec_b32 s29, s29
	v_mov_b32_e32 v2, 0x7f800001
	s_xor_b32 exec_lo, exec_lo, s29
	s_cbranch_execnz .LBB6_2779
.LBB6_1689:                             ;   in Loop: Header=BB6_130 Depth=2
	s_or_b32 exec_lo, exec_lo, s29
	s_and_saveexec_b32 s29, s13
	s_cbranch_execz .LBB6_1691
.LBB6_1690:                             ;   in Loop: Header=BB6_130 Depth=2
	v_bfe_u32 v2, v20, 24, 2
	v_bfe_u32 v40, v20, 26, 5
	v_ffbh_u32_e32 v3, v2
	v_cmp_eq_u32_e32 vcc_lo, 0, v40
	v_min_u32_e32 v3, 32, v3
	v_subrev_nc_u32_e32 v30, 29, v3
	v_sub_nc_u32_e32 v3, 30, v3
	v_lshlrev_b32_sdwa v30, v30, v20 dst_sel:DWORD dst_unused:UNUSED_PAD src0_sel:DWORD src1_sel:BYTE_3
	v_cndmask_b32_e32 v3, v40, v3, vcc_lo
	v_and_b32_e32 v30, 3, v30
	v_lshl_add_u32 v3, v3, 23, 0x37800000
	v_cndmask_b32_e32 v2, v2, v30, vcc_lo
	v_and_b32_e32 v30, 0x80000000, v20
	v_lshlrev_b32_e32 v2, 21, v2
	v_or3_b32 v2, v30, v3, v2
.LBB6_1691:                             ;   in Loop: Header=BB6_130 Depth=2
	s_or_b32 exec_lo, exec_lo, s29
	v_max_f32_e32 v2, v2, v2
	v_max_f32_e32 v3, v119, v119
	s_mov_b32 s13, 0
	v_max_f32_e32 v119, v3, v2
.LBB6_1692:                             ;   in Loop: Header=BB6_130 Depth=2
	s_and_b32 vcc_lo, exec_lo, s13
	s_cbranch_vccz .LBB6_1706
; %bb.1693:                             ;   in Loop: Header=BB6_130 Depth=2
	v_cmp_gt_i16_sdwa s29, v24, v57 src0_sel:BYTE_3 src1_sel:DWORD
	s_mov_b32 s13, 0
	s_and_saveexec_b32 s40, s29
	s_xor_b32 s29, exec_lo, s40
	s_cbranch_execz .LBB6_2780
; %bb.1694:                             ;   in Loop: Header=BB6_130 Depth=2
	v_cmp_eq_u16_sdwa s41, v24, v58 src0_sel:BYTE_3 src1_sel:DWORD
	s_mov_b32 s13, -1
	s_and_saveexec_b32 s40, s41
; %bb.1695:                             ;   in Loop: Header=BB6_130 Depth=2
	s_xor_b32 s13, exec_lo, -1
; %bb.1696:                             ;   in Loop: Header=BB6_130 Depth=2
	s_or_b32 exec_lo, exec_lo, s40
	s_and_b32 s13, s13, exec_lo
	s_or_saveexec_b32 s29, s29
	v_mov_b32_e32 v119, 0x7f800001
	s_xor_b32 exec_lo, exec_lo, s29
	s_cbranch_execnz .LBB6_2781
.LBB6_1697:                             ;   in Loop: Header=BB6_130 Depth=2
	s_or_b32 exec_lo, exec_lo, s29
	s_and_saveexec_b32 s29, s13
	s_cbranch_execz .LBB6_1699
.LBB6_1698:                             ;   in Loop: Header=BB6_130 Depth=2
	v_bfe_u32 v2, v24, 24, 2
	v_bfe_u32 v119, v24, 26, 5
	v_ffbh_u32_e32 v3, v2
	v_cmp_eq_u32_e32 vcc_lo, 0, v119
	v_min_u32_e32 v3, 32, v3
	v_subrev_nc_u32_e32 v30, 29, v3
	v_sub_nc_u32_e32 v3, 30, v3
	v_lshlrev_b32_sdwa v30, v30, v24 dst_sel:DWORD dst_unused:UNUSED_PAD src0_sel:DWORD src1_sel:BYTE_3
	v_cndmask_b32_e32 v3, v119, v3, vcc_lo
	v_and_b32_e32 v24, 0x80000000, v24
	v_and_b32_e32 v30, 3, v30
	v_lshl_add_u32 v3, v3, 23, 0x37800000
	v_cndmask_b32_e32 v2, v2, v30, vcc_lo
	v_lshlrev_b32_e32 v2, 21, v2
	v_or3_b32 v119, v24, v3, v2
.LBB6_1699:                             ;   in Loop: Header=BB6_130 Depth=2
	s_or_b32 exec_lo, exec_lo, s29
	v_cmp_gt_i16_sdwa s29, v20, v57 src0_sel:BYTE_3 src1_sel:DWORD
	s_mov_b32 s13, 0
	s_and_saveexec_b32 s40, s29
	s_xor_b32 s29, exec_lo, s40
	s_cbranch_execz .LBB6_2782
; %bb.1700:                             ;   in Loop: Header=BB6_130 Depth=2
	v_cmp_eq_u16_sdwa s41, v20, v58 src0_sel:BYTE_3 src1_sel:DWORD
	s_mov_b32 s13, -1
	s_and_saveexec_b32 s40, s41
; %bb.1701:                             ;   in Loop: Header=BB6_130 Depth=2
	s_xor_b32 s13, exec_lo, -1
; %bb.1702:                             ;   in Loop: Header=BB6_130 Depth=2
	s_or_b32 exec_lo, exec_lo, s40
	s_and_b32 s13, s13, exec_lo
	s_or_saveexec_b32 s29, s29
	v_mov_b32_e32 v2, 0x7f800001
	s_xor_b32 exec_lo, exec_lo, s29
	s_cbranch_execnz .LBB6_2783
.LBB6_1703:                             ;   in Loop: Header=BB6_130 Depth=2
	s_or_b32 exec_lo, exec_lo, s29
	s_and_saveexec_b32 s29, s13
	s_cbranch_execz .LBB6_1705
.LBB6_1704:                             ;   in Loop: Header=BB6_130 Depth=2
	v_bfe_u32 v2, v20, 24, 2
	v_bfe_u32 v30, v20, 26, 5
	v_ffbh_u32_e32 v3, v2
	v_cmp_eq_u32_e32 vcc_lo, 0, v30
	v_min_u32_e32 v3, 32, v3
	v_subrev_nc_u32_e32 v24, 29, v3
	v_sub_nc_u32_e32 v3, 30, v3
	v_lshlrev_b32_sdwa v24, v24, v20 dst_sel:DWORD dst_unused:UNUSED_PAD src0_sel:DWORD src1_sel:BYTE_3
	v_cndmask_b32_e32 v3, v30, v3, vcc_lo
	v_and_b32_e32 v20, 0x80000000, v20
	v_and_b32_e32 v24, 3, v24
	v_lshl_add_u32 v3, v3, 23, 0x37800000
	v_cndmask_b32_e32 v2, v2, v24, vcc_lo
	v_lshlrev_b32_e32 v2, 21, v2
	v_or3_b32 v2, v20, v3, v2
.LBB6_1705:                             ;   in Loop: Header=BB6_130 Depth=2
	s_or_b32 exec_lo, exec_lo, s29
	v_max_f32_e32 v2, v2, v2
	v_max_f32_e32 v3, v119, v119
	v_min_f32_e32 v119, v3, v2
.LBB6_1706:                             ;   in Loop: Header=BB6_130 Depth=2
	v_and_b32_e32 v2, 0x7f800000, v119
	v_mov_b32_e32 v20, 0x8000
	s_mov_b32 s29, exec_lo
	v_cmpx_ne_u32_e32 0x7f800000, v2
	s_cbranch_execz .LBB6_1714
; %bb.1707:                             ;   in Loop: Header=BB6_130 Depth=2
	v_mov_b32_e32 v20, 0
	s_mov_b32 s40, exec_lo
	v_cmpx_ne_u32_e32 0, v119
	s_cbranch_execz .LBB6_1713
; %bb.1708:                             ;   in Loop: Header=BB6_130 Depth=2
	v_bfe_u32 v2, v119, 23, 8
	v_and_b32_e32 v3, 0x7fffff, v119
	v_sub_nc_u32_e32 v20, 0x70, v2
	v_cmp_gt_u32_e32 vcc_lo, 0x71, v2
	v_or_b32_e32 v24, 0x800000, v3
	v_cndmask_b32_e32 v20, 0, v20, vcc_lo
	v_cmp_eq_u32_e32 vcc_lo, 0, v2
	v_add_nc_u32_e32 v2, 0xffffff91, v2
	v_cndmask_b32_e64 v20, v20, 0x6f, vcc_lo
	v_cndmask_b32_e32 v3, v24, v3, vcc_lo
	v_cndmask_b32_e64 v2, v2, 0xffffff92, vcc_lo
	v_lshl_add_u32 v24, 0x200000, v20, -1
	v_lshrrev_b32_e32 v30, v20, v3
	v_lshlrev_b32_e64 v42, v20, 0x100000
	v_and_b32_e32 v3, v24, v3
	v_bfe_u32 v40, v30, 21, 1
	v_cmp_eq_u32_e64 s13, v3, v42
	v_add_nc_u32_e32 v24, -1, v40
	v_lshrrev_b32_e32 v40, 23, v30
	v_cndmask_b32_e64 v3, 0, v24, s13
	s_mov_b32 s13, exec_lo
	v_add_nc_u32_e32 v24, v3, v30
	v_add_nc_u32_e32 v3, v20, v2
                                        ; implicit-def: $vgpr20
	v_and_b32_e32 v2, 0x1fffff, v24
	v_xor_b32_e32 v24, 1, v40
	v_add_nc_u32_e32 v2, v2, v30
	v_cmpx_ne_u32_e64 v3, v24
	s_xor_b32 s13, exec_lo, s13
; %bb.1709:                             ;   in Loop: Header=BB6_130 Depth=2
	v_cmp_lt_u32_e32 vcc_lo, 0xffffff, v2
	v_sub_nc_u32_e32 v3, v3, v24
	v_cndmask_b32_e64 v24, 0, 1, vcc_lo
	v_add_co_ci_u32_e64 v20, null, 0, v3, vcc_lo
	v_lshrrev_b32_e32 v2, v24, v2
; %bb.1710:                             ;   in Loop: Header=BB6_130 Depth=2
	s_andn2_saveexec_b32 s13, s13
; %bb.1711:                             ;   in Loop: Header=BB6_130 Depth=2
	v_bfe_u32 v20, v2, 23, 1
; %bb.1712:                             ;   in Loop: Header=BB6_130 Depth=2
	s_or_b32 exec_lo, exec_lo, s13
	v_lshrrev_b32_e32 v2, 21, v2
	v_min_i32_e32 v3, 31, v20
	v_cmp_gt_i32_e32 vcc_lo, 32, v20
	v_and_b32_sdwa v24, v119, v58 dst_sel:DWORD dst_unused:UNUSED_PAD src0_sel:BYTE_3 src1_sel:DWORD
	v_lshlrev_b32_e32 v3, 2, v3
	v_cndmask_b32_e32 v2, 3, v2, vcc_lo
	v_and_b32_e32 v3, 0xfc, v3
	v_and_b32_e32 v30, 3, v2
	v_or_b32_e32 v2, v20, v2
	v_or3_b32 v3, v24, v3, v30
	v_cmp_ne_u32_e32 vcc_lo, 0, v2
	v_lshlrev_b32_e32 v3, 8, v3
	v_cndmask_b32_e32 v20, 0, v3, vcc_lo
.LBB6_1713:                             ;   in Loop: Header=BB6_130 Depth=2
	s_or_b32 exec_lo, exec_lo, s40
.LBB6_1714:                             ;   in Loop: Header=BB6_130 Depth=2
	s_or_b32 exec_lo, exec_lo, s29
	v_cmp_gt_i16_sdwa s29, v25, v57 src0_sel:BYTE_0 src1_sel:DWORD
	s_andn2_b32 vcc_lo, exec_lo, s28
	s_mov_b32 s13, -1
                                        ; implicit-def: $vgpr119
	s_cbranch_vccnz .LBB6_1728
; %bb.1715:                             ;   in Loop: Header=BB6_130 Depth=2
	s_mov_b32 s13, 0
	s_and_saveexec_b32 s40, s29
	s_xor_b32 s29, exec_lo, s40
	s_cbranch_execz .LBB6_2784
; %bb.1716:                             ;   in Loop: Header=BB6_130 Depth=2
	v_cmp_eq_u16_sdwa s41, v25, v58 src0_sel:BYTE_0 src1_sel:DWORD
	s_mov_b32 s13, -1
	s_and_saveexec_b32 s40, s41
; %bb.1717:                             ;   in Loop: Header=BB6_130 Depth=2
	s_xor_b32 s13, exec_lo, -1
; %bb.1718:                             ;   in Loop: Header=BB6_130 Depth=2
	s_or_b32 exec_lo, exec_lo, s40
	s_and_b32 s13, s13, exec_lo
	s_or_saveexec_b32 s29, s29
	v_mov_b32_e32 v24, 0x7f800001
	s_xor_b32 exec_lo, exec_lo, s29
	s_cbranch_execnz .LBB6_2785
.LBB6_1719:                             ;   in Loop: Header=BB6_130 Depth=2
	s_or_b32 exec_lo, exec_lo, s29
	s_and_saveexec_b32 s29, s13
	s_cbranch_execz .LBB6_1721
.LBB6_1720:                             ;   in Loop: Header=BB6_130 Depth=2
	v_and_b32_e32 v2, 3, v25
	v_bfe_u32 v30, v25, 2, 5
	v_lshlrev_b32_e32 v119, 24, v25
	v_ffbh_u32_e32 v3, v2
	v_cmp_eq_u32_e32 vcc_lo, 0, v30
	v_min_u32_e32 v3, 32, v3
	v_subrev_nc_u32_e32 v24, 29, v3
	v_sub_nc_u32_e32 v3, 30, v3
	v_lshlrev_b32_e32 v24, v24, v25
	v_cndmask_b32_e32 v3, v30, v3, vcc_lo
	v_and_b32_e32 v24, 3, v24
	v_lshl_add_u32 v3, v3, 23, 0x37800000
	v_cndmask_b32_e32 v2, v2, v24, vcc_lo
	v_and_b32_e32 v24, 0x80000000, v119
	v_lshlrev_b32_e32 v2, 21, v2
	v_or3_b32 v24, v24, v3, v2
.LBB6_1721:                             ;   in Loop: Header=BB6_130 Depth=2
	s_or_b32 exec_lo, exec_lo, s29
	v_cmp_gt_i16_sdwa s29, v21, v57 src0_sel:BYTE_0 src1_sel:DWORD
	s_mov_b32 s13, 0
	s_and_saveexec_b32 s40, s29
	s_xor_b32 s29, exec_lo, s40
	s_cbranch_execz .LBB6_2786
; %bb.1722:                             ;   in Loop: Header=BB6_130 Depth=2
	v_cmp_eq_u16_sdwa s41, v21, v58 src0_sel:BYTE_0 src1_sel:DWORD
	s_mov_b32 s13, -1
	s_and_saveexec_b32 s40, s41
; %bb.1723:                             ;   in Loop: Header=BB6_130 Depth=2
	s_xor_b32 s13, exec_lo, -1
; %bb.1724:                             ;   in Loop: Header=BB6_130 Depth=2
	s_or_b32 exec_lo, exec_lo, s40
	s_and_b32 s13, s13, exec_lo
	s_or_saveexec_b32 s29, s29
	v_mov_b32_e32 v2, 0x7f800001
	s_xor_b32 exec_lo, exec_lo, s29
	s_cbranch_execnz .LBB6_2787
.LBB6_1725:                             ;   in Loop: Header=BB6_130 Depth=2
	s_or_b32 exec_lo, exec_lo, s29
	s_and_saveexec_b32 s29, s13
	s_cbranch_execz .LBB6_1727
.LBB6_1726:                             ;   in Loop: Header=BB6_130 Depth=2
	v_and_b32_e32 v2, 3, v21
	v_bfe_u32 v119, v21, 2, 5
	v_lshlrev_b32_e32 v40, 24, v21
	v_ffbh_u32_e32 v3, v2
	v_cmp_eq_u32_e32 vcc_lo, 0, v119
	v_min_u32_e32 v3, 32, v3
	v_subrev_nc_u32_e32 v30, 29, v3
	v_sub_nc_u32_e32 v3, 30, v3
	v_lshlrev_b32_e32 v30, v30, v21
	v_cndmask_b32_e32 v3, v119, v3, vcc_lo
	v_and_b32_e32 v30, 3, v30
	v_lshl_add_u32 v3, v3, 23, 0x37800000
	v_cndmask_b32_e32 v2, v2, v30, vcc_lo
	v_and_b32_e32 v30, 0x80000000, v40
	v_lshlrev_b32_e32 v2, 21, v2
	v_or3_b32 v2, v30, v3, v2
.LBB6_1727:                             ;   in Loop: Header=BB6_130 Depth=2
	s_or_b32 exec_lo, exec_lo, s29
	v_max_f32_e32 v2, v2, v2
	v_max_f32_e32 v3, v24, v24
	s_mov_b32 s13, 0
	v_max_f32_e32 v119, v3, v2
.LBB6_1728:                             ;   in Loop: Header=BB6_130 Depth=2
	s_and_b32 vcc_lo, exec_lo, s13
	s_cbranch_vccz .LBB6_1742
; %bb.1729:                             ;   in Loop: Header=BB6_130 Depth=2
	v_cmp_gt_i16_sdwa s29, v25, v57 src0_sel:BYTE_0 src1_sel:DWORD
	s_mov_b32 s13, 0
	s_and_saveexec_b32 s40, s29
	s_xor_b32 s29, exec_lo, s40
	s_cbranch_execz .LBB6_2788
; %bb.1730:                             ;   in Loop: Header=BB6_130 Depth=2
	v_cmp_eq_u16_sdwa s41, v25, v58 src0_sel:BYTE_0 src1_sel:DWORD
	s_mov_b32 s13, -1
	s_and_saveexec_b32 s40, s41
; %bb.1731:                             ;   in Loop: Header=BB6_130 Depth=2
	s_xor_b32 s13, exec_lo, -1
; %bb.1732:                             ;   in Loop: Header=BB6_130 Depth=2
	s_or_b32 exec_lo, exec_lo, s40
	s_and_b32 s13, s13, exec_lo
	s_or_saveexec_b32 s29, s29
	v_mov_b32_e32 v24, 0x7f800001
	s_xor_b32 exec_lo, exec_lo, s29
	s_cbranch_execnz .LBB6_2789
.LBB6_1733:                             ;   in Loop: Header=BB6_130 Depth=2
	s_or_b32 exec_lo, exec_lo, s29
	s_and_saveexec_b32 s29, s13
	s_cbranch_execz .LBB6_1735
.LBB6_1734:                             ;   in Loop: Header=BB6_130 Depth=2
	v_and_b32_e32 v2, 3, v25
	v_bfe_u32 v30, v25, 2, 5
	v_lshlrev_b32_e32 v119, 24, v25
	v_ffbh_u32_e32 v3, v2
	v_cmp_eq_u32_e32 vcc_lo, 0, v30
	v_min_u32_e32 v3, 32, v3
	v_subrev_nc_u32_e32 v24, 29, v3
	v_sub_nc_u32_e32 v3, 30, v3
	v_lshlrev_b32_e32 v24, v24, v25
	v_cndmask_b32_e32 v3, v30, v3, vcc_lo
	v_and_b32_e32 v24, 3, v24
	v_lshl_add_u32 v3, v3, 23, 0x37800000
	v_cndmask_b32_e32 v2, v2, v24, vcc_lo
	v_and_b32_e32 v24, 0x80000000, v119
	v_lshlrev_b32_e32 v2, 21, v2
	v_or3_b32 v24, v24, v3, v2
.LBB6_1735:                             ;   in Loop: Header=BB6_130 Depth=2
	s_or_b32 exec_lo, exec_lo, s29
	v_cmp_gt_i16_sdwa s29, v21, v57 src0_sel:BYTE_0 src1_sel:DWORD
	s_mov_b32 s13, 0
	s_and_saveexec_b32 s40, s29
	s_xor_b32 s29, exec_lo, s40
	s_cbranch_execz .LBB6_2790
; %bb.1736:                             ;   in Loop: Header=BB6_130 Depth=2
	v_cmp_eq_u16_sdwa s41, v21, v58 src0_sel:BYTE_0 src1_sel:DWORD
	s_mov_b32 s13, -1
	s_and_saveexec_b32 s40, s41
; %bb.1737:                             ;   in Loop: Header=BB6_130 Depth=2
	s_xor_b32 s13, exec_lo, -1
; %bb.1738:                             ;   in Loop: Header=BB6_130 Depth=2
	s_or_b32 exec_lo, exec_lo, s40
	s_and_b32 s13, s13, exec_lo
	s_or_saveexec_b32 s29, s29
	v_mov_b32_e32 v2, 0x7f800001
	s_xor_b32 exec_lo, exec_lo, s29
	s_cbranch_execnz .LBB6_2791
.LBB6_1739:                             ;   in Loop: Header=BB6_130 Depth=2
	s_or_b32 exec_lo, exec_lo, s29
	s_and_saveexec_b32 s29, s13
	s_cbranch_execz .LBB6_1741
.LBB6_1740:                             ;   in Loop: Header=BB6_130 Depth=2
	v_and_b32_e32 v2, 3, v21
	v_bfe_u32 v119, v21, 2, 5
	v_lshlrev_b32_e32 v40, 24, v21
	v_ffbh_u32_e32 v3, v2
	v_cmp_eq_u32_e32 vcc_lo, 0, v119
	v_min_u32_e32 v3, 32, v3
	v_subrev_nc_u32_e32 v30, 29, v3
	v_sub_nc_u32_e32 v3, 30, v3
	v_lshlrev_b32_e32 v30, v30, v21
	v_cndmask_b32_e32 v3, v119, v3, vcc_lo
	v_and_b32_e32 v30, 3, v30
	v_lshl_add_u32 v3, v3, 23, 0x37800000
	v_cndmask_b32_e32 v2, v2, v30, vcc_lo
	v_and_b32_e32 v30, 0x80000000, v40
	v_lshlrev_b32_e32 v2, 21, v2
	v_or3_b32 v2, v30, v3, v2
.LBB6_1741:                             ;   in Loop: Header=BB6_130 Depth=2
	s_or_b32 exec_lo, exec_lo, s29
	v_max_f32_e32 v2, v2, v2
	v_max_f32_e32 v3, v24, v24
	v_min_f32_e32 v119, v3, v2
.LBB6_1742:                             ;   in Loop: Header=BB6_130 Depth=2
	v_and_b32_e32 v2, 0x7f800000, v119
	v_mov_b32_e32 v24, 0x80
	s_mov_b32 s29, exec_lo
	v_cmpx_ne_u32_e32 0x7f800000, v2
	s_cbranch_execz .LBB6_1750
; %bb.1743:                             ;   in Loop: Header=BB6_130 Depth=2
	v_mov_b32_e32 v24, 0
	s_mov_b32 s40, exec_lo
	v_cmpx_ne_u32_e32 0, v119
	s_cbranch_execz .LBB6_1749
; %bb.1744:                             ;   in Loop: Header=BB6_130 Depth=2
	v_bfe_u32 v2, v119, 23, 8
	v_and_b32_e32 v3, 0x7fffff, v119
	v_sub_nc_u32_e32 v24, 0x70, v2
	v_cmp_gt_u32_e32 vcc_lo, 0x71, v2
	v_or_b32_e32 v30, 0x800000, v3
	v_cndmask_b32_e32 v24, 0, v24, vcc_lo
	v_cmp_eq_u32_e32 vcc_lo, 0, v2
	v_add_nc_u32_e32 v2, 0xffffff91, v2
	v_cndmask_b32_e64 v24, v24, 0x6f, vcc_lo
	v_cndmask_b32_e32 v3, v30, v3, vcc_lo
	v_cndmask_b32_e64 v2, v2, 0xffffff92, vcc_lo
	v_lshl_add_u32 v30, 0x200000, v24, -1
	v_lshrrev_b32_e32 v40, v24, v3
	v_lshlrev_b32_e64 v110, v24, 0x100000
	v_and_b32_e32 v3, v30, v3
	v_bfe_u32 v42, v40, 21, 1
	v_cmp_eq_u32_e64 s13, v3, v110
	v_add_nc_u32_e32 v30, -1, v42
	v_lshrrev_b32_e32 v42, 23, v40
	v_cndmask_b32_e64 v3, 0, v30, s13
	s_mov_b32 s13, exec_lo
	v_add_nc_u32_e32 v30, v3, v40
	v_add_nc_u32_e32 v3, v24, v2
                                        ; implicit-def: $vgpr24
	v_and_b32_e32 v2, 0x1fffff, v30
	v_xor_b32_e32 v30, 1, v42
	v_add_nc_u32_e32 v2, v2, v40
	v_cmpx_ne_u32_e64 v3, v30
	s_xor_b32 s13, exec_lo, s13
; %bb.1745:                             ;   in Loop: Header=BB6_130 Depth=2
	v_cmp_lt_u32_e32 vcc_lo, 0xffffff, v2
	v_sub_nc_u32_e32 v3, v3, v30
	v_cndmask_b32_e64 v30, 0, 1, vcc_lo
	v_add_co_ci_u32_e64 v24, null, 0, v3, vcc_lo
	v_lshrrev_b32_e32 v2, v30, v2
; %bb.1746:                             ;   in Loop: Header=BB6_130 Depth=2
	s_andn2_saveexec_b32 s13, s13
; %bb.1747:                             ;   in Loop: Header=BB6_130 Depth=2
	v_bfe_u32 v24, v2, 23, 1
; %bb.1748:                             ;   in Loop: Header=BB6_130 Depth=2
	s_or_b32 exec_lo, exec_lo, s13
	v_lshrrev_b32_e32 v2, 21, v2
	v_min_i32_e32 v3, 31, v24
	v_cmp_gt_i32_e32 vcc_lo, 32, v24
	v_and_b32_sdwa v30, v119, v58 dst_sel:DWORD dst_unused:UNUSED_PAD src0_sel:BYTE_3 src1_sel:DWORD
	v_lshlrev_b32_e32 v3, 2, v3
	v_cndmask_b32_e32 v2, 3, v2, vcc_lo
	v_and_b32_e32 v3, 0xfc, v3
	v_and_b32_e32 v119, 3, v2
	v_or_b32_e32 v2, v24, v2
	v_or3_b32 v3, v3, v30, v119
	v_cmp_ne_u32_e32 vcc_lo, 0, v2
	v_cndmask_b32_e32 v24, 0, v3, vcc_lo
.LBB6_1749:                             ;   in Loop: Header=BB6_130 Depth=2
	s_or_b32 exec_lo, exec_lo, s40
.LBB6_1750:                             ;   in Loop: Header=BB6_130 Depth=2
	s_or_b32 exec_lo, exec_lo, s29
	v_cmp_gt_i16_sdwa s29, v25, v57 src0_sel:BYTE_1 src1_sel:DWORD
	s_andn2_b32 vcc_lo, exec_lo, s28
	s_mov_b32 s13, -1
                                        ; implicit-def: $vgpr119
	s_cbranch_vccnz .LBB6_1764
; %bb.1751:                             ;   in Loop: Header=BB6_130 Depth=2
	s_mov_b32 s13, 0
	s_and_saveexec_b32 s40, s29
	s_xor_b32 s29, exec_lo, s40
	s_cbranch_execz .LBB6_2792
; %bb.1752:                             ;   in Loop: Header=BB6_130 Depth=2
	v_cmp_eq_u16_sdwa s41, v25, v58 src0_sel:BYTE_1 src1_sel:DWORD
	s_mov_b32 s13, -1
	s_and_saveexec_b32 s40, s41
; %bb.1753:                             ;   in Loop: Header=BB6_130 Depth=2
	s_xor_b32 s13, exec_lo, -1
; %bb.1754:                             ;   in Loop: Header=BB6_130 Depth=2
	s_or_b32 exec_lo, exec_lo, s40
	s_and_b32 s13, s13, exec_lo
	s_or_saveexec_b32 s29, s29
	v_mov_b32_e32 v119, 0x7f800001
	s_xor_b32 exec_lo, exec_lo, s29
	s_cbranch_execnz .LBB6_2793
.LBB6_1755:                             ;   in Loop: Header=BB6_130 Depth=2
	s_or_b32 exec_lo, exec_lo, s29
	s_and_saveexec_b32 s29, s13
	s_cbranch_execz .LBB6_1757
.LBB6_1756:                             ;   in Loop: Header=BB6_130 Depth=2
	v_and_b32_sdwa v2, v59, v25 dst_sel:DWORD dst_unused:UNUSED_PAD src0_sel:DWORD src1_sel:BYTE_1
	v_and_b32_e32 v3, 3, v2
	v_bfe_u32 v40, v2, 2, 5
	v_ffbh_u32_e32 v30, v3
	v_cmp_eq_u32_e32 vcc_lo, 0, v40
	v_min_u32_e32 v30, 32, v30
	v_subrev_nc_u32_e32 v119, 29, v30
	v_sub_nc_u32_e32 v30, 30, v30
	v_lshlrev_b32_e32 v2, v119, v2
	v_lshlrev_b32_e32 v119, 16, v25
	v_cndmask_b32_e32 v30, v40, v30, vcc_lo
	v_and_b32_e32 v2, 3, v2
	v_lshl_add_u32 v30, v30, 23, 0x37800000
	v_cndmask_b32_e32 v2, v3, v2, vcc_lo
	v_and_b32_e32 v3, 0x80000000, v119
	v_lshlrev_b32_e32 v2, 21, v2
	v_or3_b32 v119, v3, v30, v2
.LBB6_1757:                             ;   in Loop: Header=BB6_130 Depth=2
	s_or_b32 exec_lo, exec_lo, s29
	v_cmp_gt_i16_sdwa s29, v21, v57 src0_sel:BYTE_1 src1_sel:DWORD
	s_mov_b32 s13, 0
	s_and_saveexec_b32 s40, s29
	s_xor_b32 s29, exec_lo, s40
	s_cbranch_execz .LBB6_2794
; %bb.1758:                             ;   in Loop: Header=BB6_130 Depth=2
	v_cmp_eq_u16_sdwa s41, v21, v58 src0_sel:BYTE_1 src1_sel:DWORD
	s_mov_b32 s13, -1
	s_and_saveexec_b32 s40, s41
; %bb.1759:                             ;   in Loop: Header=BB6_130 Depth=2
	s_xor_b32 s13, exec_lo, -1
; %bb.1760:                             ;   in Loop: Header=BB6_130 Depth=2
	s_or_b32 exec_lo, exec_lo, s40
	s_and_b32 s13, s13, exec_lo
	s_or_saveexec_b32 s29, s29
	v_mov_b32_e32 v2, 0x7f800001
	s_xor_b32 exec_lo, exec_lo, s29
	s_cbranch_execnz .LBB6_2795
.LBB6_1761:                             ;   in Loop: Header=BB6_130 Depth=2
	s_or_b32 exec_lo, exec_lo, s29
	s_and_saveexec_b32 s29, s13
	s_cbranch_execz .LBB6_1763
.LBB6_1762:                             ;   in Loop: Header=BB6_130 Depth=2
	v_and_b32_sdwa v2, v59, v21 dst_sel:DWORD dst_unused:UNUSED_PAD src0_sel:DWORD src1_sel:BYTE_1
	v_and_b32_e32 v3, 3, v2
	v_bfe_u32 v42, v2, 2, 5
	v_ffbh_u32_e32 v30, v3
	v_cmp_eq_u32_e32 vcc_lo, 0, v42
	v_min_u32_e32 v30, 32, v30
	v_subrev_nc_u32_e32 v40, 29, v30
	v_sub_nc_u32_e32 v30, 30, v30
	v_lshlrev_b32_e32 v2, v40, v2
	v_lshlrev_b32_e32 v40, 16, v21
	v_cndmask_b32_e32 v30, v42, v30, vcc_lo
	v_and_b32_e32 v2, 3, v2
	v_lshl_add_u32 v30, v30, 23, 0x37800000
	v_cndmask_b32_e32 v2, v3, v2, vcc_lo
	v_and_b32_e32 v3, 0x80000000, v40
	v_lshlrev_b32_e32 v2, 21, v2
	v_or3_b32 v2, v3, v30, v2
.LBB6_1763:                             ;   in Loop: Header=BB6_130 Depth=2
	s_or_b32 exec_lo, exec_lo, s29
	v_max_f32_e32 v2, v2, v2
	v_max_f32_e32 v3, v119, v119
	s_mov_b32 s13, 0
	v_max_f32_e32 v119, v3, v2
.LBB6_1764:                             ;   in Loop: Header=BB6_130 Depth=2
	s_and_b32 vcc_lo, exec_lo, s13
	s_cbranch_vccz .LBB6_1778
; %bb.1765:                             ;   in Loop: Header=BB6_130 Depth=2
	v_cmp_gt_i16_sdwa s29, v25, v57 src0_sel:BYTE_1 src1_sel:DWORD
	s_mov_b32 s13, 0
	s_and_saveexec_b32 s40, s29
	s_xor_b32 s29, exec_lo, s40
	s_cbranch_execz .LBB6_2796
; %bb.1766:                             ;   in Loop: Header=BB6_130 Depth=2
	v_cmp_eq_u16_sdwa s41, v25, v58 src0_sel:BYTE_1 src1_sel:DWORD
	s_mov_b32 s13, -1
	s_and_saveexec_b32 s40, s41
; %bb.1767:                             ;   in Loop: Header=BB6_130 Depth=2
	s_xor_b32 s13, exec_lo, -1
; %bb.1768:                             ;   in Loop: Header=BB6_130 Depth=2
	s_or_b32 exec_lo, exec_lo, s40
	s_and_b32 s13, s13, exec_lo
	s_or_saveexec_b32 s29, s29
	v_mov_b32_e32 v119, 0x7f800001
	s_xor_b32 exec_lo, exec_lo, s29
	s_cbranch_execnz .LBB6_2797
.LBB6_1769:                             ;   in Loop: Header=BB6_130 Depth=2
	s_or_b32 exec_lo, exec_lo, s29
	s_and_saveexec_b32 s29, s13
	s_cbranch_execz .LBB6_1771
.LBB6_1770:                             ;   in Loop: Header=BB6_130 Depth=2
	v_and_b32_sdwa v2, v59, v25 dst_sel:DWORD dst_unused:UNUSED_PAD src0_sel:DWORD src1_sel:BYTE_1
	v_and_b32_e32 v3, 3, v2
	v_bfe_u32 v40, v2, 2, 5
	v_ffbh_u32_e32 v30, v3
	v_cmp_eq_u32_e32 vcc_lo, 0, v40
	v_min_u32_e32 v30, 32, v30
	v_subrev_nc_u32_e32 v119, 29, v30
	v_sub_nc_u32_e32 v30, 30, v30
	v_lshlrev_b32_e32 v2, v119, v2
	v_lshlrev_b32_e32 v119, 16, v25
	v_cndmask_b32_e32 v30, v40, v30, vcc_lo
	v_and_b32_e32 v2, 3, v2
	v_lshl_add_u32 v30, v30, 23, 0x37800000
	v_cndmask_b32_e32 v2, v3, v2, vcc_lo
	v_and_b32_e32 v3, 0x80000000, v119
	v_lshlrev_b32_e32 v2, 21, v2
	v_or3_b32 v119, v3, v30, v2
.LBB6_1771:                             ;   in Loop: Header=BB6_130 Depth=2
	s_or_b32 exec_lo, exec_lo, s29
	v_cmp_gt_i16_sdwa s29, v21, v57 src0_sel:BYTE_1 src1_sel:DWORD
	s_mov_b32 s13, 0
	s_and_saveexec_b32 s40, s29
	s_xor_b32 s29, exec_lo, s40
	s_cbranch_execz .LBB6_2798
; %bb.1772:                             ;   in Loop: Header=BB6_130 Depth=2
	v_cmp_eq_u16_sdwa s41, v21, v58 src0_sel:BYTE_1 src1_sel:DWORD
	s_mov_b32 s13, -1
	s_and_saveexec_b32 s40, s41
; %bb.1773:                             ;   in Loop: Header=BB6_130 Depth=2
	s_xor_b32 s13, exec_lo, -1
; %bb.1774:                             ;   in Loop: Header=BB6_130 Depth=2
	s_or_b32 exec_lo, exec_lo, s40
	s_and_b32 s13, s13, exec_lo
	s_or_saveexec_b32 s29, s29
	v_mov_b32_e32 v2, 0x7f800001
	s_xor_b32 exec_lo, exec_lo, s29
	s_cbranch_execnz .LBB6_2799
.LBB6_1775:                             ;   in Loop: Header=BB6_130 Depth=2
	s_or_b32 exec_lo, exec_lo, s29
	s_and_saveexec_b32 s29, s13
	s_cbranch_execz .LBB6_1777
.LBB6_1776:                             ;   in Loop: Header=BB6_130 Depth=2
	v_and_b32_sdwa v2, v59, v21 dst_sel:DWORD dst_unused:UNUSED_PAD src0_sel:DWORD src1_sel:BYTE_1
	v_and_b32_e32 v3, 3, v2
	v_bfe_u32 v42, v2, 2, 5
	v_ffbh_u32_e32 v30, v3
	v_cmp_eq_u32_e32 vcc_lo, 0, v42
	v_min_u32_e32 v30, 32, v30
	v_subrev_nc_u32_e32 v40, 29, v30
	v_sub_nc_u32_e32 v30, 30, v30
	v_lshlrev_b32_e32 v2, v40, v2
	v_lshlrev_b32_e32 v40, 16, v21
	v_cndmask_b32_e32 v30, v42, v30, vcc_lo
	v_and_b32_e32 v2, 3, v2
	v_lshl_add_u32 v30, v30, 23, 0x37800000
	v_cndmask_b32_e32 v2, v3, v2, vcc_lo
	v_and_b32_e32 v3, 0x80000000, v40
	v_lshlrev_b32_e32 v2, 21, v2
	v_or3_b32 v2, v3, v30, v2
.LBB6_1777:                             ;   in Loop: Header=BB6_130 Depth=2
	s_or_b32 exec_lo, exec_lo, s29
	v_max_f32_e32 v2, v2, v2
	v_max_f32_e32 v3, v119, v119
	v_min_f32_e32 v119, v3, v2
.LBB6_1778:                             ;   in Loop: Header=BB6_130 Depth=2
	v_and_b32_e32 v2, 0x7f800000, v119
	v_mov_b32_e32 v110, 0x8000
	s_mov_b32 s29, exec_lo
	v_cmpx_ne_u32_e32 0x7f800000, v2
	s_cbranch_execz .LBB6_1786
; %bb.1779:                             ;   in Loop: Header=BB6_130 Depth=2
	v_mov_b32_e32 v110, 0
	s_mov_b32 s40, exec_lo
	v_cmpx_ne_u32_e32 0, v119
	s_cbranch_execz .LBB6_1785
; %bb.1780:                             ;   in Loop: Header=BB6_130 Depth=2
	v_bfe_u32 v2, v119, 23, 8
	v_and_b32_e32 v3, 0x7fffff, v119
	v_sub_nc_u32_e32 v30, 0x70, v2
	v_cmp_gt_u32_e32 vcc_lo, 0x71, v2
	v_or_b32_e32 v40, 0x800000, v3
	v_cndmask_b32_e32 v30, 0, v30, vcc_lo
	v_cmp_eq_u32_e32 vcc_lo, 0, v2
	v_add_nc_u32_e32 v2, 0xffffff91, v2
	v_cndmask_b32_e64 v30, v30, 0x6f, vcc_lo
	v_cndmask_b32_e32 v3, v40, v3, vcc_lo
	v_cndmask_b32_e64 v2, v2, 0xffffff92, vcc_lo
	v_lshl_add_u32 v40, 0x200000, v30, -1
	v_lshrrev_b32_e32 v42, v30, v3
	v_lshlrev_b32_e64 v111, v30, 0x100000
	v_and_b32_e32 v3, v40, v3
	v_bfe_u32 v110, v42, 21, 1
	v_cmp_eq_u32_e64 s13, v3, v111
	v_add_nc_u32_e32 v40, -1, v110
	v_lshrrev_b32_e32 v110, 23, v42
	v_cndmask_b32_e64 v3, 0, v40, s13
	s_mov_b32 s13, exec_lo
	v_add_nc_u32_e32 v40, v3, v42
	v_add_nc_u32_e32 v3, v30, v2
                                        ; implicit-def: $vgpr30
	v_and_b32_e32 v2, 0x1fffff, v40
	v_xor_b32_e32 v40, 1, v110
	v_add_nc_u32_e32 v2, v2, v42
	v_cmpx_ne_u32_e64 v3, v40
	s_xor_b32 s13, exec_lo, s13
; %bb.1781:                             ;   in Loop: Header=BB6_130 Depth=2
	v_cmp_lt_u32_e32 vcc_lo, 0xffffff, v2
	v_sub_nc_u32_e32 v3, v3, v40
	v_cndmask_b32_e64 v40, 0, 1, vcc_lo
	v_add_co_ci_u32_e64 v30, null, 0, v3, vcc_lo
	v_lshrrev_b32_e32 v2, v40, v2
; %bb.1782:                             ;   in Loop: Header=BB6_130 Depth=2
	s_andn2_saveexec_b32 s13, s13
; %bb.1783:                             ;   in Loop: Header=BB6_130 Depth=2
	v_bfe_u32 v30, v2, 23, 1
; %bb.1784:                             ;   in Loop: Header=BB6_130 Depth=2
	s_or_b32 exec_lo, exec_lo, s13
	v_lshrrev_b32_e32 v2, 21, v2
	v_min_i32_e32 v3, 31, v30
	v_cmp_gt_i32_e32 vcc_lo, 32, v30
	v_and_b32_sdwa v119, v119, v58 dst_sel:DWORD dst_unused:UNUSED_PAD src0_sel:BYTE_3 src1_sel:DWORD
	v_lshlrev_b32_e32 v3, 2, v3
	v_cndmask_b32_e32 v2, 3, v2, vcc_lo
	v_and_b32_e32 v3, 0xfc, v3
	v_and_b32_e32 v40, 3, v2
	v_or_b32_e32 v2, v30, v2
	v_or3_b32 v3, v119, v3, v40
	v_cmp_ne_u32_e32 vcc_lo, 0, v2
	v_lshlrev_b32_e32 v3, 8, v3
	v_cndmask_b32_e32 v110, 0, v3, vcc_lo
.LBB6_1785:                             ;   in Loop: Header=BB6_130 Depth=2
	s_or_b32 exec_lo, exec_lo, s40
.LBB6_1786:                             ;   in Loop: Header=BB6_130 Depth=2
	s_or_b32 exec_lo, exec_lo, s29
	v_and_b32_sdwa v119, v25, v60 dst_sel:DWORD dst_unused:UNUSED_PAD src0_sel:WORD_1 src1_sel:DWORD
	s_andn2_b32 vcc_lo, exec_lo, s28
	s_mov_b32 s29, -1
                                        ; implicit-def: $vgpr120
	v_cmp_lt_i16_e64 s13, 0x7f, v119
	s_cbranch_vccnz .LBB6_1800
; %bb.1787:                             ;   in Loop: Header=BB6_130 Depth=2
	s_mov_b32 s29, 0
	s_and_saveexec_b32 s40, s13
	s_xor_b32 s13, exec_lo, s40
	s_cbranch_execz .LBB6_2800
; %bb.1788:                             ;   in Loop: Header=BB6_130 Depth=2
	s_mov_b32 s29, -1
	s_mov_b32 s40, exec_lo
	v_cmpx_eq_u16_e32 0x80, v119
; %bb.1789:                             ;   in Loop: Header=BB6_130 Depth=2
	s_xor_b32 s29, exec_lo, -1
; %bb.1790:                             ;   in Loop: Header=BB6_130 Depth=2
	s_or_b32 exec_lo, exec_lo, s40
	s_and_b32 s29, s29, exec_lo
	s_or_saveexec_b32 s13, s13
	v_mov_b32_e32 v40, 0x7f800001
	s_xor_b32 exec_lo, exec_lo, s13
	s_cbranch_execnz .LBB6_2801
.LBB6_1791:                             ;   in Loop: Header=BB6_130 Depth=2
	s_or_b32 exec_lo, exec_lo, s13
	s_and_saveexec_b32 s13, s29
	s_cbranch_execz .LBB6_1793
.LBB6_1792:                             ;   in Loop: Header=BB6_130 Depth=2
	v_bfe_u32 v2, v25, 16, 2
	v_bfe_u32 v40, v25, 18, 5
	v_lshlrev_b32_sdwa v42, v61, v25 dst_sel:DWORD dst_unused:UNUSED_PAD src0_sel:DWORD src1_sel:WORD_1
	v_ffbh_u32_e32 v3, v2
	v_cmp_eq_u32_e32 vcc_lo, 0, v40
	v_min_u32_e32 v3, 32, v3
	v_subrev_nc_u32_e32 v30, 29, v3
	v_sub_nc_u32_e32 v3, 30, v3
	v_lshlrev_b32_sdwa v30, v30, v25 dst_sel:DWORD dst_unused:UNUSED_PAD src0_sel:DWORD src1_sel:WORD_1
	v_cndmask_b32_e32 v3, v40, v3, vcc_lo
	v_and_b32_e32 v30, 3, v30
	v_lshl_add_u32 v3, v3, 23, 0x37800000
	v_cndmask_b32_e32 v2, v2, v30, vcc_lo
	v_and_b32_e32 v30, 0x80000000, v42
	v_lshlrev_b32_e32 v2, 21, v2
	v_or3_b32 v40, v30, v3, v2
.LBB6_1793:                             ;   in Loop: Header=BB6_130 Depth=2
	s_or_b32 exec_lo, exec_lo, s13
	v_and_b32_sdwa v3, v21, v60 dst_sel:DWORD dst_unused:UNUSED_PAD src0_sel:WORD_1 src1_sel:DWORD
	s_mov_b32 s13, 0
	s_mov_b32 s29, exec_lo
	v_cmpx_lt_i16_e32 0x7f, v3
	s_xor_b32 s29, exec_lo, s29
	s_cbranch_execz .LBB6_2802
; %bb.1794:                             ;   in Loop: Header=BB6_130 Depth=2
	s_mov_b32 s13, -1
	s_mov_b32 s40, exec_lo
	v_cmpx_eq_u16_e32 0x80, v3
; %bb.1795:                             ;   in Loop: Header=BB6_130 Depth=2
	s_xor_b32 s13, exec_lo, -1
; %bb.1796:                             ;   in Loop: Header=BB6_130 Depth=2
	s_or_b32 exec_lo, exec_lo, s40
	s_and_b32 s13, s13, exec_lo
                                        ; implicit-def: $vgpr3
	s_or_saveexec_b32 s29, s29
	v_mov_b32_e32 v2, 0x7f800001
	s_xor_b32 exec_lo, exec_lo, s29
	s_cbranch_execnz .LBB6_2803
.LBB6_1797:                             ;   in Loop: Header=BB6_130 Depth=2
	s_or_b32 exec_lo, exec_lo, s29
	s_and_saveexec_b32 s29, s13
	s_cbranch_execz .LBB6_1799
.LBB6_1798:                             ;   in Loop: Header=BB6_130 Depth=2
	v_bfe_u32 v2, v21, 16, 2
	v_bfe_u32 v42, v21, 18, 5
	v_lshlrev_b32_sdwa v111, v61, v21 dst_sel:DWORD dst_unused:UNUSED_PAD src0_sel:DWORD src1_sel:WORD_1
	v_ffbh_u32_e32 v3, v2
	v_cmp_eq_u32_e32 vcc_lo, 0, v42
	v_min_u32_e32 v3, 32, v3
	v_subrev_nc_u32_e32 v30, 29, v3
	v_sub_nc_u32_e32 v3, 30, v3
	v_lshlrev_b32_sdwa v30, v30, v21 dst_sel:DWORD dst_unused:UNUSED_PAD src0_sel:DWORD src1_sel:WORD_1
	v_cndmask_b32_e32 v3, v42, v3, vcc_lo
	v_and_b32_e32 v30, 3, v30
	v_lshl_add_u32 v3, v3, 23, 0x37800000
	v_cndmask_b32_e32 v2, v2, v30, vcc_lo
	v_and_b32_e32 v30, 0x80000000, v111
	v_lshlrev_b32_e32 v2, 21, v2
	v_or3_b32 v2, v30, v3, v2
.LBB6_1799:                             ;   in Loop: Header=BB6_130 Depth=2
	s_or_b32 exec_lo, exec_lo, s29
	v_max_f32_e32 v2, v2, v2
	v_max_f32_e32 v3, v40, v40
	s_mov_b32 s29, 0
	v_max_f32_e32 v120, v3, v2
.LBB6_1800:                             ;   in Loop: Header=BB6_130 Depth=2
	s_and_b32 vcc_lo, exec_lo, s29
	s_cbranch_vccz .LBB6_1814
; %bb.1801:                             ;   in Loop: Header=BB6_130 Depth=2
	s_mov_b32 s13, 0
	s_mov_b32 s29, exec_lo
	v_cmpx_lt_i16_e32 0x7f, v119
	s_xor_b32 s29, exec_lo, s29
	s_cbranch_execz .LBB6_2804
; %bb.1802:                             ;   in Loop: Header=BB6_130 Depth=2
	s_mov_b32 s13, -1
	s_mov_b32 s40, exec_lo
	v_cmpx_eq_u16_e32 0x80, v119
; %bb.1803:                             ;   in Loop: Header=BB6_130 Depth=2
	s_xor_b32 s13, exec_lo, -1
; %bb.1804:                             ;   in Loop: Header=BB6_130 Depth=2
	s_or_b32 exec_lo, exec_lo, s40
	s_and_b32 s13, s13, exec_lo
                                        ; implicit-def: $vgpr119
	s_or_saveexec_b32 s29, s29
	v_mov_b32_e32 v40, 0x7f800001
	s_xor_b32 exec_lo, exec_lo, s29
	s_cbranch_execnz .LBB6_2805
.LBB6_1805:                             ;   in Loop: Header=BB6_130 Depth=2
	s_or_b32 exec_lo, exec_lo, s29
	s_and_saveexec_b32 s29, s13
	s_cbranch_execz .LBB6_1807
.LBB6_1806:                             ;   in Loop: Header=BB6_130 Depth=2
	v_bfe_u32 v2, v25, 16, 2
	v_bfe_u32 v119, v25, 18, 5
	v_lshlrev_b32_sdwa v40, v61, v25 dst_sel:DWORD dst_unused:UNUSED_PAD src0_sel:DWORD src1_sel:WORD_1
	v_ffbh_u32_e32 v3, v2
	v_cmp_eq_u32_e32 vcc_lo, 0, v119
	v_min_u32_e32 v3, 32, v3
	v_subrev_nc_u32_e32 v30, 29, v3
	v_sub_nc_u32_e32 v3, 30, v3
	v_lshlrev_b32_sdwa v30, v30, v25 dst_sel:DWORD dst_unused:UNUSED_PAD src0_sel:DWORD src1_sel:WORD_1
	v_cndmask_b32_e32 v3, v119, v3, vcc_lo
	v_and_b32_e32 v30, 3, v30
	v_lshl_add_u32 v3, v3, 23, 0x37800000
	v_cndmask_b32_e32 v2, v2, v30, vcc_lo
	v_and_b32_e32 v30, 0x80000000, v40
	v_lshlrev_b32_e32 v2, 21, v2
	v_or3_b32 v40, v30, v3, v2
.LBB6_1807:                             ;   in Loop: Header=BB6_130 Depth=2
	s_or_b32 exec_lo, exec_lo, s29
	v_and_b32_sdwa v3, v21, v60 dst_sel:DWORD dst_unused:UNUSED_PAD src0_sel:WORD_1 src1_sel:DWORD
	s_mov_b32 s13, 0
	s_mov_b32 s29, exec_lo
	v_cmpx_lt_i16_e32 0x7f, v3
	s_xor_b32 s29, exec_lo, s29
	s_cbranch_execz .LBB6_2806
; %bb.1808:                             ;   in Loop: Header=BB6_130 Depth=2
	s_mov_b32 s13, -1
	s_mov_b32 s40, exec_lo
	v_cmpx_eq_u16_e32 0x80, v3
; %bb.1809:                             ;   in Loop: Header=BB6_130 Depth=2
	s_xor_b32 s13, exec_lo, -1
; %bb.1810:                             ;   in Loop: Header=BB6_130 Depth=2
	s_or_b32 exec_lo, exec_lo, s40
	s_and_b32 s13, s13, exec_lo
                                        ; implicit-def: $vgpr3
	s_or_saveexec_b32 s29, s29
	v_mov_b32_e32 v2, 0x7f800001
	s_xor_b32 exec_lo, exec_lo, s29
	s_cbranch_execnz .LBB6_2807
.LBB6_1811:                             ;   in Loop: Header=BB6_130 Depth=2
	s_or_b32 exec_lo, exec_lo, s29
	s_and_saveexec_b32 s29, s13
	s_cbranch_execz .LBB6_1813
.LBB6_1812:                             ;   in Loop: Header=BB6_130 Depth=2
	v_bfe_u32 v2, v21, 16, 2
	v_bfe_u32 v119, v21, 18, 5
	v_lshlrev_b32_sdwa v42, v61, v21 dst_sel:DWORD dst_unused:UNUSED_PAD src0_sel:DWORD src1_sel:WORD_1
	v_ffbh_u32_e32 v3, v2
	v_cmp_eq_u32_e32 vcc_lo, 0, v119
	v_min_u32_e32 v3, 32, v3
	v_subrev_nc_u32_e32 v30, 29, v3
	v_sub_nc_u32_e32 v3, 30, v3
	v_lshlrev_b32_sdwa v30, v30, v21 dst_sel:DWORD dst_unused:UNUSED_PAD src0_sel:DWORD src1_sel:WORD_1
	v_cndmask_b32_e32 v3, v119, v3, vcc_lo
	v_and_b32_e32 v30, 3, v30
	v_lshl_add_u32 v3, v3, 23, 0x37800000
	v_cndmask_b32_e32 v2, v2, v30, vcc_lo
	v_and_b32_e32 v30, 0x80000000, v42
	v_lshlrev_b32_e32 v2, 21, v2
	v_or3_b32 v2, v30, v3, v2
.LBB6_1813:                             ;   in Loop: Header=BB6_130 Depth=2
	s_or_b32 exec_lo, exec_lo, s29
	v_max_f32_e32 v2, v2, v2
	v_max_f32_e32 v3, v40, v40
	v_min_f32_e32 v120, v3, v2
.LBB6_1814:                             ;   in Loop: Header=BB6_130 Depth=2
	v_and_b32_e32 v2, 0x7f800000, v120
	v_mov_b32_e32 v111, 0x80
	s_mov_b32 s29, exec_lo
	v_cmpx_ne_u32_e32 0x7f800000, v2
	s_cbranch_execz .LBB6_1822
; %bb.1815:                             ;   in Loop: Header=BB6_130 Depth=2
	v_mov_b32_e32 v111, 0
	s_mov_b32 s40, exec_lo
	v_cmpx_ne_u32_e32 0, v120
	s_cbranch_execz .LBB6_1821
; %bb.1816:                             ;   in Loop: Header=BB6_130 Depth=2
	v_bfe_u32 v3, v120, 23, 8
	v_and_b32_e32 v2, 0x7fffff, v120
	v_cmp_gt_u32_e64 s13, 0x71, v3
	v_sub_nc_u32_e32 v30, 0x70, v3
	v_cmp_eq_u32_e32 vcc_lo, 0, v3
	v_or_b32_e32 v119, 0x800000, v2
	v_add_nc_u32_e32 v3, 0xffffff91, v3
	v_cndmask_b32_e64 v30, 0, v30, s13
	v_cndmask_b32_e32 v2, v119, v2, vcc_lo
	v_cndmask_b32_e64 v3, v3, 0xffffff92, vcc_lo
	v_cndmask_b32_e64 v30, v30, 0x6f, vcc_lo
	v_lshl_add_u32 v119, 0x200000, v30, -1
	v_lshlrev_b32_e64 v40, v30, 0x100000
	v_and_b32_e32 v119, v119, v2
	v_lshrrev_b32_e32 v2, v30, v2
	v_cmp_eq_u32_e64 s13, v119, v40
	v_add_nc_u32_e32 v119, v30, v3
	v_lshrrev_b32_e32 v3, 23, v2
                                        ; implicit-def: $vgpr30
	v_xor_b32_e32 v40, 1, v3
	v_bfe_u32 v3, v2, 21, 1
	v_add_nc_u32_e32 v3, -1, v3
	v_cndmask_b32_e64 v3, 0, v3, s13
	s_mov_b32 s13, exec_lo
	v_add_nc_u32_e32 v3, v3, v2
	v_and_b32_e32 v3, 0x1fffff, v3
	v_add_nc_u32_e32 v2, v3, v2
	v_cmpx_ne_u32_e64 v119, v40
	s_xor_b32 s13, exec_lo, s13
; %bb.1817:                             ;   in Loop: Header=BB6_130 Depth=2
	v_cmp_lt_u32_e32 vcc_lo, 0xffffff, v2
	v_sub_nc_u32_e32 v3, v119, v40
	v_cndmask_b32_e64 v119, 0, 1, vcc_lo
	v_add_co_ci_u32_e64 v30, null, 0, v3, vcc_lo
	v_lshrrev_b32_e32 v2, v119, v2
; %bb.1818:                             ;   in Loop: Header=BB6_130 Depth=2
	s_andn2_saveexec_b32 s13, s13
; %bb.1819:                             ;   in Loop: Header=BB6_130 Depth=2
	v_bfe_u32 v30, v2, 23, 1
; %bb.1820:                             ;   in Loop: Header=BB6_130 Depth=2
	s_or_b32 exec_lo, exec_lo, s13
	v_lshrrev_b32_e32 v2, 21, v2
	v_min_i32_e32 v3, 31, v30
	v_cmp_gt_i32_e32 vcc_lo, 32, v30
	v_and_b32_sdwa v119, v120, v58 dst_sel:DWORD dst_unused:UNUSED_PAD src0_sel:BYTE_3 src1_sel:DWORD
	v_lshlrev_b32_e32 v3, 2, v3
	v_cndmask_b32_e32 v2, 3, v2, vcc_lo
	v_and_b32_e32 v3, 0xfc, v3
	v_and_b32_e32 v40, 3, v2
	v_or_b32_e32 v2, v30, v2
	v_or3_b32 v3, v3, v119, v40
	v_cmp_ne_u32_e32 vcc_lo, 0, v2
	v_cndmask_b32_e32 v111, 0, v3, vcc_lo
.LBB6_1821:                             ;   in Loop: Header=BB6_130 Depth=2
	s_or_b32 exec_lo, exec_lo, s40
.LBB6_1822:                             ;   in Loop: Header=BB6_130 Depth=2
	s_or_b32 exec_lo, exec_lo, s29
	v_cmp_gt_i16_sdwa s29, v25, v57 src0_sel:BYTE_3 src1_sel:DWORD
	s_andn2_b32 vcc_lo, exec_lo, s28
	s_mov_b32 s13, -1
                                        ; implicit-def: $vgpr119
	s_cbranch_vccnz .LBB6_1836
; %bb.1823:                             ;   in Loop: Header=BB6_130 Depth=2
	s_mov_b32 s13, 0
	s_and_saveexec_b32 s40, s29
	s_xor_b32 s29, exec_lo, s40
	s_cbranch_execz .LBB6_2808
; %bb.1824:                             ;   in Loop: Header=BB6_130 Depth=2
	v_cmp_eq_u16_sdwa s41, v25, v58 src0_sel:BYTE_3 src1_sel:DWORD
	s_mov_b32 s13, -1
	s_and_saveexec_b32 s40, s41
; %bb.1825:                             ;   in Loop: Header=BB6_130 Depth=2
	s_xor_b32 s13, exec_lo, -1
; %bb.1826:                             ;   in Loop: Header=BB6_130 Depth=2
	s_or_b32 exec_lo, exec_lo, s40
	s_and_b32 s13, s13, exec_lo
	s_or_saveexec_b32 s29, s29
	v_mov_b32_e32 v119, 0x7f800001
	s_xor_b32 exec_lo, exec_lo, s29
	s_cbranch_execnz .LBB6_2809
.LBB6_1827:                             ;   in Loop: Header=BB6_130 Depth=2
	s_or_b32 exec_lo, exec_lo, s29
	s_and_saveexec_b32 s29, s13
	s_cbranch_execz .LBB6_1829
.LBB6_1828:                             ;   in Loop: Header=BB6_130 Depth=2
	v_bfe_u32 v2, v25, 24, 2
	v_bfe_u32 v119, v25, 26, 5
	v_ffbh_u32_e32 v3, v2
	v_cmp_eq_u32_e32 vcc_lo, 0, v119
	v_min_u32_e32 v3, 32, v3
	v_subrev_nc_u32_e32 v30, 29, v3
	v_sub_nc_u32_e32 v3, 30, v3
	v_lshlrev_b32_sdwa v30, v30, v25 dst_sel:DWORD dst_unused:UNUSED_PAD src0_sel:DWORD src1_sel:BYTE_3
	v_cndmask_b32_e32 v3, v119, v3, vcc_lo
	v_and_b32_e32 v30, 3, v30
	v_lshl_add_u32 v3, v3, 23, 0x37800000
	v_cndmask_b32_e32 v2, v2, v30, vcc_lo
	v_and_b32_e32 v30, 0x80000000, v25
	v_lshlrev_b32_e32 v2, 21, v2
	v_or3_b32 v119, v30, v3, v2
.LBB6_1829:                             ;   in Loop: Header=BB6_130 Depth=2
	s_or_b32 exec_lo, exec_lo, s29
	v_cmp_gt_i16_sdwa s29, v21, v57 src0_sel:BYTE_3 src1_sel:DWORD
	s_mov_b32 s13, 0
	s_and_saveexec_b32 s40, s29
	s_xor_b32 s29, exec_lo, s40
	s_cbranch_execz .LBB6_2810
; %bb.1830:                             ;   in Loop: Header=BB6_130 Depth=2
	v_cmp_eq_u16_sdwa s41, v21, v58 src0_sel:BYTE_3 src1_sel:DWORD
	s_mov_b32 s13, -1
	s_and_saveexec_b32 s40, s41
; %bb.1831:                             ;   in Loop: Header=BB6_130 Depth=2
	s_xor_b32 s13, exec_lo, -1
; %bb.1832:                             ;   in Loop: Header=BB6_130 Depth=2
	s_or_b32 exec_lo, exec_lo, s40
	s_and_b32 s13, s13, exec_lo
	s_or_saveexec_b32 s29, s29
	v_mov_b32_e32 v2, 0x7f800001
	s_xor_b32 exec_lo, exec_lo, s29
	s_cbranch_execnz .LBB6_2811
.LBB6_1833:                             ;   in Loop: Header=BB6_130 Depth=2
	s_or_b32 exec_lo, exec_lo, s29
	s_and_saveexec_b32 s29, s13
	s_cbranch_execz .LBB6_1835
.LBB6_1834:                             ;   in Loop: Header=BB6_130 Depth=2
	v_bfe_u32 v2, v21, 24, 2
	v_bfe_u32 v40, v21, 26, 5
	v_ffbh_u32_e32 v3, v2
	v_cmp_eq_u32_e32 vcc_lo, 0, v40
	v_min_u32_e32 v3, 32, v3
	v_subrev_nc_u32_e32 v30, 29, v3
	v_sub_nc_u32_e32 v3, 30, v3
	v_lshlrev_b32_sdwa v30, v30, v21 dst_sel:DWORD dst_unused:UNUSED_PAD src0_sel:DWORD src1_sel:BYTE_3
	v_cndmask_b32_e32 v3, v40, v3, vcc_lo
	v_and_b32_e32 v30, 3, v30
	v_lshl_add_u32 v3, v3, 23, 0x37800000
	v_cndmask_b32_e32 v2, v2, v30, vcc_lo
	v_and_b32_e32 v30, 0x80000000, v21
	v_lshlrev_b32_e32 v2, 21, v2
	v_or3_b32 v2, v30, v3, v2
.LBB6_1835:                             ;   in Loop: Header=BB6_130 Depth=2
	s_or_b32 exec_lo, exec_lo, s29
	v_max_f32_e32 v2, v2, v2
	v_max_f32_e32 v3, v119, v119
	s_mov_b32 s13, 0
	v_max_f32_e32 v119, v3, v2
.LBB6_1836:                             ;   in Loop: Header=BB6_130 Depth=2
	s_and_b32 vcc_lo, exec_lo, s13
	s_cbranch_vccz .LBB6_1850
; %bb.1837:                             ;   in Loop: Header=BB6_130 Depth=2
	v_cmp_gt_i16_sdwa s29, v25, v57 src0_sel:BYTE_3 src1_sel:DWORD
	s_mov_b32 s13, 0
	s_and_saveexec_b32 s40, s29
	s_xor_b32 s29, exec_lo, s40
	s_cbranch_execz .LBB6_2812
; %bb.1838:                             ;   in Loop: Header=BB6_130 Depth=2
	v_cmp_eq_u16_sdwa s41, v25, v58 src0_sel:BYTE_3 src1_sel:DWORD
	s_mov_b32 s13, -1
	s_and_saveexec_b32 s40, s41
; %bb.1839:                             ;   in Loop: Header=BB6_130 Depth=2
	s_xor_b32 s13, exec_lo, -1
; %bb.1840:                             ;   in Loop: Header=BB6_130 Depth=2
	s_or_b32 exec_lo, exec_lo, s40
	s_and_b32 s13, s13, exec_lo
	s_or_saveexec_b32 s29, s29
	v_mov_b32_e32 v119, 0x7f800001
	s_xor_b32 exec_lo, exec_lo, s29
	s_cbranch_execnz .LBB6_2813
.LBB6_1841:                             ;   in Loop: Header=BB6_130 Depth=2
	s_or_b32 exec_lo, exec_lo, s29
	s_and_saveexec_b32 s29, s13
	s_cbranch_execz .LBB6_1843
.LBB6_1842:                             ;   in Loop: Header=BB6_130 Depth=2
	v_bfe_u32 v2, v25, 24, 2
	v_bfe_u32 v119, v25, 26, 5
	v_ffbh_u32_e32 v3, v2
	v_cmp_eq_u32_e32 vcc_lo, 0, v119
	v_min_u32_e32 v3, 32, v3
	v_subrev_nc_u32_e32 v30, 29, v3
	v_sub_nc_u32_e32 v3, 30, v3
	v_lshlrev_b32_sdwa v30, v30, v25 dst_sel:DWORD dst_unused:UNUSED_PAD src0_sel:DWORD src1_sel:BYTE_3
	v_cndmask_b32_e32 v3, v119, v3, vcc_lo
	v_and_b32_e32 v25, 0x80000000, v25
	v_and_b32_e32 v30, 3, v30
	v_lshl_add_u32 v3, v3, 23, 0x37800000
	v_cndmask_b32_e32 v2, v2, v30, vcc_lo
	v_lshlrev_b32_e32 v2, 21, v2
	v_or3_b32 v119, v25, v3, v2
.LBB6_1843:                             ;   in Loop: Header=BB6_130 Depth=2
	s_or_b32 exec_lo, exec_lo, s29
	v_cmp_gt_i16_sdwa s29, v21, v57 src0_sel:BYTE_3 src1_sel:DWORD
	s_mov_b32 s13, 0
	s_and_saveexec_b32 s40, s29
	s_xor_b32 s29, exec_lo, s40
	s_cbranch_execz .LBB6_2814
; %bb.1844:                             ;   in Loop: Header=BB6_130 Depth=2
	v_cmp_eq_u16_sdwa s41, v21, v58 src0_sel:BYTE_3 src1_sel:DWORD
	s_mov_b32 s13, -1
	s_and_saveexec_b32 s40, s41
; %bb.1845:                             ;   in Loop: Header=BB6_130 Depth=2
	s_xor_b32 s13, exec_lo, -1
; %bb.1846:                             ;   in Loop: Header=BB6_130 Depth=2
	s_or_b32 exec_lo, exec_lo, s40
	s_and_b32 s13, s13, exec_lo
	s_or_saveexec_b32 s29, s29
	v_mov_b32_e32 v2, 0x7f800001
	s_xor_b32 exec_lo, exec_lo, s29
	s_cbranch_execnz .LBB6_2815
.LBB6_1847:                             ;   in Loop: Header=BB6_130 Depth=2
	s_or_b32 exec_lo, exec_lo, s29
	s_and_saveexec_b32 s29, s13
	s_cbranch_execz .LBB6_1849
.LBB6_1848:                             ;   in Loop: Header=BB6_130 Depth=2
	v_bfe_u32 v2, v21, 24, 2
	v_bfe_u32 v30, v21, 26, 5
	v_ffbh_u32_e32 v3, v2
	v_cmp_eq_u32_e32 vcc_lo, 0, v30
	v_min_u32_e32 v3, 32, v3
	v_subrev_nc_u32_e32 v25, 29, v3
	v_sub_nc_u32_e32 v3, 30, v3
	v_lshlrev_b32_sdwa v25, v25, v21 dst_sel:DWORD dst_unused:UNUSED_PAD src0_sel:DWORD src1_sel:BYTE_3
	v_cndmask_b32_e32 v3, v30, v3, vcc_lo
	v_and_b32_e32 v21, 0x80000000, v21
	v_and_b32_e32 v25, 3, v25
	v_lshl_add_u32 v3, v3, 23, 0x37800000
	v_cndmask_b32_e32 v2, v2, v25, vcc_lo
	v_lshlrev_b32_e32 v2, 21, v2
	v_or3_b32 v2, v21, v3, v2
.LBB6_1849:                             ;   in Loop: Header=BB6_130 Depth=2
	s_or_b32 exec_lo, exec_lo, s29
	v_max_f32_e32 v2, v2, v2
	v_max_f32_e32 v3, v119, v119
	v_min_f32_e32 v119, v3, v2
.LBB6_1850:                             ;   in Loop: Header=BB6_130 Depth=2
	v_and_b32_e32 v2, 0x7f800000, v119
	v_mov_b32_e32 v21, 0x8000
	s_mov_b32 s29, exec_lo
	v_cmpx_ne_u32_e32 0x7f800000, v2
	s_cbranch_execz .LBB6_1858
; %bb.1851:                             ;   in Loop: Header=BB6_130 Depth=2
	v_mov_b32_e32 v21, 0
	s_mov_b32 s40, exec_lo
	v_cmpx_ne_u32_e32 0, v119
	s_cbranch_execz .LBB6_1857
; %bb.1852:                             ;   in Loop: Header=BB6_130 Depth=2
	v_bfe_u32 v2, v119, 23, 8
	v_and_b32_e32 v3, 0x7fffff, v119
	v_sub_nc_u32_e32 v21, 0x70, v2
	v_cmp_gt_u32_e32 vcc_lo, 0x71, v2
	v_or_b32_e32 v25, 0x800000, v3
	v_cndmask_b32_e32 v21, 0, v21, vcc_lo
	v_cmp_eq_u32_e32 vcc_lo, 0, v2
	v_add_nc_u32_e32 v2, 0xffffff91, v2
	v_cndmask_b32_e64 v21, v21, 0x6f, vcc_lo
	v_cndmask_b32_e32 v3, v25, v3, vcc_lo
	v_cndmask_b32_e64 v2, v2, 0xffffff92, vcc_lo
	v_lshl_add_u32 v25, 0x200000, v21, -1
	v_lshrrev_b32_e32 v30, v21, v3
	v_lshlrev_b32_e64 v42, v21, 0x100000
	v_and_b32_e32 v3, v25, v3
	v_bfe_u32 v40, v30, 21, 1
	v_cmp_eq_u32_e64 s13, v3, v42
	v_add_nc_u32_e32 v25, -1, v40
	v_lshrrev_b32_e32 v40, 23, v30
	v_cndmask_b32_e64 v3, 0, v25, s13
	s_mov_b32 s13, exec_lo
	v_add_nc_u32_e32 v25, v3, v30
	v_add_nc_u32_e32 v3, v21, v2
                                        ; implicit-def: $vgpr21
	v_and_b32_e32 v2, 0x1fffff, v25
	v_xor_b32_e32 v25, 1, v40
	v_add_nc_u32_e32 v2, v2, v30
	v_cmpx_ne_u32_e64 v3, v25
	s_xor_b32 s13, exec_lo, s13
; %bb.1853:                             ;   in Loop: Header=BB6_130 Depth=2
	v_cmp_lt_u32_e32 vcc_lo, 0xffffff, v2
	v_sub_nc_u32_e32 v3, v3, v25
	v_cndmask_b32_e64 v25, 0, 1, vcc_lo
	v_add_co_ci_u32_e64 v21, null, 0, v3, vcc_lo
	v_lshrrev_b32_e32 v2, v25, v2
; %bb.1854:                             ;   in Loop: Header=BB6_130 Depth=2
	s_andn2_saveexec_b32 s13, s13
; %bb.1855:                             ;   in Loop: Header=BB6_130 Depth=2
	v_bfe_u32 v21, v2, 23, 1
; %bb.1856:                             ;   in Loop: Header=BB6_130 Depth=2
	s_or_b32 exec_lo, exec_lo, s13
	v_lshrrev_b32_e32 v2, 21, v2
	v_min_i32_e32 v3, 31, v21
	v_cmp_gt_i32_e32 vcc_lo, 32, v21
	v_and_b32_sdwa v25, v119, v58 dst_sel:DWORD dst_unused:UNUSED_PAD src0_sel:BYTE_3 src1_sel:DWORD
	v_lshlrev_b32_e32 v3, 2, v3
	v_cndmask_b32_e32 v2, 3, v2, vcc_lo
	v_and_b32_e32 v3, 0xfc, v3
	v_and_b32_e32 v30, 3, v2
	v_or_b32_e32 v2, v21, v2
	v_or3_b32 v3, v25, v3, v30
	v_cmp_ne_u32_e32 vcc_lo, 0, v2
	v_lshlrev_b32_e32 v3, 8, v3
	v_cndmask_b32_e32 v21, 0, v3, vcc_lo
.LBB6_1857:                             ;   in Loop: Header=BB6_130 Depth=2
	s_or_b32 exec_lo, exec_lo, s40
.LBB6_1858:                             ;   in Loop: Header=BB6_130 Depth=2
	s_or_b32 exec_lo, exec_lo, s29
	v_cmp_gt_i16_sdwa s29, v14, v57 src0_sel:BYTE_0 src1_sel:DWORD
	s_andn2_b32 vcc_lo, exec_lo, s28
	s_mov_b32 s13, -1
                                        ; implicit-def: $vgpr119
	s_cbranch_vccnz .LBB6_1872
; %bb.1859:                             ;   in Loop: Header=BB6_130 Depth=2
	s_mov_b32 s13, 0
	s_and_saveexec_b32 s40, s29
	s_xor_b32 s29, exec_lo, s40
	s_cbranch_execz .LBB6_2816
; %bb.1860:                             ;   in Loop: Header=BB6_130 Depth=2
	v_cmp_eq_u16_sdwa s41, v14, v58 src0_sel:BYTE_0 src1_sel:DWORD
	s_mov_b32 s13, -1
	s_and_saveexec_b32 s40, s41
; %bb.1861:                             ;   in Loop: Header=BB6_130 Depth=2
	s_xor_b32 s13, exec_lo, -1
; %bb.1862:                             ;   in Loop: Header=BB6_130 Depth=2
	s_or_b32 exec_lo, exec_lo, s40
	s_and_b32 s13, s13, exec_lo
	s_or_saveexec_b32 s29, s29
	v_mov_b32_e32 v25, 0x7f800001
	s_xor_b32 exec_lo, exec_lo, s29
	s_cbranch_execnz .LBB6_2817
.LBB6_1863:                             ;   in Loop: Header=BB6_130 Depth=2
	s_or_b32 exec_lo, exec_lo, s29
	s_and_saveexec_b32 s29, s13
	s_cbranch_execz .LBB6_1865
.LBB6_1864:                             ;   in Loop: Header=BB6_130 Depth=2
	v_and_b32_e32 v2, 3, v14
	v_bfe_u32 v30, v14, 2, 5
	v_lshlrev_b32_e32 v119, 24, v14
	v_ffbh_u32_e32 v3, v2
	v_cmp_eq_u32_e32 vcc_lo, 0, v30
	v_min_u32_e32 v3, 32, v3
	v_subrev_nc_u32_e32 v25, 29, v3
	v_sub_nc_u32_e32 v3, 30, v3
	v_lshlrev_b32_e32 v25, v25, v14
	v_cndmask_b32_e32 v3, v30, v3, vcc_lo
	v_and_b32_e32 v25, 3, v25
	v_lshl_add_u32 v3, v3, 23, 0x37800000
	v_cndmask_b32_e32 v2, v2, v25, vcc_lo
	v_and_b32_e32 v25, 0x80000000, v119
	v_lshlrev_b32_e32 v2, 21, v2
	v_or3_b32 v25, v25, v3, v2
.LBB6_1865:                             ;   in Loop: Header=BB6_130 Depth=2
	s_or_b32 exec_lo, exec_lo, s29
	s_waitcnt vmcnt(0)
	v_cmp_gt_i16_sdwa s29, v10, v57 src0_sel:BYTE_0 src1_sel:DWORD
	s_mov_b32 s13, 0
	s_and_saveexec_b32 s40, s29
	s_xor_b32 s29, exec_lo, s40
	s_cbranch_execz .LBB6_2818
; %bb.1866:                             ;   in Loop: Header=BB6_130 Depth=2
	v_cmp_eq_u16_sdwa s41, v10, v58 src0_sel:BYTE_0 src1_sel:DWORD
	s_mov_b32 s13, -1
	s_and_saveexec_b32 s40, s41
; %bb.1867:                             ;   in Loop: Header=BB6_130 Depth=2
	s_xor_b32 s13, exec_lo, -1
; %bb.1868:                             ;   in Loop: Header=BB6_130 Depth=2
	s_or_b32 exec_lo, exec_lo, s40
	s_and_b32 s13, s13, exec_lo
	s_or_saveexec_b32 s29, s29
	v_mov_b32_e32 v2, 0x7f800001
	s_xor_b32 exec_lo, exec_lo, s29
	s_cbranch_execnz .LBB6_2819
.LBB6_1869:                             ;   in Loop: Header=BB6_130 Depth=2
	s_or_b32 exec_lo, exec_lo, s29
	s_and_saveexec_b32 s29, s13
	s_cbranch_execz .LBB6_1871
.LBB6_1870:                             ;   in Loop: Header=BB6_130 Depth=2
	v_and_b32_e32 v2, 3, v10
	v_bfe_u32 v119, v10, 2, 5
	v_lshlrev_b32_e32 v40, 24, v10
	v_ffbh_u32_e32 v3, v2
	v_cmp_eq_u32_e32 vcc_lo, 0, v119
	v_min_u32_e32 v3, 32, v3
	v_subrev_nc_u32_e32 v30, 29, v3
	v_sub_nc_u32_e32 v3, 30, v3
	v_lshlrev_b32_e32 v30, v30, v10
	v_cndmask_b32_e32 v3, v119, v3, vcc_lo
	v_and_b32_e32 v30, 3, v30
	v_lshl_add_u32 v3, v3, 23, 0x37800000
	v_cndmask_b32_e32 v2, v2, v30, vcc_lo
	v_and_b32_e32 v30, 0x80000000, v40
	v_lshlrev_b32_e32 v2, 21, v2
	v_or3_b32 v2, v30, v3, v2
.LBB6_1871:                             ;   in Loop: Header=BB6_130 Depth=2
	s_or_b32 exec_lo, exec_lo, s29
	v_max_f32_e32 v2, v2, v2
	v_max_f32_e32 v3, v25, v25
	s_mov_b32 s13, 0
	v_max_f32_e32 v119, v3, v2
.LBB6_1872:                             ;   in Loop: Header=BB6_130 Depth=2
	s_and_b32 vcc_lo, exec_lo, s13
	s_cbranch_vccz .LBB6_1886
; %bb.1873:                             ;   in Loop: Header=BB6_130 Depth=2
	v_cmp_gt_i16_sdwa s29, v14, v57 src0_sel:BYTE_0 src1_sel:DWORD
	s_mov_b32 s13, 0
	s_and_saveexec_b32 s40, s29
	s_xor_b32 s29, exec_lo, s40
	s_cbranch_execz .LBB6_2820
; %bb.1874:                             ;   in Loop: Header=BB6_130 Depth=2
	v_cmp_eq_u16_sdwa s41, v14, v58 src0_sel:BYTE_0 src1_sel:DWORD
	s_mov_b32 s13, -1
	s_and_saveexec_b32 s40, s41
; %bb.1875:                             ;   in Loop: Header=BB6_130 Depth=2
	s_xor_b32 s13, exec_lo, -1
; %bb.1876:                             ;   in Loop: Header=BB6_130 Depth=2
	s_or_b32 exec_lo, exec_lo, s40
	s_and_b32 s13, s13, exec_lo
	s_or_saveexec_b32 s29, s29
	v_mov_b32_e32 v25, 0x7f800001
	s_xor_b32 exec_lo, exec_lo, s29
	s_cbranch_execnz .LBB6_2821
.LBB6_1877:                             ;   in Loop: Header=BB6_130 Depth=2
	s_or_b32 exec_lo, exec_lo, s29
	s_and_saveexec_b32 s29, s13
	s_cbranch_execz .LBB6_1879
.LBB6_1878:                             ;   in Loop: Header=BB6_130 Depth=2
	v_and_b32_e32 v2, 3, v14
	v_bfe_u32 v30, v14, 2, 5
	v_lshlrev_b32_e32 v119, 24, v14
	v_ffbh_u32_e32 v3, v2
	v_cmp_eq_u32_e32 vcc_lo, 0, v30
	v_min_u32_e32 v3, 32, v3
	v_subrev_nc_u32_e32 v25, 29, v3
	v_sub_nc_u32_e32 v3, 30, v3
	v_lshlrev_b32_e32 v25, v25, v14
	v_cndmask_b32_e32 v3, v30, v3, vcc_lo
	v_and_b32_e32 v25, 3, v25
	v_lshl_add_u32 v3, v3, 23, 0x37800000
	v_cndmask_b32_e32 v2, v2, v25, vcc_lo
	v_and_b32_e32 v25, 0x80000000, v119
	v_lshlrev_b32_e32 v2, 21, v2
	v_or3_b32 v25, v25, v3, v2
.LBB6_1879:                             ;   in Loop: Header=BB6_130 Depth=2
	s_or_b32 exec_lo, exec_lo, s29
	s_waitcnt vmcnt(0)
	v_cmp_gt_i16_sdwa s29, v10, v57 src0_sel:BYTE_0 src1_sel:DWORD
	s_mov_b32 s13, 0
	s_and_saveexec_b32 s40, s29
	s_xor_b32 s29, exec_lo, s40
	s_cbranch_execz .LBB6_2822
; %bb.1880:                             ;   in Loop: Header=BB6_130 Depth=2
	v_cmp_eq_u16_sdwa s41, v10, v58 src0_sel:BYTE_0 src1_sel:DWORD
	s_mov_b32 s13, -1
	s_and_saveexec_b32 s40, s41
; %bb.1881:                             ;   in Loop: Header=BB6_130 Depth=2
	s_xor_b32 s13, exec_lo, -1
; %bb.1882:                             ;   in Loop: Header=BB6_130 Depth=2
	s_or_b32 exec_lo, exec_lo, s40
	s_and_b32 s13, s13, exec_lo
	s_or_saveexec_b32 s29, s29
	v_mov_b32_e32 v2, 0x7f800001
	s_xor_b32 exec_lo, exec_lo, s29
	s_cbranch_execnz .LBB6_2823
.LBB6_1883:                             ;   in Loop: Header=BB6_130 Depth=2
	s_or_b32 exec_lo, exec_lo, s29
	s_and_saveexec_b32 s29, s13
	s_cbranch_execz .LBB6_1885
.LBB6_1884:                             ;   in Loop: Header=BB6_130 Depth=2
	v_and_b32_e32 v2, 3, v10
	v_bfe_u32 v119, v10, 2, 5
	v_lshlrev_b32_e32 v40, 24, v10
	v_ffbh_u32_e32 v3, v2
	v_cmp_eq_u32_e32 vcc_lo, 0, v119
	v_min_u32_e32 v3, 32, v3
	v_subrev_nc_u32_e32 v30, 29, v3
	v_sub_nc_u32_e32 v3, 30, v3
	v_lshlrev_b32_e32 v30, v30, v10
	v_cndmask_b32_e32 v3, v119, v3, vcc_lo
	v_and_b32_e32 v30, 3, v30
	v_lshl_add_u32 v3, v3, 23, 0x37800000
	v_cndmask_b32_e32 v2, v2, v30, vcc_lo
	v_and_b32_e32 v30, 0x80000000, v40
	v_lshlrev_b32_e32 v2, 21, v2
	v_or3_b32 v2, v30, v3, v2
.LBB6_1885:                             ;   in Loop: Header=BB6_130 Depth=2
	s_or_b32 exec_lo, exec_lo, s29
	v_max_f32_e32 v2, v2, v2
	v_max_f32_e32 v3, v25, v25
	v_min_f32_e32 v119, v3, v2
.LBB6_1886:                             ;   in Loop: Header=BB6_130 Depth=2
	v_and_b32_e32 v2, 0x7f800000, v119
	v_mov_b32_e32 v25, 0x80
	s_mov_b32 s29, exec_lo
	v_cmpx_ne_u32_e32 0x7f800000, v2
	s_cbranch_execz .LBB6_1894
; %bb.1887:                             ;   in Loop: Header=BB6_130 Depth=2
	v_mov_b32_e32 v25, 0
	s_mov_b32 s40, exec_lo
	v_cmpx_ne_u32_e32 0, v119
	s_cbranch_execz .LBB6_1893
; %bb.1888:                             ;   in Loop: Header=BB6_130 Depth=2
	v_bfe_u32 v3, v119, 23, 8
	v_and_b32_e32 v2, 0x7fffff, v119
	v_cmp_gt_u32_e64 s13, 0x71, v3
	v_sub_nc_u32_e32 v25, 0x70, v3
	v_cmp_eq_u32_e32 vcc_lo, 0, v3
	v_or_b32_e32 v30, 0x800000, v2
	v_add_nc_u32_e32 v3, 0xffffff91, v3
	v_cndmask_b32_e64 v25, 0, v25, s13
	v_cndmask_b32_e32 v2, v30, v2, vcc_lo
	v_cndmask_b32_e64 v3, v3, 0xffffff92, vcc_lo
	v_cndmask_b32_e64 v25, v25, 0x6f, vcc_lo
	v_lshl_add_u32 v30, 0x200000, v25, -1
	v_lshlrev_b32_e64 v40, v25, 0x100000
	v_and_b32_e32 v30, v30, v2
	v_lshrrev_b32_e32 v2, v25, v2
	v_add_nc_u32_e32 v25, v25, v3
	v_cmp_eq_u32_e64 s13, v30, v40
	v_lshrrev_b32_e32 v3, 23, v2
                                        ; implicit-def: $vgpr30
	v_xor_b32_e32 v40, 1, v3
	v_bfe_u32 v3, v2, 21, 1
	v_add_nc_u32_e32 v3, -1, v3
	v_cndmask_b32_e64 v3, 0, v3, s13
	s_mov_b32 s13, exec_lo
	v_add_nc_u32_e32 v3, v3, v2
	v_and_b32_e32 v3, 0x1fffff, v3
	v_add_nc_u32_e32 v2, v3, v2
	v_cmpx_ne_u32_e64 v25, v40
	s_xor_b32 s13, exec_lo, s13
; %bb.1889:                             ;   in Loop: Header=BB6_130 Depth=2
	v_cmp_lt_u32_e32 vcc_lo, 0xffffff, v2
	v_sub_nc_u32_e32 v3, v25, v40
	v_cndmask_b32_e64 v25, 0, 1, vcc_lo
	v_add_co_ci_u32_e64 v30, null, 0, v3, vcc_lo
	v_lshrrev_b32_e32 v2, v25, v2
; %bb.1890:                             ;   in Loop: Header=BB6_130 Depth=2
	s_andn2_saveexec_b32 s13, s13
; %bb.1891:                             ;   in Loop: Header=BB6_130 Depth=2
	v_bfe_u32 v30, v2, 23, 1
; %bb.1892:                             ;   in Loop: Header=BB6_130 Depth=2
	s_or_b32 exec_lo, exec_lo, s13
	v_lshrrev_b32_e32 v2, 21, v2
	v_min_i32_e32 v3, 31, v30
	v_cmp_gt_i32_e32 vcc_lo, 32, v30
	v_and_b32_sdwa v25, v119, v58 dst_sel:DWORD dst_unused:UNUSED_PAD src0_sel:BYTE_3 src1_sel:DWORD
	v_lshlrev_b32_e32 v3, 2, v3
	v_cndmask_b32_e32 v2, 3, v2, vcc_lo
	v_and_b32_e32 v3, 0xfc, v3
	v_and_b32_e32 v119, 3, v2
	v_or_b32_e32 v2, v30, v2
	v_or3_b32 v3, v3, v25, v119
	v_cmp_ne_u32_e32 vcc_lo, 0, v2
	v_cndmask_b32_e32 v25, 0, v3, vcc_lo
.LBB6_1893:                             ;   in Loop: Header=BB6_130 Depth=2
	s_or_b32 exec_lo, exec_lo, s40
.LBB6_1894:                             ;   in Loop: Header=BB6_130 Depth=2
	s_or_b32 exec_lo, exec_lo, s29
	v_cmp_gt_i16_sdwa s29, v14, v57 src0_sel:BYTE_1 src1_sel:DWORD
	s_andn2_b32 vcc_lo, exec_lo, s28
	s_mov_b32 s13, -1
                                        ; implicit-def: $vgpr119
	s_cbranch_vccnz .LBB6_1908
; %bb.1895:                             ;   in Loop: Header=BB6_130 Depth=2
	s_mov_b32 s13, 0
	s_and_saveexec_b32 s40, s29
	s_xor_b32 s29, exec_lo, s40
	s_cbranch_execz .LBB6_2824
; %bb.1896:                             ;   in Loop: Header=BB6_130 Depth=2
	v_cmp_eq_u16_sdwa s41, v14, v58 src0_sel:BYTE_1 src1_sel:DWORD
	s_mov_b32 s13, -1
	s_and_saveexec_b32 s40, s41
; %bb.1897:                             ;   in Loop: Header=BB6_130 Depth=2
	s_xor_b32 s13, exec_lo, -1
; %bb.1898:                             ;   in Loop: Header=BB6_130 Depth=2
	s_or_b32 exec_lo, exec_lo, s40
	s_and_b32 s13, s13, exec_lo
	s_or_saveexec_b32 s29, s29
	v_mov_b32_e32 v119, 0x7f800001
	s_xor_b32 exec_lo, exec_lo, s29
	s_cbranch_execnz .LBB6_2825
.LBB6_1899:                             ;   in Loop: Header=BB6_130 Depth=2
	s_or_b32 exec_lo, exec_lo, s29
	s_and_saveexec_b32 s29, s13
	s_cbranch_execz .LBB6_1901
.LBB6_1900:                             ;   in Loop: Header=BB6_130 Depth=2
	v_and_b32_sdwa v2, v59, v14 dst_sel:DWORD dst_unused:UNUSED_PAD src0_sel:DWORD src1_sel:BYTE_1
	v_and_b32_e32 v3, 3, v2
	v_bfe_u32 v40, v2, 2, 5
	v_ffbh_u32_e32 v30, v3
	v_cmp_eq_u32_e32 vcc_lo, 0, v40
	v_min_u32_e32 v30, 32, v30
	v_subrev_nc_u32_e32 v119, 29, v30
	v_sub_nc_u32_e32 v30, 30, v30
	v_lshlrev_b32_e32 v2, v119, v2
	v_lshlrev_b32_e32 v119, 16, v14
	v_cndmask_b32_e32 v30, v40, v30, vcc_lo
	v_and_b32_e32 v2, 3, v2
	v_lshl_add_u32 v30, v30, 23, 0x37800000
	v_cndmask_b32_e32 v2, v3, v2, vcc_lo
	v_and_b32_e32 v3, 0x80000000, v119
	v_lshlrev_b32_e32 v2, 21, v2
	v_or3_b32 v119, v3, v30, v2
.LBB6_1901:                             ;   in Loop: Header=BB6_130 Depth=2
	s_or_b32 exec_lo, exec_lo, s29
	s_waitcnt vmcnt(0)
	v_cmp_gt_i16_sdwa s29, v10, v57 src0_sel:BYTE_1 src1_sel:DWORD
	s_mov_b32 s13, 0
	s_and_saveexec_b32 s40, s29
	s_xor_b32 s29, exec_lo, s40
	s_cbranch_execz .LBB6_2826
; %bb.1902:                             ;   in Loop: Header=BB6_130 Depth=2
	v_cmp_eq_u16_sdwa s41, v10, v58 src0_sel:BYTE_1 src1_sel:DWORD
	s_mov_b32 s13, -1
	s_and_saveexec_b32 s40, s41
; %bb.1903:                             ;   in Loop: Header=BB6_130 Depth=2
	s_xor_b32 s13, exec_lo, -1
; %bb.1904:                             ;   in Loop: Header=BB6_130 Depth=2
	s_or_b32 exec_lo, exec_lo, s40
	s_and_b32 s13, s13, exec_lo
	s_or_saveexec_b32 s29, s29
	v_mov_b32_e32 v2, 0x7f800001
	s_xor_b32 exec_lo, exec_lo, s29
	s_cbranch_execnz .LBB6_2827
.LBB6_1905:                             ;   in Loop: Header=BB6_130 Depth=2
	s_or_b32 exec_lo, exec_lo, s29
	s_and_saveexec_b32 s29, s13
	s_cbranch_execz .LBB6_1907
.LBB6_1906:                             ;   in Loop: Header=BB6_130 Depth=2
	v_and_b32_sdwa v2, v59, v10 dst_sel:DWORD dst_unused:UNUSED_PAD src0_sel:DWORD src1_sel:BYTE_1
	v_and_b32_e32 v3, 3, v2
	v_bfe_u32 v42, v2, 2, 5
	v_ffbh_u32_e32 v30, v3
	v_cmp_eq_u32_e32 vcc_lo, 0, v42
	v_min_u32_e32 v30, 32, v30
	v_subrev_nc_u32_e32 v40, 29, v30
	v_sub_nc_u32_e32 v30, 30, v30
	v_lshlrev_b32_e32 v2, v40, v2
	v_lshlrev_b32_e32 v40, 16, v10
	v_cndmask_b32_e32 v30, v42, v30, vcc_lo
	v_and_b32_e32 v2, 3, v2
	v_lshl_add_u32 v30, v30, 23, 0x37800000
	v_cndmask_b32_e32 v2, v3, v2, vcc_lo
	v_and_b32_e32 v3, 0x80000000, v40
	v_lshlrev_b32_e32 v2, 21, v2
	v_or3_b32 v2, v3, v30, v2
.LBB6_1907:                             ;   in Loop: Header=BB6_130 Depth=2
	s_or_b32 exec_lo, exec_lo, s29
	v_max_f32_e32 v2, v2, v2
	v_max_f32_e32 v3, v119, v119
	s_mov_b32 s13, 0
	v_max_f32_e32 v119, v3, v2
.LBB6_1908:                             ;   in Loop: Header=BB6_130 Depth=2
	s_and_b32 vcc_lo, exec_lo, s13
	s_cbranch_vccz .LBB6_1922
; %bb.1909:                             ;   in Loop: Header=BB6_130 Depth=2
	v_cmp_gt_i16_sdwa s29, v14, v57 src0_sel:BYTE_1 src1_sel:DWORD
	s_mov_b32 s13, 0
	s_and_saveexec_b32 s40, s29
	s_xor_b32 s29, exec_lo, s40
	s_cbranch_execz .LBB6_2828
; %bb.1910:                             ;   in Loop: Header=BB6_130 Depth=2
	v_cmp_eq_u16_sdwa s41, v14, v58 src0_sel:BYTE_1 src1_sel:DWORD
	s_mov_b32 s13, -1
	s_and_saveexec_b32 s40, s41
; %bb.1911:                             ;   in Loop: Header=BB6_130 Depth=2
	s_xor_b32 s13, exec_lo, -1
; %bb.1912:                             ;   in Loop: Header=BB6_130 Depth=2
	s_or_b32 exec_lo, exec_lo, s40
	s_and_b32 s13, s13, exec_lo
	s_or_saveexec_b32 s29, s29
	v_mov_b32_e32 v119, 0x7f800001
	s_xor_b32 exec_lo, exec_lo, s29
	s_cbranch_execnz .LBB6_2829
.LBB6_1913:                             ;   in Loop: Header=BB6_130 Depth=2
	s_or_b32 exec_lo, exec_lo, s29
	s_and_saveexec_b32 s29, s13
	s_cbranch_execz .LBB6_1915
.LBB6_1914:                             ;   in Loop: Header=BB6_130 Depth=2
	v_and_b32_sdwa v2, v59, v14 dst_sel:DWORD dst_unused:UNUSED_PAD src0_sel:DWORD src1_sel:BYTE_1
	v_and_b32_e32 v3, 3, v2
	v_bfe_u32 v40, v2, 2, 5
	v_ffbh_u32_e32 v30, v3
	v_cmp_eq_u32_e32 vcc_lo, 0, v40
	v_min_u32_e32 v30, 32, v30
	v_subrev_nc_u32_e32 v119, 29, v30
	v_sub_nc_u32_e32 v30, 30, v30
	v_lshlrev_b32_e32 v2, v119, v2
	v_lshlrev_b32_e32 v119, 16, v14
	v_cndmask_b32_e32 v30, v40, v30, vcc_lo
	v_and_b32_e32 v2, 3, v2
	v_lshl_add_u32 v30, v30, 23, 0x37800000
	v_cndmask_b32_e32 v2, v3, v2, vcc_lo
	v_and_b32_e32 v3, 0x80000000, v119
	v_lshlrev_b32_e32 v2, 21, v2
	v_or3_b32 v119, v3, v30, v2
.LBB6_1915:                             ;   in Loop: Header=BB6_130 Depth=2
	s_or_b32 exec_lo, exec_lo, s29
	s_waitcnt vmcnt(0)
	v_cmp_gt_i16_sdwa s29, v10, v57 src0_sel:BYTE_1 src1_sel:DWORD
	s_mov_b32 s13, 0
	s_and_saveexec_b32 s40, s29
	s_xor_b32 s29, exec_lo, s40
	s_cbranch_execz .LBB6_2830
; %bb.1916:                             ;   in Loop: Header=BB6_130 Depth=2
	v_cmp_eq_u16_sdwa s41, v10, v58 src0_sel:BYTE_1 src1_sel:DWORD
	s_mov_b32 s13, -1
	s_and_saveexec_b32 s40, s41
; %bb.1917:                             ;   in Loop: Header=BB6_130 Depth=2
	s_xor_b32 s13, exec_lo, -1
; %bb.1918:                             ;   in Loop: Header=BB6_130 Depth=2
	s_or_b32 exec_lo, exec_lo, s40
	s_and_b32 s13, s13, exec_lo
	s_or_saveexec_b32 s29, s29
	v_mov_b32_e32 v2, 0x7f800001
	s_xor_b32 exec_lo, exec_lo, s29
	s_cbranch_execnz .LBB6_2831
.LBB6_1919:                             ;   in Loop: Header=BB6_130 Depth=2
	s_or_b32 exec_lo, exec_lo, s29
	s_and_saveexec_b32 s29, s13
	s_cbranch_execz .LBB6_1921
.LBB6_1920:                             ;   in Loop: Header=BB6_130 Depth=2
	v_and_b32_sdwa v2, v59, v10 dst_sel:DWORD dst_unused:UNUSED_PAD src0_sel:DWORD src1_sel:BYTE_1
	v_and_b32_e32 v3, 3, v2
	v_bfe_u32 v42, v2, 2, 5
	v_ffbh_u32_e32 v30, v3
	v_cmp_eq_u32_e32 vcc_lo, 0, v42
	v_min_u32_e32 v30, 32, v30
	v_subrev_nc_u32_e32 v40, 29, v30
	v_sub_nc_u32_e32 v30, 30, v30
	v_lshlrev_b32_e32 v2, v40, v2
	v_lshlrev_b32_e32 v40, 16, v10
	v_cndmask_b32_e32 v30, v42, v30, vcc_lo
	v_and_b32_e32 v2, 3, v2
	v_lshl_add_u32 v30, v30, 23, 0x37800000
	v_cndmask_b32_e32 v2, v3, v2, vcc_lo
	v_and_b32_e32 v3, 0x80000000, v40
	v_lshlrev_b32_e32 v2, 21, v2
	v_or3_b32 v2, v3, v30, v2
.LBB6_1921:                             ;   in Loop: Header=BB6_130 Depth=2
	s_or_b32 exec_lo, exec_lo, s29
	v_max_f32_e32 v2, v2, v2
	v_max_f32_e32 v3, v119, v119
	v_min_f32_e32 v119, v3, v2
.LBB6_1922:                             ;   in Loop: Header=BB6_130 Depth=2
	v_and_b32_e32 v2, 0x7f800000, v119
	v_mov_b32_e32 v120, 0x8000
	s_mov_b32 s29, exec_lo
	v_cmpx_ne_u32_e32 0x7f800000, v2
	s_cbranch_execz .LBB6_1930
; %bb.1923:                             ;   in Loop: Header=BB6_130 Depth=2
	v_mov_b32_e32 v120, 0
	s_mov_b32 s40, exec_lo
	v_cmpx_ne_u32_e32 0, v119
	s_cbranch_execz .LBB6_1929
; %bb.1924:                             ;   in Loop: Header=BB6_130 Depth=2
	v_bfe_u32 v3, v119, 23, 8
	v_and_b32_e32 v2, 0x7fffff, v119
	v_cmp_gt_u32_e64 s13, 0x71, v3
	v_sub_nc_u32_e32 v30, 0x70, v3
	v_cmp_eq_u32_e32 vcc_lo, 0, v3
	v_or_b32_e32 v40, 0x800000, v2
	v_add_nc_u32_e32 v3, 0xffffff91, v3
	v_cndmask_b32_e64 v30, 0, v30, s13
	v_cndmask_b32_e32 v2, v40, v2, vcc_lo
	v_cndmask_b32_e64 v3, v3, 0xffffff92, vcc_lo
	v_cndmask_b32_e64 v30, v30, 0x6f, vcc_lo
	v_lshl_add_u32 v40, 0x200000, v30, -1
	v_lshlrev_b32_e64 v42, v30, 0x100000
	v_and_b32_e32 v40, v40, v2
	v_lshrrev_b32_e32 v2, v30, v2
	v_cmp_eq_u32_e64 s13, v40, v42
	v_add_nc_u32_e32 v40, v30, v3
	v_lshrrev_b32_e32 v3, 23, v2
                                        ; implicit-def: $vgpr30
	v_xor_b32_e32 v120, 1, v3
	v_bfe_u32 v3, v2, 21, 1
	v_add_nc_u32_e32 v3, -1, v3
	v_cndmask_b32_e64 v3, 0, v3, s13
	s_mov_b32 s13, exec_lo
	v_add_nc_u32_e32 v3, v3, v2
	v_and_b32_e32 v3, 0x1fffff, v3
	v_add_nc_u32_e32 v2, v3, v2
	v_cmpx_ne_u32_e64 v40, v120
	s_xor_b32 s13, exec_lo, s13
; %bb.1925:                             ;   in Loop: Header=BB6_130 Depth=2
	v_cmp_lt_u32_e32 vcc_lo, 0xffffff, v2
	v_sub_nc_u32_e32 v3, v40, v120
	v_cndmask_b32_e64 v40, 0, 1, vcc_lo
	v_add_co_ci_u32_e64 v30, null, 0, v3, vcc_lo
	v_lshrrev_b32_e32 v2, v40, v2
; %bb.1926:                             ;   in Loop: Header=BB6_130 Depth=2
	s_andn2_saveexec_b32 s13, s13
; %bb.1927:                             ;   in Loop: Header=BB6_130 Depth=2
	v_bfe_u32 v30, v2, 23, 1
; %bb.1928:                             ;   in Loop: Header=BB6_130 Depth=2
	s_or_b32 exec_lo, exec_lo, s13
	v_lshrrev_b32_e32 v2, 21, v2
	v_min_i32_e32 v3, 31, v30
	v_cmp_gt_i32_e32 vcc_lo, 32, v30
	v_and_b32_sdwa v119, v119, v58 dst_sel:DWORD dst_unused:UNUSED_PAD src0_sel:BYTE_3 src1_sel:DWORD
	v_lshlrev_b32_e32 v3, 2, v3
	v_cndmask_b32_e32 v2, 3, v2, vcc_lo
	v_and_b32_e32 v3, 0xfc, v3
	v_and_b32_e32 v40, 3, v2
	v_or_b32_e32 v2, v30, v2
	v_or3_b32 v3, v119, v3, v40
	v_cmp_ne_u32_e32 vcc_lo, 0, v2
	v_lshlrev_b32_e32 v3, 8, v3
	v_cndmask_b32_e32 v120, 0, v3, vcc_lo
.LBB6_1929:                             ;   in Loop: Header=BB6_130 Depth=2
	s_or_b32 exec_lo, exec_lo, s40
.LBB6_1930:                             ;   in Loop: Header=BB6_130 Depth=2
	s_or_b32 exec_lo, exec_lo, s29
	v_and_b32_sdwa v119, v14, v60 dst_sel:DWORD dst_unused:UNUSED_PAD src0_sel:WORD_1 src1_sel:DWORD
	s_andn2_b32 vcc_lo, exec_lo, s28
	s_mov_b32 s29, -1
                                        ; implicit-def: $vgpr122
	v_cmp_lt_i16_e64 s13, 0x7f, v119
	s_cbranch_vccnz .LBB6_1944
; %bb.1931:                             ;   in Loop: Header=BB6_130 Depth=2
	s_mov_b32 s29, 0
	s_and_saveexec_b32 s40, s13
	s_xor_b32 s13, exec_lo, s40
	s_cbranch_execz .LBB6_2832
; %bb.1932:                             ;   in Loop: Header=BB6_130 Depth=2
	s_mov_b32 s29, -1
	s_mov_b32 s40, exec_lo
	v_cmpx_eq_u16_e32 0x80, v119
; %bb.1933:                             ;   in Loop: Header=BB6_130 Depth=2
	s_xor_b32 s29, exec_lo, -1
; %bb.1934:                             ;   in Loop: Header=BB6_130 Depth=2
	s_or_b32 exec_lo, exec_lo, s40
	s_and_b32 s29, s29, exec_lo
	s_or_saveexec_b32 s13, s13
	v_mov_b32_e32 v40, 0x7f800001
	s_xor_b32 exec_lo, exec_lo, s13
	s_cbranch_execnz .LBB6_2833
.LBB6_1935:                             ;   in Loop: Header=BB6_130 Depth=2
	s_or_b32 exec_lo, exec_lo, s13
	s_and_saveexec_b32 s13, s29
	s_cbranch_execz .LBB6_1937
.LBB6_1936:                             ;   in Loop: Header=BB6_130 Depth=2
	v_bfe_u32 v2, v14, 16, 2
	v_bfe_u32 v3, v14, 18, 5
	v_ffbh_u32_e32 v30, v2
	v_cmp_eq_u32_e32 vcc_lo, 0, v3
	v_min_u32_e32 v30, 32, v30
	v_subrev_nc_u32_e32 v40, 29, v30
	v_sub_nc_u32_e32 v30, 30, v30
	v_lshlrev_b32_sdwa v40, v40, v14 dst_sel:DWORD dst_unused:UNUSED_PAD src0_sel:DWORD src1_sel:WORD_1
	v_cndmask_b32_e32 v3, v3, v30, vcc_lo
	v_lshlrev_b32_sdwa v30, v61, v14 dst_sel:DWORD dst_unused:UNUSED_PAD src0_sel:DWORD src1_sel:WORD_1
	v_and_b32_e32 v40, 3, v40
	v_lshl_add_u32 v3, v3, 23, 0x37800000
	v_and_b32_e32 v30, 0x80000000, v30
	v_cndmask_b32_e32 v2, v2, v40, vcc_lo
	v_lshlrev_b32_e32 v2, 21, v2
	v_or3_b32 v40, v30, v3, v2
.LBB6_1937:                             ;   in Loop: Header=BB6_130 Depth=2
	s_or_b32 exec_lo, exec_lo, s13
	s_waitcnt vmcnt(0)
	v_and_b32_sdwa v3, v10, v60 dst_sel:DWORD dst_unused:UNUSED_PAD src0_sel:WORD_1 src1_sel:DWORD
	s_mov_b32 s29, 0
	s_mov_b32 s13, exec_lo
	v_cmpx_lt_i16_e32 0x7f, v3
	s_xor_b32 s13, exec_lo, s13
	s_cbranch_execz .LBB6_2834
; %bb.1938:                             ;   in Loop: Header=BB6_130 Depth=2
	s_mov_b32 s29, -1
	s_mov_b32 s40, exec_lo
	v_cmpx_eq_u16_e32 0x80, v3
; %bb.1939:                             ;   in Loop: Header=BB6_130 Depth=2
	s_xor_b32 s29, exec_lo, -1
; %bb.1940:                             ;   in Loop: Header=BB6_130 Depth=2
	s_or_b32 exec_lo, exec_lo, s40
	s_and_b32 s29, s29, exec_lo
                                        ; implicit-def: $vgpr3
	s_or_saveexec_b32 s13, s13
	v_mov_b32_e32 v2, 0x7f800001
	s_xor_b32 exec_lo, exec_lo, s13
	s_cbranch_execnz .LBB6_2835
.LBB6_1941:                             ;   in Loop: Header=BB6_130 Depth=2
	s_or_b32 exec_lo, exec_lo, s13
	s_and_saveexec_b32 s13, s29
	s_cbranch_execz .LBB6_1943
.LBB6_1942:                             ;   in Loop: Header=BB6_130 Depth=2
	v_bfe_u32 v2, v10, 16, 2
	v_bfe_u32 v3, v10, 18, 5
	v_ffbh_u32_e32 v30, v2
	v_cmp_eq_u32_e32 vcc_lo, 0, v3
	v_min_u32_e32 v30, 32, v30
	v_subrev_nc_u32_e32 v42, 29, v30
	v_sub_nc_u32_e32 v30, 30, v30
	v_lshlrev_b32_sdwa v42, v42, v10 dst_sel:DWORD dst_unused:UNUSED_PAD src0_sel:DWORD src1_sel:WORD_1
	v_cndmask_b32_e32 v3, v3, v30, vcc_lo
	v_lshlrev_b32_sdwa v30, v61, v10 dst_sel:DWORD dst_unused:UNUSED_PAD src0_sel:DWORD src1_sel:WORD_1
	v_and_b32_e32 v42, 3, v42
	v_lshl_add_u32 v3, v3, 23, 0x37800000
	v_and_b32_e32 v30, 0x80000000, v30
	v_cndmask_b32_e32 v2, v2, v42, vcc_lo
	v_lshlrev_b32_e32 v2, 21, v2
	v_or3_b32 v2, v30, v3, v2
.LBB6_1943:                             ;   in Loop: Header=BB6_130 Depth=2
	s_or_b32 exec_lo, exec_lo, s13
	v_max_f32_e32 v2, v2, v2
	v_max_f32_e32 v3, v40, v40
	s_mov_b32 s29, 0
	v_max_f32_e32 v122, v3, v2
.LBB6_1944:                             ;   in Loop: Header=BB6_130 Depth=2
	s_and_b32 vcc_lo, exec_lo, s29
	s_cbranch_vccz .LBB6_1958
; %bb.1945:                             ;   in Loop: Header=BB6_130 Depth=2
	s_mov_b32 s13, 0
	s_mov_b32 s29, exec_lo
	v_cmpx_lt_i16_e32 0x7f, v119
	s_xor_b32 s29, exec_lo, s29
	s_cbranch_execz .LBB6_2836
; %bb.1946:                             ;   in Loop: Header=BB6_130 Depth=2
	s_mov_b32 s13, -1
	s_mov_b32 s40, exec_lo
	v_cmpx_eq_u16_e32 0x80, v119
; %bb.1947:                             ;   in Loop: Header=BB6_130 Depth=2
	s_xor_b32 s13, exec_lo, -1
; %bb.1948:                             ;   in Loop: Header=BB6_130 Depth=2
	s_or_b32 exec_lo, exec_lo, s40
	s_and_b32 s13, s13, exec_lo
                                        ; implicit-def: $vgpr119
	s_or_saveexec_b32 s29, s29
	v_mov_b32_e32 v40, 0x7f800001
	s_xor_b32 exec_lo, exec_lo, s29
	s_cbranch_execnz .LBB6_2837
.LBB6_1949:                             ;   in Loop: Header=BB6_130 Depth=2
	s_or_b32 exec_lo, exec_lo, s29
	s_and_saveexec_b32 s29, s13
	s_cbranch_execz .LBB6_1951
.LBB6_1950:                             ;   in Loop: Header=BB6_130 Depth=2
	v_bfe_u32 v2, v14, 16, 2
	v_bfe_u32 v119, v14, 18, 5
	v_lshlrev_b32_sdwa v40, v61, v14 dst_sel:DWORD dst_unused:UNUSED_PAD src0_sel:DWORD src1_sel:WORD_1
	v_ffbh_u32_e32 v3, v2
	v_cmp_eq_u32_e32 vcc_lo, 0, v119
	v_min_u32_e32 v3, 32, v3
	v_subrev_nc_u32_e32 v30, 29, v3
	v_sub_nc_u32_e32 v3, 30, v3
	v_lshlrev_b32_sdwa v30, v30, v14 dst_sel:DWORD dst_unused:UNUSED_PAD src0_sel:DWORD src1_sel:WORD_1
	v_cndmask_b32_e32 v3, v119, v3, vcc_lo
	v_and_b32_e32 v30, 3, v30
	v_lshl_add_u32 v3, v3, 23, 0x37800000
	v_cndmask_b32_e32 v2, v2, v30, vcc_lo
	v_and_b32_e32 v30, 0x80000000, v40
	v_lshlrev_b32_e32 v2, 21, v2
	v_or3_b32 v40, v30, v3, v2
.LBB6_1951:                             ;   in Loop: Header=BB6_130 Depth=2
	s_or_b32 exec_lo, exec_lo, s29
	s_waitcnt vmcnt(0)
	v_and_b32_sdwa v3, v10, v60 dst_sel:DWORD dst_unused:UNUSED_PAD src0_sel:WORD_1 src1_sel:DWORD
	s_mov_b32 s29, 0
	s_mov_b32 s13, exec_lo
	v_cmpx_lt_i16_e32 0x7f, v3
	s_xor_b32 s13, exec_lo, s13
	s_cbranch_execz .LBB6_2838
; %bb.1952:                             ;   in Loop: Header=BB6_130 Depth=2
	s_mov_b32 s29, -1
	s_mov_b32 s40, exec_lo
	v_cmpx_eq_u16_e32 0x80, v3
; %bb.1953:                             ;   in Loop: Header=BB6_130 Depth=2
	s_xor_b32 s29, exec_lo, -1
; %bb.1954:                             ;   in Loop: Header=BB6_130 Depth=2
	s_or_b32 exec_lo, exec_lo, s40
	s_and_b32 s29, s29, exec_lo
                                        ; implicit-def: $vgpr3
	s_or_saveexec_b32 s13, s13
	v_mov_b32_e32 v2, 0x7f800001
	s_xor_b32 exec_lo, exec_lo, s13
	s_cbranch_execnz .LBB6_2839
.LBB6_1955:                             ;   in Loop: Header=BB6_130 Depth=2
	s_or_b32 exec_lo, exec_lo, s13
	s_and_saveexec_b32 s13, s29
	s_cbranch_execz .LBB6_1957
.LBB6_1956:                             ;   in Loop: Header=BB6_130 Depth=2
	v_bfe_u32 v2, v10, 16, 2
	v_bfe_u32 v3, v10, 18, 5
	v_ffbh_u32_e32 v30, v2
	v_cmp_eq_u32_e32 vcc_lo, 0, v3
	v_min_u32_e32 v30, 32, v30
	v_subrev_nc_u32_e32 v119, 29, v30
	v_sub_nc_u32_e32 v30, 30, v30
	v_lshlrev_b32_sdwa v119, v119, v10 dst_sel:DWORD dst_unused:UNUSED_PAD src0_sel:DWORD src1_sel:WORD_1
	v_cndmask_b32_e32 v3, v3, v30, vcc_lo
	v_lshlrev_b32_sdwa v30, v61, v10 dst_sel:DWORD dst_unused:UNUSED_PAD src0_sel:DWORD src1_sel:WORD_1
	v_and_b32_e32 v119, 3, v119
	v_lshl_add_u32 v3, v3, 23, 0x37800000
	v_and_b32_e32 v30, 0x80000000, v30
	v_cndmask_b32_e32 v2, v2, v119, vcc_lo
	v_lshlrev_b32_e32 v2, 21, v2
	v_or3_b32 v2, v30, v3, v2
.LBB6_1957:                             ;   in Loop: Header=BB6_130 Depth=2
	s_or_b32 exec_lo, exec_lo, s13
	v_max_f32_e32 v2, v2, v2
	v_max_f32_e32 v3, v40, v40
	v_min_f32_e32 v122, v3, v2
.LBB6_1958:                             ;   in Loop: Header=BB6_130 Depth=2
	v_and_b32_e32 v2, 0x7f800000, v122
	v_mov_b32_e32 v121, 0x80
	s_mov_b32 s29, exec_lo
	v_cmpx_ne_u32_e32 0x7f800000, v2
	s_cbranch_execz .LBB6_1966
; %bb.1959:                             ;   in Loop: Header=BB6_130 Depth=2
	v_mov_b32_e32 v121, 0
	s_mov_b32 s40, exec_lo
	v_cmpx_ne_u32_e32 0, v122
	s_cbranch_execz .LBB6_1965
; %bb.1960:                             ;   in Loop: Header=BB6_130 Depth=2
	v_bfe_u32 v3, v122, 23, 8
	v_and_b32_e32 v2, 0x7fffff, v122
	v_cmp_gt_u32_e64 s13, 0x71, v3
	v_sub_nc_u32_e32 v30, 0x70, v3
	v_cmp_eq_u32_e32 vcc_lo, 0, v3
	v_or_b32_e32 v119, 0x800000, v2
	v_add_nc_u32_e32 v3, 0xffffff91, v3
	v_cndmask_b32_e64 v30, 0, v30, s13
	v_cndmask_b32_e32 v2, v119, v2, vcc_lo
	v_cndmask_b32_e64 v3, v3, 0xffffff92, vcc_lo
	v_cndmask_b32_e64 v30, v30, 0x6f, vcc_lo
	v_lshl_add_u32 v119, 0x200000, v30, -1
	v_lshlrev_b32_e64 v40, v30, 0x100000
	v_and_b32_e32 v119, v119, v2
	v_lshrrev_b32_e32 v2, v30, v2
	v_cmp_eq_u32_e64 s13, v119, v40
	v_add_nc_u32_e32 v119, v30, v3
	v_lshrrev_b32_e32 v3, 23, v2
                                        ; implicit-def: $vgpr30
	v_xor_b32_e32 v40, 1, v3
	v_bfe_u32 v3, v2, 21, 1
	v_add_nc_u32_e32 v3, -1, v3
	v_cndmask_b32_e64 v3, 0, v3, s13
	s_mov_b32 s13, exec_lo
	v_add_nc_u32_e32 v3, v3, v2
	v_and_b32_e32 v3, 0x1fffff, v3
	v_add_nc_u32_e32 v2, v3, v2
	v_cmpx_ne_u32_e64 v119, v40
	s_xor_b32 s13, exec_lo, s13
; %bb.1961:                             ;   in Loop: Header=BB6_130 Depth=2
	v_cmp_lt_u32_e32 vcc_lo, 0xffffff, v2
	v_sub_nc_u32_e32 v3, v119, v40
	v_cndmask_b32_e64 v119, 0, 1, vcc_lo
	v_add_co_ci_u32_e64 v30, null, 0, v3, vcc_lo
	v_lshrrev_b32_e32 v2, v119, v2
; %bb.1962:                             ;   in Loop: Header=BB6_130 Depth=2
	s_andn2_saveexec_b32 s13, s13
; %bb.1963:                             ;   in Loop: Header=BB6_130 Depth=2
	v_bfe_u32 v30, v2, 23, 1
; %bb.1964:                             ;   in Loop: Header=BB6_130 Depth=2
	s_or_b32 exec_lo, exec_lo, s13
	v_lshrrev_b32_e32 v2, 21, v2
	v_min_i32_e32 v3, 31, v30
	v_cmp_gt_i32_e32 vcc_lo, 32, v30
	v_and_b32_sdwa v119, v122, v58 dst_sel:DWORD dst_unused:UNUSED_PAD src0_sel:BYTE_3 src1_sel:DWORD
	v_lshlrev_b32_e32 v3, 2, v3
	v_cndmask_b32_e32 v2, 3, v2, vcc_lo
	v_and_b32_e32 v3, 0xfc, v3
	v_and_b32_e32 v40, 3, v2
	v_or_b32_e32 v2, v30, v2
	v_or3_b32 v3, v3, v119, v40
	v_cmp_ne_u32_e32 vcc_lo, 0, v2
	v_cndmask_b32_e32 v121, 0, v3, vcc_lo
.LBB6_1965:                             ;   in Loop: Header=BB6_130 Depth=2
	s_or_b32 exec_lo, exec_lo, s40
.LBB6_1966:                             ;   in Loop: Header=BB6_130 Depth=2
	s_or_b32 exec_lo, exec_lo, s29
	v_cmp_gt_i16_sdwa s29, v14, v57 src0_sel:BYTE_3 src1_sel:DWORD
	s_andn2_b32 vcc_lo, exec_lo, s28
	s_mov_b32 s13, -1
                                        ; implicit-def: $vgpr119
	s_cbranch_vccnz .LBB6_1980
; %bb.1967:                             ;   in Loop: Header=BB6_130 Depth=2
	s_mov_b32 s13, 0
	s_and_saveexec_b32 s40, s29
	s_xor_b32 s29, exec_lo, s40
	s_cbranch_execz .LBB6_2840
; %bb.1968:                             ;   in Loop: Header=BB6_130 Depth=2
	v_cmp_eq_u16_sdwa s41, v14, v58 src0_sel:BYTE_3 src1_sel:DWORD
	s_mov_b32 s13, -1
	s_and_saveexec_b32 s40, s41
; %bb.1969:                             ;   in Loop: Header=BB6_130 Depth=2
	s_xor_b32 s13, exec_lo, -1
; %bb.1970:                             ;   in Loop: Header=BB6_130 Depth=2
	s_or_b32 exec_lo, exec_lo, s40
	s_and_b32 s13, s13, exec_lo
	s_or_saveexec_b32 s29, s29
	v_mov_b32_e32 v119, 0x7f800001
	s_xor_b32 exec_lo, exec_lo, s29
	s_cbranch_execnz .LBB6_2841
.LBB6_1971:                             ;   in Loop: Header=BB6_130 Depth=2
	s_or_b32 exec_lo, exec_lo, s29
	s_and_saveexec_b32 s29, s13
	s_cbranch_execz .LBB6_1973
.LBB6_1972:                             ;   in Loop: Header=BB6_130 Depth=2
	v_bfe_u32 v2, v14, 24, 2
	v_bfe_u32 v119, v14, 26, 5
	v_ffbh_u32_e32 v3, v2
	v_cmp_eq_u32_e32 vcc_lo, 0, v119
	v_min_u32_e32 v3, 32, v3
	v_subrev_nc_u32_e32 v30, 29, v3
	v_sub_nc_u32_e32 v3, 30, v3
	v_lshlrev_b32_sdwa v30, v30, v14 dst_sel:DWORD dst_unused:UNUSED_PAD src0_sel:DWORD src1_sel:BYTE_3
	v_cndmask_b32_e32 v3, v119, v3, vcc_lo
	v_and_b32_e32 v30, 3, v30
	v_lshl_add_u32 v3, v3, 23, 0x37800000
	v_cndmask_b32_e32 v2, v2, v30, vcc_lo
	v_and_b32_e32 v30, 0x80000000, v14
	v_lshlrev_b32_e32 v2, 21, v2
	v_or3_b32 v119, v30, v3, v2
.LBB6_1973:                             ;   in Loop: Header=BB6_130 Depth=2
	s_or_b32 exec_lo, exec_lo, s29
	s_waitcnt vmcnt(0)
	v_cmp_gt_i16_sdwa s29, v10, v57 src0_sel:BYTE_3 src1_sel:DWORD
	s_mov_b32 s13, 0
	s_and_saveexec_b32 s40, s29
	s_xor_b32 s29, exec_lo, s40
	s_cbranch_execz .LBB6_2842
; %bb.1974:                             ;   in Loop: Header=BB6_130 Depth=2
	v_cmp_eq_u16_sdwa s41, v10, v58 src0_sel:BYTE_3 src1_sel:DWORD
	s_mov_b32 s13, -1
	s_and_saveexec_b32 s40, s41
; %bb.1975:                             ;   in Loop: Header=BB6_130 Depth=2
	s_xor_b32 s13, exec_lo, -1
; %bb.1976:                             ;   in Loop: Header=BB6_130 Depth=2
	s_or_b32 exec_lo, exec_lo, s40
	s_and_b32 s13, s13, exec_lo
	s_or_saveexec_b32 s29, s29
	v_mov_b32_e32 v2, 0x7f800001
	s_xor_b32 exec_lo, exec_lo, s29
	s_cbranch_execnz .LBB6_2843
.LBB6_1977:                             ;   in Loop: Header=BB6_130 Depth=2
	s_or_b32 exec_lo, exec_lo, s29
	s_and_saveexec_b32 s29, s13
	s_cbranch_execz .LBB6_1979
.LBB6_1978:                             ;   in Loop: Header=BB6_130 Depth=2
	v_bfe_u32 v2, v10, 24, 2
	v_bfe_u32 v40, v10, 26, 5
	v_ffbh_u32_e32 v3, v2
	v_cmp_eq_u32_e32 vcc_lo, 0, v40
	v_min_u32_e32 v3, 32, v3
	v_subrev_nc_u32_e32 v30, 29, v3
	v_sub_nc_u32_e32 v3, 30, v3
	v_lshlrev_b32_sdwa v30, v30, v10 dst_sel:DWORD dst_unused:UNUSED_PAD src0_sel:DWORD src1_sel:BYTE_3
	v_cndmask_b32_e32 v3, v40, v3, vcc_lo
	v_and_b32_e32 v30, 3, v30
	v_lshl_add_u32 v3, v3, 23, 0x37800000
	v_cndmask_b32_e32 v2, v2, v30, vcc_lo
	v_and_b32_e32 v30, 0x80000000, v10
	v_lshlrev_b32_e32 v2, 21, v2
	v_or3_b32 v2, v30, v3, v2
.LBB6_1979:                             ;   in Loop: Header=BB6_130 Depth=2
	s_or_b32 exec_lo, exec_lo, s29
	v_max_f32_e32 v2, v2, v2
	v_max_f32_e32 v3, v119, v119
	s_mov_b32 s13, 0
	v_max_f32_e32 v119, v3, v2
.LBB6_1980:                             ;   in Loop: Header=BB6_130 Depth=2
	s_and_b32 vcc_lo, exec_lo, s13
	s_cbranch_vccz .LBB6_1994
; %bb.1981:                             ;   in Loop: Header=BB6_130 Depth=2
	v_cmp_gt_i16_sdwa s29, v14, v57 src0_sel:BYTE_3 src1_sel:DWORD
	s_mov_b32 s13, 0
	s_and_saveexec_b32 s40, s29
	s_xor_b32 s29, exec_lo, s40
	s_cbranch_execz .LBB6_2844
; %bb.1982:                             ;   in Loop: Header=BB6_130 Depth=2
	v_cmp_eq_u16_sdwa s41, v14, v58 src0_sel:BYTE_3 src1_sel:DWORD
	s_mov_b32 s13, -1
	s_and_saveexec_b32 s40, s41
; %bb.1983:                             ;   in Loop: Header=BB6_130 Depth=2
	s_xor_b32 s13, exec_lo, -1
; %bb.1984:                             ;   in Loop: Header=BB6_130 Depth=2
	s_or_b32 exec_lo, exec_lo, s40
	s_and_b32 s13, s13, exec_lo
	s_or_saveexec_b32 s29, s29
	v_mov_b32_e32 v119, 0x7f800001
	s_xor_b32 exec_lo, exec_lo, s29
	s_cbranch_execnz .LBB6_2845
.LBB6_1985:                             ;   in Loop: Header=BB6_130 Depth=2
	s_or_b32 exec_lo, exec_lo, s29
	s_and_saveexec_b32 s29, s13
	s_cbranch_execz .LBB6_1987
.LBB6_1986:                             ;   in Loop: Header=BB6_130 Depth=2
	v_bfe_u32 v2, v14, 24, 2
	v_bfe_u32 v119, v14, 26, 5
	v_ffbh_u32_e32 v3, v2
	v_cmp_eq_u32_e32 vcc_lo, 0, v119
	v_min_u32_e32 v3, 32, v3
	v_subrev_nc_u32_e32 v30, 29, v3
	v_sub_nc_u32_e32 v3, 30, v3
	v_lshlrev_b32_sdwa v30, v30, v14 dst_sel:DWORD dst_unused:UNUSED_PAD src0_sel:DWORD src1_sel:BYTE_3
	v_cndmask_b32_e32 v3, v119, v3, vcc_lo
	v_and_b32_e32 v14, 0x80000000, v14
	v_and_b32_e32 v30, 3, v30
	v_lshl_add_u32 v3, v3, 23, 0x37800000
	v_cndmask_b32_e32 v2, v2, v30, vcc_lo
	v_lshlrev_b32_e32 v2, 21, v2
	v_or3_b32 v119, v14, v3, v2
.LBB6_1987:                             ;   in Loop: Header=BB6_130 Depth=2
	s_or_b32 exec_lo, exec_lo, s29
	s_waitcnt vmcnt(0)
	v_cmp_gt_i16_sdwa s29, v10, v57 src0_sel:BYTE_3 src1_sel:DWORD
	s_mov_b32 s13, 0
	s_and_saveexec_b32 s40, s29
	s_xor_b32 s29, exec_lo, s40
	s_cbranch_execz .LBB6_2846
; %bb.1988:                             ;   in Loop: Header=BB6_130 Depth=2
	v_cmp_eq_u16_sdwa s41, v10, v58 src0_sel:BYTE_3 src1_sel:DWORD
	s_mov_b32 s13, -1
	s_and_saveexec_b32 s40, s41
; %bb.1989:                             ;   in Loop: Header=BB6_130 Depth=2
	s_xor_b32 s13, exec_lo, -1
; %bb.1990:                             ;   in Loop: Header=BB6_130 Depth=2
	s_or_b32 exec_lo, exec_lo, s40
	s_and_b32 s13, s13, exec_lo
	s_or_saveexec_b32 s29, s29
	v_mov_b32_e32 v2, 0x7f800001
	s_xor_b32 exec_lo, exec_lo, s29
	s_cbranch_execnz .LBB6_2847
.LBB6_1991:                             ;   in Loop: Header=BB6_130 Depth=2
	s_or_b32 exec_lo, exec_lo, s29
	s_and_saveexec_b32 s29, s13
	s_cbranch_execz .LBB6_1993
.LBB6_1992:                             ;   in Loop: Header=BB6_130 Depth=2
	v_bfe_u32 v2, v10, 24, 2
	v_bfe_u32 v30, v10, 26, 5
	v_ffbh_u32_e32 v3, v2
	v_cmp_eq_u32_e32 vcc_lo, 0, v30
	v_min_u32_e32 v3, 32, v3
	v_subrev_nc_u32_e32 v14, 29, v3
	v_sub_nc_u32_e32 v3, 30, v3
	v_lshlrev_b32_sdwa v14, v14, v10 dst_sel:DWORD dst_unused:UNUSED_PAD src0_sel:DWORD src1_sel:BYTE_3
	v_cndmask_b32_e32 v3, v30, v3, vcc_lo
	v_and_b32_e32 v10, 0x80000000, v10
	v_and_b32_e32 v14, 3, v14
	v_lshl_add_u32 v3, v3, 23, 0x37800000
	v_cndmask_b32_e32 v2, v2, v14, vcc_lo
	v_lshlrev_b32_e32 v2, 21, v2
	v_or3_b32 v2, v10, v3, v2
.LBB6_1993:                             ;   in Loop: Header=BB6_130 Depth=2
	s_or_b32 exec_lo, exec_lo, s29
	v_max_f32_e32 v2, v2, v2
	v_max_f32_e32 v3, v119, v119
	v_min_f32_e32 v119, v3, v2
.LBB6_1994:                             ;   in Loop: Header=BB6_130 Depth=2
	v_and_b32_e32 v2, 0x7f800000, v119
	s_waitcnt vmcnt(0)
	v_mov_b32_e32 v10, 0x8000
	s_mov_b32 s29, exec_lo
	v_cmpx_ne_u32_e32 0x7f800000, v2
	s_cbranch_execz .LBB6_2002
; %bb.1995:                             ;   in Loop: Header=BB6_130 Depth=2
	v_mov_b32_e32 v10, 0
	s_mov_b32 s40, exec_lo
	v_cmpx_ne_u32_e32 0, v119
	s_cbranch_execz .LBB6_2001
; %bb.1996:                             ;   in Loop: Header=BB6_130 Depth=2
	v_bfe_u32 v3, v119, 23, 8
	v_and_b32_e32 v2, 0x7fffff, v119
	v_cmp_gt_u32_e64 s13, 0x71, v3
	v_sub_nc_u32_e32 v10, 0x70, v3
	v_cmp_eq_u32_e32 vcc_lo, 0, v3
	v_or_b32_e32 v14, 0x800000, v2
	v_add_nc_u32_e32 v3, 0xffffff91, v3
	v_cndmask_b32_e64 v10, 0, v10, s13
	v_cndmask_b32_e32 v2, v14, v2, vcc_lo
	v_cndmask_b32_e64 v3, v3, 0xffffff92, vcc_lo
	v_cndmask_b32_e64 v10, v10, 0x6f, vcc_lo
	v_lshl_add_u32 v14, 0x200000, v10, -1
	v_lshlrev_b32_e64 v30, v10, 0x100000
	v_and_b32_e32 v14, v14, v2
	v_lshrrev_b32_e32 v2, v10, v2
	v_add_nc_u32_e32 v10, v10, v3
	v_cmp_eq_u32_e64 s13, v14, v30
	v_lshrrev_b32_e32 v3, 23, v2
                                        ; implicit-def: $vgpr30
	v_xor_b32_e32 v14, 1, v3
	v_bfe_u32 v3, v2, 21, 1
	v_add_nc_u32_e32 v3, -1, v3
	v_cndmask_b32_e64 v3, 0, v3, s13
	s_mov_b32 s13, exec_lo
	v_add_nc_u32_e32 v3, v3, v2
	v_and_b32_e32 v3, 0x1fffff, v3
	v_add_nc_u32_e32 v2, v3, v2
	v_cmpx_ne_u32_e64 v10, v14
	s_xor_b32 s13, exec_lo, s13
; %bb.1997:                             ;   in Loop: Header=BB6_130 Depth=2
	v_cmp_lt_u32_e32 vcc_lo, 0xffffff, v2
	v_sub_nc_u32_e32 v3, v10, v14
	v_cndmask_b32_e64 v10, 0, 1, vcc_lo
	v_add_co_ci_u32_e64 v30, null, 0, v3, vcc_lo
	v_lshrrev_b32_e32 v2, v10, v2
; %bb.1998:                             ;   in Loop: Header=BB6_130 Depth=2
	s_andn2_saveexec_b32 s13, s13
; %bb.1999:                             ;   in Loop: Header=BB6_130 Depth=2
	v_bfe_u32 v30, v2, 23, 1
; %bb.2000:                             ;   in Loop: Header=BB6_130 Depth=2
	s_or_b32 exec_lo, exec_lo, s13
	v_lshrrev_b32_e32 v2, 21, v2
	v_min_i32_e32 v3, 31, v30
	v_cmp_gt_i32_e32 vcc_lo, 32, v30
	v_and_b32_sdwa v10, v119, v58 dst_sel:DWORD dst_unused:UNUSED_PAD src0_sel:BYTE_3 src1_sel:DWORD
	v_lshlrev_b32_e32 v3, 2, v3
	v_cndmask_b32_e32 v2, 3, v2, vcc_lo
	v_and_b32_e32 v3, 0xfc, v3
	v_and_b32_e32 v14, 3, v2
	v_or_b32_e32 v2, v30, v2
	v_or3_b32 v3, v10, v3, v14
	v_cmp_ne_u32_e32 vcc_lo, 0, v2
	v_lshlrev_b32_e32 v3, 8, v3
	v_cndmask_b32_e32 v10, 0, v3, vcc_lo
.LBB6_2001:                             ;   in Loop: Header=BB6_130 Depth=2
	s_or_b32 exec_lo, exec_lo, s40
.LBB6_2002:                             ;   in Loop: Header=BB6_130 Depth=2
	s_or_b32 exec_lo, exec_lo, s29
	v_cmp_gt_i16_sdwa s29, v15, v57 src0_sel:BYTE_0 src1_sel:DWORD
	s_andn2_b32 vcc_lo, exec_lo, s28
	s_mov_b32 s13, -1
                                        ; implicit-def: $vgpr119
	s_cbranch_vccnz .LBB6_2016
; %bb.2003:                             ;   in Loop: Header=BB6_130 Depth=2
	s_mov_b32 s13, 0
	s_and_saveexec_b32 s40, s29
	s_xor_b32 s29, exec_lo, s40
	s_cbranch_execz .LBB6_2848
; %bb.2004:                             ;   in Loop: Header=BB6_130 Depth=2
	v_cmp_eq_u16_sdwa s41, v15, v58 src0_sel:BYTE_0 src1_sel:DWORD
	s_mov_b32 s13, -1
	s_and_saveexec_b32 s40, s41
; %bb.2005:                             ;   in Loop: Header=BB6_130 Depth=2
	s_xor_b32 s13, exec_lo, -1
; %bb.2006:                             ;   in Loop: Header=BB6_130 Depth=2
	s_or_b32 exec_lo, exec_lo, s40
	s_and_b32 s13, s13, exec_lo
	s_or_saveexec_b32 s29, s29
	v_mov_b32_e32 v14, 0x7f800001
	s_xor_b32 exec_lo, exec_lo, s29
	s_cbranch_execnz .LBB6_2849
.LBB6_2007:                             ;   in Loop: Header=BB6_130 Depth=2
	s_or_b32 exec_lo, exec_lo, s29
	s_and_saveexec_b32 s29, s13
	s_cbranch_execz .LBB6_2009
.LBB6_2008:                             ;   in Loop: Header=BB6_130 Depth=2
	v_and_b32_e32 v2, 3, v15
	v_bfe_u32 v30, v15, 2, 5
	v_lshlrev_b32_e32 v119, 24, v15
	v_ffbh_u32_e32 v3, v2
	v_cmp_eq_u32_e32 vcc_lo, 0, v30
	v_min_u32_e32 v3, 32, v3
	v_subrev_nc_u32_e32 v14, 29, v3
	v_sub_nc_u32_e32 v3, 30, v3
	v_lshlrev_b32_e32 v14, v14, v15
	v_cndmask_b32_e32 v3, v30, v3, vcc_lo
	v_and_b32_e32 v14, 3, v14
	v_lshl_add_u32 v3, v3, 23, 0x37800000
	v_cndmask_b32_e32 v2, v2, v14, vcc_lo
	v_and_b32_e32 v14, 0x80000000, v119
	v_lshlrev_b32_e32 v2, 21, v2
	v_or3_b32 v14, v14, v3, v2
.LBB6_2009:                             ;   in Loop: Header=BB6_130 Depth=2
	s_or_b32 exec_lo, exec_lo, s29
	v_cmp_gt_i16_sdwa s13, v11, v57 src0_sel:BYTE_0 src1_sel:DWORD
	s_mov_b32 s29, 0
	s_and_saveexec_b32 s40, s13
	s_xor_b32 s13, exec_lo, s40
	s_cbranch_execz .LBB6_2850
; %bb.2010:                             ;   in Loop: Header=BB6_130 Depth=2
	v_cmp_eq_u16_sdwa s41, v11, v58 src0_sel:BYTE_0 src1_sel:DWORD
	s_mov_b32 s29, -1
	s_and_saveexec_b32 s40, s41
; %bb.2011:                             ;   in Loop: Header=BB6_130 Depth=2
	s_xor_b32 s29, exec_lo, -1
; %bb.2012:                             ;   in Loop: Header=BB6_130 Depth=2
	s_or_b32 exec_lo, exec_lo, s40
	s_and_b32 s29, s29, exec_lo
	s_or_saveexec_b32 s13, s13
	v_mov_b32_e32 v2, 0x7f800001
	s_xor_b32 exec_lo, exec_lo, s13
	s_cbranch_execnz .LBB6_2851
.LBB6_2013:                             ;   in Loop: Header=BB6_130 Depth=2
	s_or_b32 exec_lo, exec_lo, s13
	s_and_saveexec_b32 s13, s29
	s_cbranch_execz .LBB6_2015
.LBB6_2014:                             ;   in Loop: Header=BB6_130 Depth=2
	v_and_b32_e32 v2, 3, v11
	v_bfe_u32 v3, v11, 2, 5
	v_ffbh_u32_e32 v30, v2
	v_cmp_eq_u32_e32 vcc_lo, 0, v3
	v_min_u32_e32 v30, 32, v30
	v_subrev_nc_u32_e32 v119, 29, v30
	v_sub_nc_u32_e32 v30, 30, v30
	v_lshlrev_b32_e32 v119, v119, v11
	v_cndmask_b32_e32 v3, v3, v30, vcc_lo
	v_lshlrev_b32_e32 v30, 24, v11
	v_and_b32_e32 v119, 3, v119
	v_lshl_add_u32 v3, v3, 23, 0x37800000
	v_and_b32_e32 v30, 0x80000000, v30
	v_cndmask_b32_e32 v2, v2, v119, vcc_lo
	v_lshlrev_b32_e32 v2, 21, v2
	v_or3_b32 v2, v30, v3, v2
.LBB6_2015:                             ;   in Loop: Header=BB6_130 Depth=2
	s_or_b32 exec_lo, exec_lo, s13
	v_max_f32_e32 v2, v2, v2
	v_max_f32_e32 v3, v14, v14
	s_mov_b32 s13, 0
	v_max_f32_e32 v119, v3, v2
.LBB6_2016:                             ;   in Loop: Header=BB6_130 Depth=2
	s_and_b32 vcc_lo, exec_lo, s13
	s_cbranch_vccz .LBB6_2030
; %bb.2017:                             ;   in Loop: Header=BB6_130 Depth=2
	v_cmp_gt_i16_sdwa s29, v15, v57 src0_sel:BYTE_0 src1_sel:DWORD
	s_mov_b32 s13, 0
	s_and_saveexec_b32 s40, s29
	s_xor_b32 s29, exec_lo, s40
	s_cbranch_execz .LBB6_2852
; %bb.2018:                             ;   in Loop: Header=BB6_130 Depth=2
	v_cmp_eq_u16_sdwa s41, v15, v58 src0_sel:BYTE_0 src1_sel:DWORD
	s_mov_b32 s13, -1
	s_and_saveexec_b32 s40, s41
; %bb.2019:                             ;   in Loop: Header=BB6_130 Depth=2
	s_xor_b32 s13, exec_lo, -1
; %bb.2020:                             ;   in Loop: Header=BB6_130 Depth=2
	s_or_b32 exec_lo, exec_lo, s40
	s_and_b32 s13, s13, exec_lo
	s_or_saveexec_b32 s29, s29
	v_mov_b32_e32 v14, 0x7f800001
	s_xor_b32 exec_lo, exec_lo, s29
	s_cbranch_execnz .LBB6_2853
.LBB6_2021:                             ;   in Loop: Header=BB6_130 Depth=2
	s_or_b32 exec_lo, exec_lo, s29
	s_and_saveexec_b32 s29, s13
	s_cbranch_execz .LBB6_2023
.LBB6_2022:                             ;   in Loop: Header=BB6_130 Depth=2
	v_and_b32_e32 v2, 3, v15
	v_bfe_u32 v30, v15, 2, 5
	v_lshlrev_b32_e32 v119, 24, v15
	v_ffbh_u32_e32 v3, v2
	v_cmp_eq_u32_e32 vcc_lo, 0, v30
	v_min_u32_e32 v3, 32, v3
	v_subrev_nc_u32_e32 v14, 29, v3
	v_sub_nc_u32_e32 v3, 30, v3
	v_lshlrev_b32_e32 v14, v14, v15
	v_cndmask_b32_e32 v3, v30, v3, vcc_lo
	v_and_b32_e32 v14, 3, v14
	v_lshl_add_u32 v3, v3, 23, 0x37800000
	v_cndmask_b32_e32 v2, v2, v14, vcc_lo
	v_and_b32_e32 v14, 0x80000000, v119
	v_lshlrev_b32_e32 v2, 21, v2
	v_or3_b32 v14, v14, v3, v2
.LBB6_2023:                             ;   in Loop: Header=BB6_130 Depth=2
	s_or_b32 exec_lo, exec_lo, s29
	v_cmp_gt_i16_sdwa s13, v11, v57 src0_sel:BYTE_0 src1_sel:DWORD
	s_mov_b32 s29, 0
	s_and_saveexec_b32 s40, s13
	s_xor_b32 s13, exec_lo, s40
	s_cbranch_execz .LBB6_2854
; %bb.2024:                             ;   in Loop: Header=BB6_130 Depth=2
	v_cmp_eq_u16_sdwa s41, v11, v58 src0_sel:BYTE_0 src1_sel:DWORD
	s_mov_b32 s29, -1
	s_and_saveexec_b32 s40, s41
; %bb.2025:                             ;   in Loop: Header=BB6_130 Depth=2
	s_xor_b32 s29, exec_lo, -1
; %bb.2026:                             ;   in Loop: Header=BB6_130 Depth=2
	s_or_b32 exec_lo, exec_lo, s40
	s_and_b32 s29, s29, exec_lo
	s_or_saveexec_b32 s13, s13
	v_mov_b32_e32 v2, 0x7f800001
	s_xor_b32 exec_lo, exec_lo, s13
	s_cbranch_execnz .LBB6_2855
.LBB6_2027:                             ;   in Loop: Header=BB6_130 Depth=2
	s_or_b32 exec_lo, exec_lo, s13
	s_and_saveexec_b32 s13, s29
	s_cbranch_execz .LBB6_2029
.LBB6_2028:                             ;   in Loop: Header=BB6_130 Depth=2
	v_and_b32_e32 v2, 3, v11
	v_bfe_u32 v3, v11, 2, 5
	v_ffbh_u32_e32 v30, v2
	v_cmp_eq_u32_e32 vcc_lo, 0, v3
	v_min_u32_e32 v30, 32, v30
	v_subrev_nc_u32_e32 v119, 29, v30
	v_sub_nc_u32_e32 v30, 30, v30
	v_lshlrev_b32_e32 v119, v119, v11
	v_cndmask_b32_e32 v3, v3, v30, vcc_lo
	v_lshlrev_b32_e32 v30, 24, v11
	v_and_b32_e32 v119, 3, v119
	v_lshl_add_u32 v3, v3, 23, 0x37800000
	v_and_b32_e32 v30, 0x80000000, v30
	v_cndmask_b32_e32 v2, v2, v119, vcc_lo
	v_lshlrev_b32_e32 v2, 21, v2
	v_or3_b32 v2, v30, v3, v2
.LBB6_2029:                             ;   in Loop: Header=BB6_130 Depth=2
	s_or_b32 exec_lo, exec_lo, s13
	v_max_f32_e32 v2, v2, v2
	v_max_f32_e32 v3, v14, v14
	v_min_f32_e32 v119, v3, v2
.LBB6_2030:                             ;   in Loop: Header=BB6_130 Depth=2
	v_and_b32_e32 v2, 0x7f800000, v119
	v_mov_b32_e32 v14, 0x80
	s_mov_b32 s29, exec_lo
	v_cmpx_ne_u32_e32 0x7f800000, v2
	s_cbranch_execz .LBB6_2038
; %bb.2031:                             ;   in Loop: Header=BB6_130 Depth=2
	v_mov_b32_e32 v14, 0
	s_mov_b32 s40, exec_lo
	v_cmpx_ne_u32_e32 0, v119
	s_cbranch_execz .LBB6_2037
; %bb.2032:                             ;   in Loop: Header=BB6_130 Depth=2
	v_bfe_u32 v3, v119, 23, 8
	v_and_b32_e32 v2, 0x7fffff, v119
	v_cmp_gt_u32_e64 s13, 0x71, v3
	v_sub_nc_u32_e32 v14, 0x70, v3
	v_cmp_eq_u32_e32 vcc_lo, 0, v3
	v_or_b32_e32 v30, 0x800000, v2
	v_add_nc_u32_e32 v3, 0xffffff91, v3
	v_cndmask_b32_e64 v14, 0, v14, s13
	v_cndmask_b32_e32 v2, v30, v2, vcc_lo
	v_cndmask_b32_e64 v3, v3, 0xffffff92, vcc_lo
	v_cndmask_b32_e64 v14, v14, 0x6f, vcc_lo
	v_lshl_add_u32 v30, 0x200000, v14, -1
	v_lshlrev_b32_e64 v40, v14, 0x100000
	v_and_b32_e32 v30, v30, v2
	v_lshrrev_b32_e32 v2, v14, v2
	v_add_nc_u32_e32 v14, v14, v3
	v_cmp_eq_u32_e64 s13, v30, v40
	v_lshrrev_b32_e32 v3, 23, v2
                                        ; implicit-def: $vgpr30
	v_xor_b32_e32 v40, 1, v3
	v_bfe_u32 v3, v2, 21, 1
	v_add_nc_u32_e32 v3, -1, v3
	v_cndmask_b32_e64 v3, 0, v3, s13
	s_mov_b32 s13, exec_lo
	v_add_nc_u32_e32 v3, v3, v2
	v_and_b32_e32 v3, 0x1fffff, v3
	v_add_nc_u32_e32 v2, v3, v2
	v_cmpx_ne_u32_e64 v14, v40
	s_xor_b32 s13, exec_lo, s13
; %bb.2033:                             ;   in Loop: Header=BB6_130 Depth=2
	v_cmp_lt_u32_e32 vcc_lo, 0xffffff, v2
	v_sub_nc_u32_e32 v3, v14, v40
	v_cndmask_b32_e64 v14, 0, 1, vcc_lo
	v_add_co_ci_u32_e64 v30, null, 0, v3, vcc_lo
	v_lshrrev_b32_e32 v2, v14, v2
; %bb.2034:                             ;   in Loop: Header=BB6_130 Depth=2
	s_andn2_saveexec_b32 s13, s13
; %bb.2035:                             ;   in Loop: Header=BB6_130 Depth=2
	v_bfe_u32 v30, v2, 23, 1
; %bb.2036:                             ;   in Loop: Header=BB6_130 Depth=2
	s_or_b32 exec_lo, exec_lo, s13
	v_lshrrev_b32_e32 v2, 21, v2
	v_min_i32_e32 v3, 31, v30
	v_cmp_gt_i32_e32 vcc_lo, 32, v30
	v_and_b32_sdwa v14, v119, v58 dst_sel:DWORD dst_unused:UNUSED_PAD src0_sel:BYTE_3 src1_sel:DWORD
	v_lshlrev_b32_e32 v3, 2, v3
	v_cndmask_b32_e32 v2, 3, v2, vcc_lo
	v_and_b32_e32 v3, 0xfc, v3
	v_and_b32_e32 v119, 3, v2
	v_or_b32_e32 v2, v30, v2
	v_or3_b32 v3, v3, v14, v119
	v_cmp_ne_u32_e32 vcc_lo, 0, v2
	v_cndmask_b32_e32 v14, 0, v3, vcc_lo
.LBB6_2037:                             ;   in Loop: Header=BB6_130 Depth=2
	s_or_b32 exec_lo, exec_lo, s40
.LBB6_2038:                             ;   in Loop: Header=BB6_130 Depth=2
	s_or_b32 exec_lo, exec_lo, s29
	v_cmp_gt_i16_sdwa s29, v15, v57 src0_sel:BYTE_1 src1_sel:DWORD
	s_andn2_b32 vcc_lo, exec_lo, s28
	s_mov_b32 s13, -1
                                        ; implicit-def: $vgpr119
	s_cbranch_vccnz .LBB6_2052
; %bb.2039:                             ;   in Loop: Header=BB6_130 Depth=2
	s_mov_b32 s13, 0
	s_and_saveexec_b32 s40, s29
	s_xor_b32 s29, exec_lo, s40
	s_cbranch_execz .LBB6_2856
; %bb.2040:                             ;   in Loop: Header=BB6_130 Depth=2
	v_cmp_eq_u16_sdwa s41, v15, v58 src0_sel:BYTE_1 src1_sel:DWORD
	s_mov_b32 s13, -1
	s_and_saveexec_b32 s40, s41
; %bb.2041:                             ;   in Loop: Header=BB6_130 Depth=2
	s_xor_b32 s13, exec_lo, -1
; %bb.2042:                             ;   in Loop: Header=BB6_130 Depth=2
	s_or_b32 exec_lo, exec_lo, s40
	s_and_b32 s13, s13, exec_lo
	s_or_saveexec_b32 s29, s29
	v_mov_b32_e32 v119, 0x7f800001
	s_xor_b32 exec_lo, exec_lo, s29
	s_cbranch_execnz .LBB6_2857
.LBB6_2043:                             ;   in Loop: Header=BB6_130 Depth=2
	s_or_b32 exec_lo, exec_lo, s29
	s_and_saveexec_b32 s29, s13
	s_cbranch_execz .LBB6_2045
.LBB6_2044:                             ;   in Loop: Header=BB6_130 Depth=2
	v_and_b32_sdwa v2, v59, v15 dst_sel:DWORD dst_unused:UNUSED_PAD src0_sel:DWORD src1_sel:BYTE_1
	v_and_b32_e32 v3, 3, v2
	v_bfe_u32 v40, v2, 2, 5
	v_ffbh_u32_e32 v30, v3
	v_cmp_eq_u32_e32 vcc_lo, 0, v40
	v_min_u32_e32 v30, 32, v30
	v_subrev_nc_u32_e32 v119, 29, v30
	v_sub_nc_u32_e32 v30, 30, v30
	v_lshlrev_b32_e32 v2, v119, v2
	v_lshlrev_b32_e32 v119, 16, v15
	v_cndmask_b32_e32 v30, v40, v30, vcc_lo
	v_and_b32_e32 v2, 3, v2
	v_lshl_add_u32 v30, v30, 23, 0x37800000
	v_cndmask_b32_e32 v2, v3, v2, vcc_lo
	v_and_b32_e32 v3, 0x80000000, v119
	v_lshlrev_b32_e32 v2, 21, v2
	v_or3_b32 v119, v3, v30, v2
.LBB6_2045:                             ;   in Loop: Header=BB6_130 Depth=2
	s_or_b32 exec_lo, exec_lo, s29
	v_cmp_gt_i16_sdwa s29, v11, v57 src0_sel:BYTE_1 src1_sel:DWORD
	s_mov_b32 s13, 0
	s_and_saveexec_b32 s40, s29
	s_xor_b32 s29, exec_lo, s40
	s_cbranch_execz .LBB6_2858
; %bb.2046:                             ;   in Loop: Header=BB6_130 Depth=2
	v_cmp_eq_u16_sdwa s41, v11, v58 src0_sel:BYTE_1 src1_sel:DWORD
	s_mov_b32 s13, -1
	s_and_saveexec_b32 s40, s41
; %bb.2047:                             ;   in Loop: Header=BB6_130 Depth=2
	s_xor_b32 s13, exec_lo, -1
; %bb.2048:                             ;   in Loop: Header=BB6_130 Depth=2
	s_or_b32 exec_lo, exec_lo, s40
	s_and_b32 s13, s13, exec_lo
	s_or_saveexec_b32 s29, s29
	v_mov_b32_e32 v2, 0x7f800001
	s_xor_b32 exec_lo, exec_lo, s29
	s_cbranch_execnz .LBB6_2859
.LBB6_2049:                             ;   in Loop: Header=BB6_130 Depth=2
	s_or_b32 exec_lo, exec_lo, s29
	s_and_saveexec_b32 s29, s13
	s_cbranch_execz .LBB6_2051
.LBB6_2050:                             ;   in Loop: Header=BB6_130 Depth=2
	v_and_b32_sdwa v2, v59, v11 dst_sel:DWORD dst_unused:UNUSED_PAD src0_sel:DWORD src1_sel:BYTE_1
	v_and_b32_e32 v3, 3, v2
	v_bfe_u32 v42, v2, 2, 5
	v_ffbh_u32_e32 v30, v3
	v_cmp_eq_u32_e32 vcc_lo, 0, v42
	v_min_u32_e32 v30, 32, v30
	v_subrev_nc_u32_e32 v40, 29, v30
	v_sub_nc_u32_e32 v30, 30, v30
	v_lshlrev_b32_e32 v2, v40, v2
	v_lshlrev_b32_e32 v40, 16, v11
	v_cndmask_b32_e32 v30, v42, v30, vcc_lo
	v_and_b32_e32 v2, 3, v2
	v_lshl_add_u32 v30, v30, 23, 0x37800000
	v_cndmask_b32_e32 v2, v3, v2, vcc_lo
	v_and_b32_e32 v3, 0x80000000, v40
	v_lshlrev_b32_e32 v2, 21, v2
	v_or3_b32 v2, v3, v30, v2
.LBB6_2051:                             ;   in Loop: Header=BB6_130 Depth=2
	s_or_b32 exec_lo, exec_lo, s29
	v_max_f32_e32 v2, v2, v2
	v_max_f32_e32 v3, v119, v119
	s_mov_b32 s13, 0
	v_max_f32_e32 v119, v3, v2
.LBB6_2052:                             ;   in Loop: Header=BB6_130 Depth=2
	s_and_b32 vcc_lo, exec_lo, s13
	s_cbranch_vccz .LBB6_2066
; %bb.2053:                             ;   in Loop: Header=BB6_130 Depth=2
	v_cmp_gt_i16_sdwa s29, v15, v57 src0_sel:BYTE_1 src1_sel:DWORD
	s_mov_b32 s13, 0
	s_and_saveexec_b32 s40, s29
	s_xor_b32 s29, exec_lo, s40
	s_cbranch_execz .LBB6_2860
; %bb.2054:                             ;   in Loop: Header=BB6_130 Depth=2
	v_cmp_eq_u16_sdwa s41, v15, v58 src0_sel:BYTE_1 src1_sel:DWORD
	s_mov_b32 s13, -1
	s_and_saveexec_b32 s40, s41
; %bb.2055:                             ;   in Loop: Header=BB6_130 Depth=2
	s_xor_b32 s13, exec_lo, -1
; %bb.2056:                             ;   in Loop: Header=BB6_130 Depth=2
	s_or_b32 exec_lo, exec_lo, s40
	s_and_b32 s13, s13, exec_lo
	s_or_saveexec_b32 s29, s29
	v_mov_b32_e32 v119, 0x7f800001
	s_xor_b32 exec_lo, exec_lo, s29
	s_cbranch_execnz .LBB6_2861
.LBB6_2057:                             ;   in Loop: Header=BB6_130 Depth=2
	s_or_b32 exec_lo, exec_lo, s29
	s_and_saveexec_b32 s29, s13
	s_cbranch_execz .LBB6_2059
.LBB6_2058:                             ;   in Loop: Header=BB6_130 Depth=2
	v_and_b32_sdwa v2, v59, v15 dst_sel:DWORD dst_unused:UNUSED_PAD src0_sel:DWORD src1_sel:BYTE_1
	v_and_b32_e32 v3, 3, v2
	v_bfe_u32 v40, v2, 2, 5
	v_ffbh_u32_e32 v30, v3
	v_cmp_eq_u32_e32 vcc_lo, 0, v40
	v_min_u32_e32 v30, 32, v30
	v_subrev_nc_u32_e32 v119, 29, v30
	v_sub_nc_u32_e32 v30, 30, v30
	v_lshlrev_b32_e32 v2, v119, v2
	v_lshlrev_b32_e32 v119, 16, v15
	v_cndmask_b32_e32 v30, v40, v30, vcc_lo
	v_and_b32_e32 v2, 3, v2
	v_lshl_add_u32 v30, v30, 23, 0x37800000
	v_cndmask_b32_e32 v2, v3, v2, vcc_lo
	v_and_b32_e32 v3, 0x80000000, v119
	v_lshlrev_b32_e32 v2, 21, v2
	v_or3_b32 v119, v3, v30, v2
.LBB6_2059:                             ;   in Loop: Header=BB6_130 Depth=2
	s_or_b32 exec_lo, exec_lo, s29
	v_cmp_gt_i16_sdwa s29, v11, v57 src0_sel:BYTE_1 src1_sel:DWORD
	s_mov_b32 s13, 0
	s_and_saveexec_b32 s40, s29
	s_xor_b32 s29, exec_lo, s40
	s_cbranch_execz .LBB6_2862
; %bb.2060:                             ;   in Loop: Header=BB6_130 Depth=2
	v_cmp_eq_u16_sdwa s41, v11, v58 src0_sel:BYTE_1 src1_sel:DWORD
	s_mov_b32 s13, -1
	s_and_saveexec_b32 s40, s41
; %bb.2061:                             ;   in Loop: Header=BB6_130 Depth=2
	s_xor_b32 s13, exec_lo, -1
; %bb.2062:                             ;   in Loop: Header=BB6_130 Depth=2
	s_or_b32 exec_lo, exec_lo, s40
	s_and_b32 s13, s13, exec_lo
	s_or_saveexec_b32 s29, s29
	v_mov_b32_e32 v2, 0x7f800001
	s_xor_b32 exec_lo, exec_lo, s29
	s_cbranch_execnz .LBB6_2863
.LBB6_2063:                             ;   in Loop: Header=BB6_130 Depth=2
	s_or_b32 exec_lo, exec_lo, s29
	s_and_saveexec_b32 s29, s13
	s_cbranch_execz .LBB6_2065
.LBB6_2064:                             ;   in Loop: Header=BB6_130 Depth=2
	v_and_b32_sdwa v2, v59, v11 dst_sel:DWORD dst_unused:UNUSED_PAD src0_sel:DWORD src1_sel:BYTE_1
	v_and_b32_e32 v3, 3, v2
	v_bfe_u32 v42, v2, 2, 5
	v_ffbh_u32_e32 v30, v3
	v_cmp_eq_u32_e32 vcc_lo, 0, v42
	v_min_u32_e32 v30, 32, v30
	v_subrev_nc_u32_e32 v40, 29, v30
	v_sub_nc_u32_e32 v30, 30, v30
	v_lshlrev_b32_e32 v2, v40, v2
	v_lshlrev_b32_e32 v40, 16, v11
	v_cndmask_b32_e32 v30, v42, v30, vcc_lo
	v_and_b32_e32 v2, 3, v2
	v_lshl_add_u32 v30, v30, 23, 0x37800000
	v_cndmask_b32_e32 v2, v3, v2, vcc_lo
	v_and_b32_e32 v3, 0x80000000, v40
	v_lshlrev_b32_e32 v2, 21, v2
	v_or3_b32 v2, v3, v30, v2
.LBB6_2065:                             ;   in Loop: Header=BB6_130 Depth=2
	s_or_b32 exec_lo, exec_lo, s29
	v_max_f32_e32 v2, v2, v2
	v_max_f32_e32 v3, v119, v119
	v_min_f32_e32 v119, v3, v2
.LBB6_2066:                             ;   in Loop: Header=BB6_130 Depth=2
	v_and_b32_e32 v2, 0x7f800000, v119
	v_mov_b32_e32 v122, 0x8000
	s_mov_b32 s29, exec_lo
	v_cmpx_ne_u32_e32 0x7f800000, v2
	s_cbranch_execz .LBB6_2074
; %bb.2067:                             ;   in Loop: Header=BB6_130 Depth=2
	v_mov_b32_e32 v122, 0
	s_mov_b32 s40, exec_lo
	v_cmpx_ne_u32_e32 0, v119
	s_cbranch_execz .LBB6_2073
; %bb.2068:                             ;   in Loop: Header=BB6_130 Depth=2
	v_bfe_u32 v3, v119, 23, 8
	v_and_b32_e32 v2, 0x7fffff, v119
	v_cmp_gt_u32_e64 s13, 0x71, v3
	v_sub_nc_u32_e32 v30, 0x70, v3
	v_cmp_eq_u32_e32 vcc_lo, 0, v3
	v_or_b32_e32 v40, 0x800000, v2
	v_add_nc_u32_e32 v3, 0xffffff91, v3
	v_cndmask_b32_e64 v30, 0, v30, s13
	v_cndmask_b32_e32 v2, v40, v2, vcc_lo
	v_cndmask_b32_e64 v3, v3, 0xffffff92, vcc_lo
	v_cndmask_b32_e64 v30, v30, 0x6f, vcc_lo
	v_lshl_add_u32 v40, 0x200000, v30, -1
	v_lshlrev_b32_e64 v42, v30, 0x100000
	v_and_b32_e32 v40, v40, v2
	v_lshrrev_b32_e32 v2, v30, v2
	v_cmp_eq_u32_e64 s13, v40, v42
	v_add_nc_u32_e32 v40, v30, v3
	v_lshrrev_b32_e32 v3, 23, v2
                                        ; implicit-def: $vgpr42
	v_xor_b32_e32 v122, 1, v3
	v_bfe_u32 v3, v2, 21, 1
	v_add_nc_u32_e32 v3, -1, v3
	v_cndmask_b32_e64 v3, 0, v3, s13
	s_mov_b32 s13, exec_lo
	v_add_nc_u32_e32 v3, v3, v2
	v_and_b32_e32 v3, 0x1fffff, v3
	v_add_nc_u32_e32 v30, v3, v2
	v_cmpx_ne_u32_e64 v40, v122
	s_xor_b32 s13, exec_lo, s13
; %bb.2069:                             ;   in Loop: Header=BB6_130 Depth=2
	v_cmp_lt_u32_e32 vcc_lo, 0xffffff, v30
	v_sub_nc_u32_e32 v2, v40, v122
	v_cndmask_b32_e64 v3, 0, 1, vcc_lo
	v_add_co_ci_u32_e64 v42, null, 0, v2, vcc_lo
	v_lshrrev_b32_e32 v30, v3, v30
; %bb.2070:                             ;   in Loop: Header=BB6_130 Depth=2
	s_andn2_saveexec_b32 s13, s13
; %bb.2071:                             ;   in Loop: Header=BB6_130 Depth=2
	v_bfe_u32 v42, v30, 23, 1
; %bb.2072:                             ;   in Loop: Header=BB6_130 Depth=2
	s_or_b32 exec_lo, exec_lo, s13
	v_lshrrev_b32_e32 v3, 21, v30
	v_min_i32_e32 v30, 31, v42
	v_cmp_gt_i32_e32 vcc_lo, 32, v42
	v_and_b32_sdwa v2, v119, v58 dst_sel:DWORD dst_unused:UNUSED_PAD src0_sel:BYTE_3 src1_sel:DWORD
	v_lshlrev_b32_e32 v30, 2, v30
	v_cndmask_b32_e32 v3, 3, v3, vcc_lo
	v_and_b32_e32 v30, 0xfc, v30
	v_or_b32_e32 v119, v42, v3
	v_and_b32_e32 v3, 3, v3
	v_cmp_ne_u32_e32 vcc_lo, 0, v119
	v_or3_b32 v2, v2, v30, v3
	v_lshlrev_b32_e32 v2, 8, v2
	v_cndmask_b32_e32 v122, 0, v2, vcc_lo
.LBB6_2073:                             ;   in Loop: Header=BB6_130 Depth=2
	s_or_b32 exec_lo, exec_lo, s40
.LBB6_2074:                             ;   in Loop: Header=BB6_130 Depth=2
	s_or_b32 exec_lo, exec_lo, s29
	v_and_b32_sdwa v119, v15, v60 dst_sel:DWORD dst_unused:UNUSED_PAD src0_sel:WORD_1 src1_sel:DWORD
	s_andn2_b32 vcc_lo, exec_lo, s28
	s_mov_b32 s29, -1
                                        ; implicit-def: $vgpr124
	v_cmp_lt_i16_e64 s13, 0x7f, v119
	s_cbranch_vccnz .LBB6_2088
; %bb.2075:                             ;   in Loop: Header=BB6_130 Depth=2
	s_mov_b32 s29, 0
	s_and_saveexec_b32 s40, s13
	s_xor_b32 s13, exec_lo, s40
	s_cbranch_execz .LBB6_2864
; %bb.2076:                             ;   in Loop: Header=BB6_130 Depth=2
	s_mov_b32 s29, -1
	s_mov_b32 s40, exec_lo
	v_cmpx_eq_u16_e32 0x80, v119
; %bb.2077:                             ;   in Loop: Header=BB6_130 Depth=2
	s_xor_b32 s29, exec_lo, -1
; %bb.2078:                             ;   in Loop: Header=BB6_130 Depth=2
	s_or_b32 exec_lo, exec_lo, s40
	s_and_b32 s29, s29, exec_lo
	s_or_saveexec_b32 s13, s13
	v_mov_b32_e32 v40, 0x7f800001
	s_xor_b32 exec_lo, exec_lo, s13
	s_cbranch_execnz .LBB6_2865
.LBB6_2079:                             ;   in Loop: Header=BB6_130 Depth=2
	s_or_b32 exec_lo, exec_lo, s13
	s_and_saveexec_b32 s13, s29
	s_cbranch_execz .LBB6_2081
.LBB6_2080:                             ;   in Loop: Header=BB6_130 Depth=2
	v_bfe_u32 v2, v15, 16, 2
	v_bfe_u32 v3, v15, 18, 5
	v_ffbh_u32_e32 v30, v2
	v_cmp_eq_u32_e32 vcc_lo, 0, v3
	v_min_u32_e32 v30, 32, v30
	v_subrev_nc_u32_e32 v40, 29, v30
	v_sub_nc_u32_e32 v30, 30, v30
	v_lshlrev_b32_sdwa v40, v40, v15 dst_sel:DWORD dst_unused:UNUSED_PAD src0_sel:DWORD src1_sel:WORD_1
	v_cndmask_b32_e32 v3, v3, v30, vcc_lo
	v_lshlrev_b32_sdwa v30, v61, v15 dst_sel:DWORD dst_unused:UNUSED_PAD src0_sel:DWORD src1_sel:WORD_1
	v_and_b32_e32 v40, 3, v40
	v_lshl_add_u32 v3, v3, 23, 0x37800000
	v_and_b32_e32 v30, 0x80000000, v30
	v_cndmask_b32_e32 v2, v2, v40, vcc_lo
	v_lshlrev_b32_e32 v2, 21, v2
	v_or3_b32 v40, v30, v3, v2
.LBB6_2081:                             ;   in Loop: Header=BB6_130 Depth=2
	s_or_b32 exec_lo, exec_lo, s13
	v_and_b32_sdwa v3, v11, v60 dst_sel:DWORD dst_unused:UNUSED_PAD src0_sel:WORD_1 src1_sel:DWORD
	s_mov_b32 s29, 0
	s_mov_b32 s13, exec_lo
	v_cmpx_lt_i16_e32 0x7f, v3
	s_xor_b32 s13, exec_lo, s13
	s_cbranch_execz .LBB6_2866
; %bb.2082:                             ;   in Loop: Header=BB6_130 Depth=2
	s_mov_b32 s29, -1
	s_mov_b32 s40, exec_lo
	v_cmpx_eq_u16_e32 0x80, v3
; %bb.2083:                             ;   in Loop: Header=BB6_130 Depth=2
	s_xor_b32 s29, exec_lo, -1
; %bb.2084:                             ;   in Loop: Header=BB6_130 Depth=2
	s_or_b32 exec_lo, exec_lo, s40
	s_and_b32 s29, s29, exec_lo
                                        ; implicit-def: $vgpr3
	s_or_saveexec_b32 s13, s13
	v_mov_b32_e32 v2, 0x7f800001
	s_xor_b32 exec_lo, exec_lo, s13
	s_cbranch_execnz .LBB6_2867
.LBB6_2085:                             ;   in Loop: Header=BB6_130 Depth=2
	s_or_b32 exec_lo, exec_lo, s13
	s_and_saveexec_b32 s13, s29
	s_cbranch_execz .LBB6_2087
.LBB6_2086:                             ;   in Loop: Header=BB6_130 Depth=2
	v_bfe_u32 v2, v11, 16, 2
	v_bfe_u32 v3, v11, 18, 5
	v_ffbh_u32_e32 v30, v2
	v_cmp_eq_u32_e32 vcc_lo, 0, v3
	v_min_u32_e32 v30, 32, v30
	v_subrev_nc_u32_e32 v42, 29, v30
	v_sub_nc_u32_e32 v30, 30, v30
	v_lshlrev_b32_sdwa v42, v42, v11 dst_sel:DWORD dst_unused:UNUSED_PAD src0_sel:DWORD src1_sel:WORD_1
	v_cndmask_b32_e32 v3, v3, v30, vcc_lo
	v_lshlrev_b32_sdwa v30, v61, v11 dst_sel:DWORD dst_unused:UNUSED_PAD src0_sel:DWORD src1_sel:WORD_1
	v_and_b32_e32 v42, 3, v42
	v_lshl_add_u32 v3, v3, 23, 0x37800000
	v_and_b32_e32 v30, 0x80000000, v30
	v_cndmask_b32_e32 v2, v2, v42, vcc_lo
	v_lshlrev_b32_e32 v2, 21, v2
	v_or3_b32 v2, v30, v3, v2
.LBB6_2087:                             ;   in Loop: Header=BB6_130 Depth=2
	s_or_b32 exec_lo, exec_lo, s13
	v_max_f32_e32 v2, v2, v2
	v_max_f32_e32 v3, v40, v40
	s_mov_b32 s29, 0
	v_max_f32_e32 v124, v3, v2
.LBB6_2088:                             ;   in Loop: Header=BB6_130 Depth=2
	s_and_b32 vcc_lo, exec_lo, s29
	s_cbranch_vccz .LBB6_2102
; %bb.2089:                             ;   in Loop: Header=BB6_130 Depth=2
	s_mov_b32 s29, 0
	s_mov_b32 s13, exec_lo
	v_cmpx_lt_i16_e32 0x7f, v119
	s_xor_b32 s13, exec_lo, s13
	s_cbranch_execz .LBB6_2868
; %bb.2090:                             ;   in Loop: Header=BB6_130 Depth=2
	s_mov_b32 s29, -1
	s_mov_b32 s40, exec_lo
	v_cmpx_eq_u16_e32 0x80, v119
; %bb.2091:                             ;   in Loop: Header=BB6_130 Depth=2
	s_xor_b32 s29, exec_lo, -1
; %bb.2092:                             ;   in Loop: Header=BB6_130 Depth=2
	s_or_b32 exec_lo, exec_lo, s40
	s_and_b32 s29, s29, exec_lo
                                        ; implicit-def: $vgpr119
	s_or_saveexec_b32 s13, s13
	v_mov_b32_e32 v40, 0x7f800001
	s_xor_b32 exec_lo, exec_lo, s13
	s_cbranch_execnz .LBB6_2869
.LBB6_2093:                             ;   in Loop: Header=BB6_130 Depth=2
	s_or_b32 exec_lo, exec_lo, s13
	s_and_saveexec_b32 s13, s29
	s_cbranch_execz .LBB6_2095
.LBB6_2094:                             ;   in Loop: Header=BB6_130 Depth=2
	v_bfe_u32 v2, v15, 16, 2
	v_bfe_u32 v3, v15, 18, 5
	v_ffbh_u32_e32 v30, v2
	v_cmp_eq_u32_e32 vcc_lo, 0, v3
	v_min_u32_e32 v30, 32, v30
	v_subrev_nc_u32_e32 v119, 29, v30
	v_sub_nc_u32_e32 v30, 30, v30
	v_lshlrev_b32_sdwa v119, v119, v15 dst_sel:DWORD dst_unused:UNUSED_PAD src0_sel:DWORD src1_sel:WORD_1
	v_cndmask_b32_e32 v3, v3, v30, vcc_lo
	v_lshlrev_b32_sdwa v30, v61, v15 dst_sel:DWORD dst_unused:UNUSED_PAD src0_sel:DWORD src1_sel:WORD_1
	v_and_b32_e32 v119, 3, v119
	v_lshl_add_u32 v3, v3, 23, 0x37800000
	v_and_b32_e32 v30, 0x80000000, v30
	v_cndmask_b32_e32 v2, v2, v119, vcc_lo
	v_lshlrev_b32_e32 v2, 21, v2
	v_or3_b32 v40, v30, v3, v2
.LBB6_2095:                             ;   in Loop: Header=BB6_130 Depth=2
	s_or_b32 exec_lo, exec_lo, s13
	v_and_b32_sdwa v3, v11, v60 dst_sel:DWORD dst_unused:UNUSED_PAD src0_sel:WORD_1 src1_sel:DWORD
	s_mov_b32 s29, 0
	s_mov_b32 s13, exec_lo
	v_cmpx_lt_i16_e32 0x7f, v3
	s_xor_b32 s13, exec_lo, s13
	s_cbranch_execz .LBB6_2870
; %bb.2096:                             ;   in Loop: Header=BB6_130 Depth=2
	s_mov_b32 s29, -1
	s_mov_b32 s40, exec_lo
	v_cmpx_eq_u16_e32 0x80, v3
; %bb.2097:                             ;   in Loop: Header=BB6_130 Depth=2
	s_xor_b32 s29, exec_lo, -1
; %bb.2098:                             ;   in Loop: Header=BB6_130 Depth=2
	s_or_b32 exec_lo, exec_lo, s40
	s_and_b32 s29, s29, exec_lo
                                        ; implicit-def: $vgpr3
	s_or_saveexec_b32 s13, s13
	v_mov_b32_e32 v2, 0x7f800001
	s_xor_b32 exec_lo, exec_lo, s13
	s_cbranch_execnz .LBB6_2871
.LBB6_2099:                             ;   in Loop: Header=BB6_130 Depth=2
	s_or_b32 exec_lo, exec_lo, s13
	s_and_saveexec_b32 s13, s29
	s_cbranch_execz .LBB6_2101
.LBB6_2100:                             ;   in Loop: Header=BB6_130 Depth=2
	v_bfe_u32 v2, v11, 16, 2
	v_bfe_u32 v3, v11, 18, 5
	v_ffbh_u32_e32 v30, v2
	v_cmp_eq_u32_e32 vcc_lo, 0, v3
	v_min_u32_e32 v30, 32, v30
	v_subrev_nc_u32_e32 v119, 29, v30
	v_sub_nc_u32_e32 v30, 30, v30
	v_lshlrev_b32_sdwa v119, v119, v11 dst_sel:DWORD dst_unused:UNUSED_PAD src0_sel:DWORD src1_sel:WORD_1
	v_cndmask_b32_e32 v3, v3, v30, vcc_lo
	v_lshlrev_b32_sdwa v30, v61, v11 dst_sel:DWORD dst_unused:UNUSED_PAD src0_sel:DWORD src1_sel:WORD_1
	v_and_b32_e32 v119, 3, v119
	v_lshl_add_u32 v3, v3, 23, 0x37800000
	v_and_b32_e32 v30, 0x80000000, v30
	v_cndmask_b32_e32 v2, v2, v119, vcc_lo
	v_lshlrev_b32_e32 v2, 21, v2
	v_or3_b32 v2, v30, v3, v2
.LBB6_2101:                             ;   in Loop: Header=BB6_130 Depth=2
	s_or_b32 exec_lo, exec_lo, s13
	v_max_f32_e32 v2, v2, v2
	v_max_f32_e32 v3, v40, v40
	v_min_f32_e32 v124, v3, v2
.LBB6_2102:                             ;   in Loop: Header=BB6_130 Depth=2
	v_and_b32_e32 v2, 0x7f800000, v124
	v_mov_b32_e32 v123, 0x80
	s_mov_b32 s29, exec_lo
	v_cmpx_ne_u32_e32 0x7f800000, v2
	s_cbranch_execz .LBB6_2110
; %bb.2103:                             ;   in Loop: Header=BB6_130 Depth=2
	v_mov_b32_e32 v123, 0
	s_mov_b32 s40, exec_lo
	v_cmpx_ne_u32_e32 0, v124
	s_cbranch_execz .LBB6_2109
; %bb.2104:                             ;   in Loop: Header=BB6_130 Depth=2
	v_bfe_u32 v3, v124, 23, 8
	v_and_b32_e32 v2, 0x7fffff, v124
                                        ; implicit-def: $vgpr42
	v_cmp_gt_u32_e64 s13, 0x71, v3
	v_sub_nc_u32_e32 v30, 0x70, v3
	v_cmp_eq_u32_e32 vcc_lo, 0, v3
	v_or_b32_e32 v119, 0x800000, v2
	v_add_nc_u32_e32 v3, 0xffffff91, v3
	v_cndmask_b32_e64 v30, 0, v30, s13
	v_cndmask_b32_e32 v2, v119, v2, vcc_lo
	v_cndmask_b32_e64 v3, v3, 0xffffff92, vcc_lo
	v_cndmask_b32_e64 v30, v30, 0x6f, vcc_lo
	v_lshl_add_u32 v119, 0x200000, v30, -1
	v_lshlrev_b32_e64 v40, v30, 0x100000
	v_and_b32_e32 v119, v119, v2
	v_lshrrev_b32_e32 v2, v30, v2
	v_cmp_eq_u32_e64 s13, v119, v40
	v_add_nc_u32_e32 v119, v30, v3
	v_lshrrev_b32_e32 v3, 23, v2
	v_xor_b32_e32 v40, 1, v3
	v_bfe_u32 v3, v2, 21, 1
	v_add_nc_u32_e32 v3, -1, v3
	v_cndmask_b32_e64 v3, 0, v3, s13
	s_mov_b32 s13, exec_lo
	v_add_nc_u32_e32 v3, v3, v2
	v_and_b32_e32 v3, 0x1fffff, v3
	v_add_nc_u32_e32 v30, v3, v2
	v_cmpx_ne_u32_e64 v119, v40
	s_xor_b32 s13, exec_lo, s13
; %bb.2105:                             ;   in Loop: Header=BB6_130 Depth=2
	v_cmp_lt_u32_e32 vcc_lo, 0xffffff, v30
	v_sub_nc_u32_e32 v2, v119, v40
	v_cndmask_b32_e64 v3, 0, 1, vcc_lo
	v_add_co_ci_u32_e64 v42, null, 0, v2, vcc_lo
	v_lshrrev_b32_e32 v30, v3, v30
; %bb.2106:                             ;   in Loop: Header=BB6_130 Depth=2
	s_andn2_saveexec_b32 s13, s13
; %bb.2107:                             ;   in Loop: Header=BB6_130 Depth=2
	v_bfe_u32 v42, v30, 23, 1
; %bb.2108:                             ;   in Loop: Header=BB6_130 Depth=2
	s_or_b32 exec_lo, exec_lo, s13
	v_lshrrev_b32_e32 v3, 21, v30
	v_min_i32_e32 v30, 31, v42
	v_cmp_gt_i32_e32 vcc_lo, 32, v42
	v_and_b32_sdwa v2, v124, v58 dst_sel:DWORD dst_unused:UNUSED_PAD src0_sel:BYTE_3 src1_sel:DWORD
	v_lshlrev_b32_e32 v30, 2, v30
	v_cndmask_b32_e32 v3, 3, v3, vcc_lo
	v_and_b32_e32 v30, 0xfc, v30
	v_or_b32_e32 v119, v42, v3
	v_and_b32_e32 v3, 3, v3
	v_cmp_ne_u32_e32 vcc_lo, 0, v119
	v_or3_b32 v2, v30, v2, v3
	v_cndmask_b32_e32 v123, 0, v2, vcc_lo
.LBB6_2109:                             ;   in Loop: Header=BB6_130 Depth=2
	s_or_b32 exec_lo, exec_lo, s40
.LBB6_2110:                             ;   in Loop: Header=BB6_130 Depth=2
	s_or_b32 exec_lo, exec_lo, s29
	v_cmp_gt_i16_sdwa s29, v15, v57 src0_sel:BYTE_3 src1_sel:DWORD
	s_andn2_b32 vcc_lo, exec_lo, s28
	s_mov_b32 s13, -1
                                        ; implicit-def: $vgpr119
	s_cbranch_vccnz .LBB6_2124
; %bb.2111:                             ;   in Loop: Header=BB6_130 Depth=2
	s_mov_b32 s13, 0
	s_and_saveexec_b32 s40, s29
	s_xor_b32 s29, exec_lo, s40
	s_cbranch_execz .LBB6_2872
; %bb.2112:                             ;   in Loop: Header=BB6_130 Depth=2
	v_cmp_eq_u16_sdwa s41, v15, v58 src0_sel:BYTE_3 src1_sel:DWORD
	s_mov_b32 s13, -1
	s_and_saveexec_b32 s40, s41
; %bb.2113:                             ;   in Loop: Header=BB6_130 Depth=2
	s_xor_b32 s13, exec_lo, -1
; %bb.2114:                             ;   in Loop: Header=BB6_130 Depth=2
	s_or_b32 exec_lo, exec_lo, s40
	s_and_b32 s13, s13, exec_lo
	s_or_saveexec_b32 s29, s29
	v_mov_b32_e32 v119, 0x7f800001
	s_xor_b32 exec_lo, exec_lo, s29
	s_cbranch_execnz .LBB6_2873
.LBB6_2115:                             ;   in Loop: Header=BB6_130 Depth=2
	s_or_b32 exec_lo, exec_lo, s29
	s_and_saveexec_b32 s29, s13
	s_cbranch_execz .LBB6_2117
.LBB6_2116:                             ;   in Loop: Header=BB6_130 Depth=2
	v_bfe_u32 v2, v15, 24, 2
	v_bfe_u32 v119, v15, 26, 5
	v_ffbh_u32_e32 v3, v2
	v_cmp_eq_u32_e32 vcc_lo, 0, v119
	v_min_u32_e32 v3, 32, v3
	v_subrev_nc_u32_e32 v30, 29, v3
	v_sub_nc_u32_e32 v3, 30, v3
	v_lshlrev_b32_sdwa v30, v30, v15 dst_sel:DWORD dst_unused:UNUSED_PAD src0_sel:DWORD src1_sel:BYTE_3
	v_cndmask_b32_e32 v3, v119, v3, vcc_lo
	v_and_b32_e32 v30, 3, v30
	v_lshl_add_u32 v3, v3, 23, 0x37800000
	v_cndmask_b32_e32 v2, v2, v30, vcc_lo
	v_and_b32_e32 v30, 0x80000000, v15
	v_lshlrev_b32_e32 v2, 21, v2
	v_or3_b32 v119, v30, v3, v2
.LBB6_2117:                             ;   in Loop: Header=BB6_130 Depth=2
	s_or_b32 exec_lo, exec_lo, s29
	v_cmp_gt_i16_sdwa s29, v11, v57 src0_sel:BYTE_3 src1_sel:DWORD
	s_mov_b32 s13, 0
	s_and_saveexec_b32 s40, s29
	s_xor_b32 s29, exec_lo, s40
	s_cbranch_execz .LBB6_2874
; %bb.2118:                             ;   in Loop: Header=BB6_130 Depth=2
	v_cmp_eq_u16_sdwa s41, v11, v58 src0_sel:BYTE_3 src1_sel:DWORD
	s_mov_b32 s13, -1
	s_and_saveexec_b32 s40, s41
; %bb.2119:                             ;   in Loop: Header=BB6_130 Depth=2
	s_xor_b32 s13, exec_lo, -1
; %bb.2120:                             ;   in Loop: Header=BB6_130 Depth=2
	s_or_b32 exec_lo, exec_lo, s40
	s_and_b32 s13, s13, exec_lo
	s_or_saveexec_b32 s29, s29
	v_mov_b32_e32 v2, 0x7f800001
	s_xor_b32 exec_lo, exec_lo, s29
	s_cbranch_execnz .LBB6_2875
.LBB6_2121:                             ;   in Loop: Header=BB6_130 Depth=2
	s_or_b32 exec_lo, exec_lo, s29
	s_and_saveexec_b32 s29, s13
	s_cbranch_execz .LBB6_2123
.LBB6_2122:                             ;   in Loop: Header=BB6_130 Depth=2
	v_bfe_u32 v2, v11, 24, 2
	v_bfe_u32 v40, v11, 26, 5
	v_ffbh_u32_e32 v3, v2
	v_cmp_eq_u32_e32 vcc_lo, 0, v40
	v_min_u32_e32 v3, 32, v3
	v_subrev_nc_u32_e32 v30, 29, v3
	v_sub_nc_u32_e32 v3, 30, v3
	v_lshlrev_b32_sdwa v30, v30, v11 dst_sel:DWORD dst_unused:UNUSED_PAD src0_sel:DWORD src1_sel:BYTE_3
	v_cndmask_b32_e32 v3, v40, v3, vcc_lo
	v_and_b32_e32 v30, 3, v30
	v_lshl_add_u32 v3, v3, 23, 0x37800000
	v_cndmask_b32_e32 v2, v2, v30, vcc_lo
	v_and_b32_e32 v30, 0x80000000, v11
	v_lshlrev_b32_e32 v2, 21, v2
	v_or3_b32 v2, v30, v3, v2
.LBB6_2123:                             ;   in Loop: Header=BB6_130 Depth=2
	s_or_b32 exec_lo, exec_lo, s29
	v_max_f32_e32 v2, v2, v2
	v_max_f32_e32 v3, v119, v119
	s_mov_b32 s13, 0
	v_max_f32_e32 v119, v3, v2
.LBB6_2124:                             ;   in Loop: Header=BB6_130 Depth=2
	s_and_b32 vcc_lo, exec_lo, s13
	s_cbranch_vccz .LBB6_2138
; %bb.2125:                             ;   in Loop: Header=BB6_130 Depth=2
	v_cmp_gt_i16_sdwa s29, v15, v57 src0_sel:BYTE_3 src1_sel:DWORD
	s_mov_b32 s13, 0
	s_and_saveexec_b32 s40, s29
	s_xor_b32 s29, exec_lo, s40
	s_cbranch_execz .LBB6_2876
; %bb.2126:                             ;   in Loop: Header=BB6_130 Depth=2
	v_cmp_eq_u16_sdwa s41, v15, v58 src0_sel:BYTE_3 src1_sel:DWORD
	s_mov_b32 s13, -1
	s_and_saveexec_b32 s40, s41
; %bb.2127:                             ;   in Loop: Header=BB6_130 Depth=2
	s_xor_b32 s13, exec_lo, -1
; %bb.2128:                             ;   in Loop: Header=BB6_130 Depth=2
	s_or_b32 exec_lo, exec_lo, s40
	s_and_b32 s13, s13, exec_lo
	s_or_saveexec_b32 s29, s29
	v_mov_b32_e32 v119, 0x7f800001
	s_xor_b32 exec_lo, exec_lo, s29
	s_cbranch_execnz .LBB6_2877
.LBB6_2129:                             ;   in Loop: Header=BB6_130 Depth=2
	s_or_b32 exec_lo, exec_lo, s29
	s_and_saveexec_b32 s29, s13
	s_cbranch_execz .LBB6_2131
.LBB6_2130:                             ;   in Loop: Header=BB6_130 Depth=2
	v_bfe_u32 v2, v15, 24, 2
	v_bfe_u32 v119, v15, 26, 5
	v_ffbh_u32_e32 v3, v2
	v_cmp_eq_u32_e32 vcc_lo, 0, v119
	v_min_u32_e32 v3, 32, v3
	v_subrev_nc_u32_e32 v30, 29, v3
	v_sub_nc_u32_e32 v3, 30, v3
	v_lshlrev_b32_sdwa v30, v30, v15 dst_sel:DWORD dst_unused:UNUSED_PAD src0_sel:DWORD src1_sel:BYTE_3
	v_cndmask_b32_e32 v3, v119, v3, vcc_lo
	v_and_b32_e32 v15, 0x80000000, v15
	v_and_b32_e32 v30, 3, v30
	v_lshl_add_u32 v3, v3, 23, 0x37800000
	v_cndmask_b32_e32 v2, v2, v30, vcc_lo
	v_lshlrev_b32_e32 v2, 21, v2
	v_or3_b32 v119, v15, v3, v2
.LBB6_2131:                             ;   in Loop: Header=BB6_130 Depth=2
	s_or_b32 exec_lo, exec_lo, s29
	v_cmp_gt_i16_sdwa s29, v11, v57 src0_sel:BYTE_3 src1_sel:DWORD
	s_mov_b32 s13, 0
	s_and_saveexec_b32 s40, s29
	s_xor_b32 s29, exec_lo, s40
	s_cbranch_execz .LBB6_2878
; %bb.2132:                             ;   in Loop: Header=BB6_130 Depth=2
	v_cmp_eq_u16_sdwa s41, v11, v58 src0_sel:BYTE_3 src1_sel:DWORD
	s_mov_b32 s13, -1
	s_and_saveexec_b32 s40, s41
; %bb.2133:                             ;   in Loop: Header=BB6_130 Depth=2
	s_xor_b32 s13, exec_lo, -1
; %bb.2134:                             ;   in Loop: Header=BB6_130 Depth=2
	s_or_b32 exec_lo, exec_lo, s40
	s_and_b32 s13, s13, exec_lo
	s_or_saveexec_b32 s29, s29
	v_mov_b32_e32 v2, 0x7f800001
	s_xor_b32 exec_lo, exec_lo, s29
	s_cbranch_execnz .LBB6_2879
.LBB6_2135:                             ;   in Loop: Header=BB6_130 Depth=2
	s_or_b32 exec_lo, exec_lo, s29
	s_and_saveexec_b32 s29, s13
	s_cbranch_execz .LBB6_2137
.LBB6_2136:                             ;   in Loop: Header=BB6_130 Depth=2
	v_bfe_u32 v2, v11, 24, 2
	v_bfe_u32 v30, v11, 26, 5
	v_ffbh_u32_e32 v3, v2
	v_cmp_eq_u32_e32 vcc_lo, 0, v30
	v_min_u32_e32 v3, 32, v3
	v_subrev_nc_u32_e32 v15, 29, v3
	v_sub_nc_u32_e32 v3, 30, v3
	v_lshlrev_b32_sdwa v15, v15, v11 dst_sel:DWORD dst_unused:UNUSED_PAD src0_sel:DWORD src1_sel:BYTE_3
	v_cndmask_b32_e32 v3, v30, v3, vcc_lo
	v_and_b32_e32 v11, 0x80000000, v11
	v_and_b32_e32 v15, 3, v15
	v_lshl_add_u32 v3, v3, 23, 0x37800000
	v_cndmask_b32_e32 v2, v2, v15, vcc_lo
	v_lshlrev_b32_e32 v2, 21, v2
	v_or3_b32 v2, v11, v3, v2
.LBB6_2137:                             ;   in Loop: Header=BB6_130 Depth=2
	s_or_b32 exec_lo, exec_lo, s29
	v_max_f32_e32 v2, v2, v2
	v_max_f32_e32 v3, v119, v119
	v_min_f32_e32 v119, v3, v2
.LBB6_2138:                             ;   in Loop: Header=BB6_130 Depth=2
	v_and_b32_e32 v2, 0x7f800000, v119
	v_mov_b32_e32 v11, 0x8000
	s_mov_b32 s29, exec_lo
	v_cmpx_ne_u32_e32 0x7f800000, v2
	s_cbranch_execz .LBB6_2146
; %bb.2139:                             ;   in Loop: Header=BB6_130 Depth=2
	v_mov_b32_e32 v11, 0
	s_mov_b32 s40, exec_lo
	v_cmpx_ne_u32_e32 0, v119
	s_cbranch_execz .LBB6_2145
; %bb.2140:                             ;   in Loop: Header=BB6_130 Depth=2
	v_bfe_u32 v3, v119, 23, 8
	v_and_b32_e32 v2, 0x7fffff, v119
                                        ; implicit-def: $vgpr40
	v_cmp_gt_u32_e64 s13, 0x71, v3
	v_sub_nc_u32_e32 v11, 0x70, v3
	v_cmp_eq_u32_e32 vcc_lo, 0, v3
	v_or_b32_e32 v15, 0x800000, v2
	v_add_nc_u32_e32 v3, 0xffffff91, v3
	v_cndmask_b32_e64 v11, 0, v11, s13
	v_cndmask_b32_e32 v2, v15, v2, vcc_lo
	v_cndmask_b32_e64 v3, v3, 0xffffff92, vcc_lo
	v_cndmask_b32_e64 v11, v11, 0x6f, vcc_lo
	v_lshl_add_u32 v15, 0x200000, v11, -1
	v_lshlrev_b32_e64 v30, v11, 0x100000
	v_and_b32_e32 v15, v15, v2
	v_lshrrev_b32_e32 v2, v11, v2
	v_add_nc_u32_e32 v11, v11, v3
	v_cmp_eq_u32_e64 s13, v15, v30
	v_lshrrev_b32_e32 v3, 23, v2
	v_xor_b32_e32 v15, 1, v3
	v_bfe_u32 v3, v2, 21, 1
	v_add_nc_u32_e32 v3, -1, v3
	v_cndmask_b32_e64 v3, 0, v3, s13
	s_mov_b32 s13, exec_lo
	v_add_nc_u32_e32 v3, v3, v2
	v_and_b32_e32 v3, 0x1fffff, v3
	v_add_nc_u32_e32 v30, v3, v2
	v_cmpx_ne_u32_e64 v11, v15
	s_xor_b32 s13, exec_lo, s13
; %bb.2141:                             ;   in Loop: Header=BB6_130 Depth=2
	v_cmp_lt_u32_e32 vcc_lo, 0xffffff, v30
	v_sub_nc_u32_e32 v2, v11, v15
	v_cndmask_b32_e64 v3, 0, 1, vcc_lo
	v_add_co_ci_u32_e64 v40, null, 0, v2, vcc_lo
	v_lshrrev_b32_e32 v30, v3, v30
; %bb.2142:                             ;   in Loop: Header=BB6_130 Depth=2
	s_andn2_saveexec_b32 s13, s13
; %bb.2143:                             ;   in Loop: Header=BB6_130 Depth=2
	v_bfe_u32 v40, v30, 23, 1
; %bb.2144:                             ;   in Loop: Header=BB6_130 Depth=2
	s_or_b32 exec_lo, exec_lo, s13
	v_lshrrev_b32_e32 v3, 21, v30
	v_min_i32_e32 v11, 31, v40
	v_cmp_gt_i32_e32 vcc_lo, 32, v40
	v_and_b32_sdwa v2, v119, v58 dst_sel:DWORD dst_unused:UNUSED_PAD src0_sel:BYTE_3 src1_sel:DWORD
	v_lshlrev_b32_e32 v11, 2, v11
	v_cndmask_b32_e32 v3, 3, v3, vcc_lo
	v_and_b32_e32 v11, 0xfc, v11
	v_or_b32_e32 v15, v40, v3
	v_and_b32_e32 v3, 3, v3
	v_cmp_ne_u32_e32 vcc_lo, 0, v15
	v_or3_b32 v2, v2, v11, v3
	v_lshlrev_b32_e32 v2, 8, v2
	v_cndmask_b32_e32 v11, 0, v2, vcc_lo
.LBB6_2145:                             ;   in Loop: Header=BB6_130 Depth=2
	s_or_b32 exec_lo, exec_lo, s40
.LBB6_2146:                             ;   in Loop: Header=BB6_130 Depth=2
	s_or_b32 exec_lo, exec_lo, s29
	v_cmp_gt_i16_sdwa s40, v16, v57 src0_sel:BYTE_0 src1_sel:DWORD
	s_andn2_b32 vcc_lo, exec_lo, s28
	s_mov_b32 s13, -1
                                        ; implicit-def: $vgpr119
	s_cbranch_vccnz .LBB6_2160
; %bb.2147:                             ;   in Loop: Header=BB6_130 Depth=2
	s_mov_b32 s29, 0
	s_and_saveexec_b32 s13, s40
	s_xor_b32 s13, exec_lo, s13
	s_cbranch_execz .LBB6_2880
; %bb.2148:                             ;   in Loop: Header=BB6_130 Depth=2
	v_cmp_eq_u16_sdwa s41, v16, v58 src0_sel:BYTE_0 src1_sel:DWORD
	s_mov_b32 s29, -1
	s_and_saveexec_b32 s40, s41
; %bb.2149:                             ;   in Loop: Header=BB6_130 Depth=2
	s_xor_b32 s29, exec_lo, -1
; %bb.2150:                             ;   in Loop: Header=BB6_130 Depth=2
	s_or_b32 exec_lo, exec_lo, s40
	s_and_b32 s29, s29, exec_lo
	s_or_saveexec_b32 s13, s13
	v_mov_b32_e32 v15, 0x7f800001
	s_xor_b32 exec_lo, exec_lo, s13
	s_cbranch_execnz .LBB6_2881
.LBB6_2151:                             ;   in Loop: Header=BB6_130 Depth=2
	s_or_b32 exec_lo, exec_lo, s13
	s_and_saveexec_b32 s13, s29
	s_cbranch_execz .LBB6_2153
.LBB6_2152:                             ;   in Loop: Header=BB6_130 Depth=2
	v_and_b32_e32 v2, 3, v16
	v_bfe_u32 v3, v16, 2, 5
	v_ffbh_u32_e32 v15, v2
	v_cmp_eq_u32_e32 vcc_lo, 0, v3
	v_min_u32_e32 v15, 32, v15
	v_subrev_nc_u32_e32 v30, 29, v15
	v_sub_nc_u32_e32 v15, 30, v15
	v_lshlrev_b32_e32 v30, v30, v16
	v_cndmask_b32_e32 v3, v3, v15, vcc_lo
	v_lshlrev_b32_e32 v15, 24, v16
	v_and_b32_e32 v30, 3, v30
	v_lshl_add_u32 v3, v3, 23, 0x37800000
	v_and_b32_e32 v15, 0x80000000, v15
	v_cndmask_b32_e32 v2, v2, v30, vcc_lo
	v_lshlrev_b32_e32 v2, 21, v2
	v_or3_b32 v15, v15, v3, v2
.LBB6_2153:                             ;   in Loop: Header=BB6_130 Depth=2
	s_or_b32 exec_lo, exec_lo, s13
	v_cmp_gt_i16_sdwa s13, v12, v57 src0_sel:BYTE_0 src1_sel:DWORD
	s_mov_b32 s29, 0
	s_and_saveexec_b32 s40, s13
	s_xor_b32 s13, exec_lo, s40
	s_cbranch_execz .LBB6_2882
; %bb.2154:                             ;   in Loop: Header=BB6_130 Depth=2
	v_cmp_eq_u16_sdwa s41, v12, v58 src0_sel:BYTE_0 src1_sel:DWORD
	s_mov_b32 s29, -1
	s_and_saveexec_b32 s40, s41
; %bb.2155:                             ;   in Loop: Header=BB6_130 Depth=2
	s_xor_b32 s29, exec_lo, -1
; %bb.2156:                             ;   in Loop: Header=BB6_130 Depth=2
	s_or_b32 exec_lo, exec_lo, s40
	s_and_b32 s29, s29, exec_lo
	s_or_saveexec_b32 s13, s13
	v_mov_b32_e32 v2, 0x7f800001
	s_xor_b32 exec_lo, exec_lo, s13
	s_cbranch_execnz .LBB6_2883
.LBB6_2157:                             ;   in Loop: Header=BB6_130 Depth=2
	s_or_b32 exec_lo, exec_lo, s13
	s_and_saveexec_b32 s13, s29
	s_cbranch_execz .LBB6_2159
.LBB6_2158:                             ;   in Loop: Header=BB6_130 Depth=2
	v_and_b32_e32 v2, 3, v12
	v_bfe_u32 v3, v12, 2, 5
	v_ffbh_u32_e32 v30, v2
	v_cmp_eq_u32_e32 vcc_lo, 0, v3
	v_min_u32_e32 v30, 32, v30
	v_subrev_nc_u32_e32 v119, 29, v30
	v_sub_nc_u32_e32 v30, 30, v30
	v_lshlrev_b32_e32 v119, v119, v12
	v_cndmask_b32_e32 v3, v3, v30, vcc_lo
	v_lshlrev_b32_e32 v30, 24, v12
	v_and_b32_e32 v119, 3, v119
	v_lshl_add_u32 v3, v3, 23, 0x37800000
	v_and_b32_e32 v30, 0x80000000, v30
	v_cndmask_b32_e32 v2, v2, v119, vcc_lo
	v_lshlrev_b32_e32 v2, 21, v2
	v_or3_b32 v2, v30, v3, v2
.LBB6_2159:                             ;   in Loop: Header=BB6_130 Depth=2
	s_or_b32 exec_lo, exec_lo, s13
	v_max_f32_e32 v2, v2, v2
	v_max_f32_e32 v3, v15, v15
	s_mov_b32 s13, 0
	v_max_f32_e32 v119, v3, v2
.LBB6_2160:                             ;   in Loop: Header=BB6_130 Depth=2
	s_and_b32 vcc_lo, exec_lo, s13
	s_cbranch_vccz .LBB6_2174
; %bb.2161:                             ;   in Loop: Header=BB6_130 Depth=2
	v_cmp_gt_i16_sdwa s13, v16, v57 src0_sel:BYTE_0 src1_sel:DWORD
	s_mov_b32 s29, 0
	s_and_saveexec_b32 s40, s13
	s_xor_b32 s13, exec_lo, s40
	s_cbranch_execz .LBB6_2884
; %bb.2162:                             ;   in Loop: Header=BB6_130 Depth=2
	v_cmp_eq_u16_sdwa s41, v16, v58 src0_sel:BYTE_0 src1_sel:DWORD
	s_mov_b32 s29, -1
	s_and_saveexec_b32 s40, s41
; %bb.2163:                             ;   in Loop: Header=BB6_130 Depth=2
	s_xor_b32 s29, exec_lo, -1
; %bb.2164:                             ;   in Loop: Header=BB6_130 Depth=2
	s_or_b32 exec_lo, exec_lo, s40
	s_and_b32 s29, s29, exec_lo
	s_or_saveexec_b32 s13, s13
	v_mov_b32_e32 v15, 0x7f800001
	s_xor_b32 exec_lo, exec_lo, s13
	s_cbranch_execnz .LBB6_2885
.LBB6_2165:                             ;   in Loop: Header=BB6_130 Depth=2
	s_or_b32 exec_lo, exec_lo, s13
	s_and_saveexec_b32 s13, s29
	s_cbranch_execz .LBB6_2167
.LBB6_2166:                             ;   in Loop: Header=BB6_130 Depth=2
	v_and_b32_e32 v2, 3, v16
	v_bfe_u32 v3, v16, 2, 5
	v_ffbh_u32_e32 v15, v2
	v_cmp_eq_u32_e32 vcc_lo, 0, v3
	v_min_u32_e32 v15, 32, v15
	v_subrev_nc_u32_e32 v30, 29, v15
	v_sub_nc_u32_e32 v15, 30, v15
	v_lshlrev_b32_e32 v30, v30, v16
	v_cndmask_b32_e32 v3, v3, v15, vcc_lo
	v_lshlrev_b32_e32 v15, 24, v16
	v_and_b32_e32 v30, 3, v30
	v_lshl_add_u32 v3, v3, 23, 0x37800000
	v_and_b32_e32 v15, 0x80000000, v15
	v_cndmask_b32_e32 v2, v2, v30, vcc_lo
	v_lshlrev_b32_e32 v2, 21, v2
	v_or3_b32 v15, v15, v3, v2
.LBB6_2167:                             ;   in Loop: Header=BB6_130 Depth=2
	s_or_b32 exec_lo, exec_lo, s13
	v_cmp_gt_i16_sdwa s13, v12, v57 src0_sel:BYTE_0 src1_sel:DWORD
	s_mov_b32 s29, 0
	s_and_saveexec_b32 s40, s13
	s_xor_b32 s13, exec_lo, s40
	s_cbranch_execz .LBB6_2886
; %bb.2168:                             ;   in Loop: Header=BB6_130 Depth=2
	v_cmp_eq_u16_sdwa s41, v12, v58 src0_sel:BYTE_0 src1_sel:DWORD
	s_mov_b32 s29, -1
	s_and_saveexec_b32 s40, s41
; %bb.2169:                             ;   in Loop: Header=BB6_130 Depth=2
	s_xor_b32 s29, exec_lo, -1
; %bb.2170:                             ;   in Loop: Header=BB6_130 Depth=2
	s_or_b32 exec_lo, exec_lo, s40
	s_and_b32 s29, s29, exec_lo
	s_or_saveexec_b32 s13, s13
	v_mov_b32_e32 v2, 0x7f800001
	s_xor_b32 exec_lo, exec_lo, s13
	s_cbranch_execnz .LBB6_2887
.LBB6_2171:                             ;   in Loop: Header=BB6_130 Depth=2
	s_or_b32 exec_lo, exec_lo, s13
	s_and_saveexec_b32 s13, s29
	s_cbranch_execz .LBB6_2173
.LBB6_2172:                             ;   in Loop: Header=BB6_130 Depth=2
	v_and_b32_e32 v2, 3, v12
	v_bfe_u32 v3, v12, 2, 5
	v_ffbh_u32_e32 v30, v2
	v_cmp_eq_u32_e32 vcc_lo, 0, v3
	v_min_u32_e32 v30, 32, v30
	v_subrev_nc_u32_e32 v119, 29, v30
	v_sub_nc_u32_e32 v30, 30, v30
	v_lshlrev_b32_e32 v119, v119, v12
	v_cndmask_b32_e32 v3, v3, v30, vcc_lo
	v_lshlrev_b32_e32 v30, 24, v12
	v_and_b32_e32 v119, 3, v119
	v_lshl_add_u32 v3, v3, 23, 0x37800000
	v_and_b32_e32 v30, 0x80000000, v30
	v_cndmask_b32_e32 v2, v2, v119, vcc_lo
	v_lshlrev_b32_e32 v2, 21, v2
	v_or3_b32 v2, v30, v3, v2
.LBB6_2173:                             ;   in Loop: Header=BB6_130 Depth=2
	s_or_b32 exec_lo, exec_lo, s13
	v_max_f32_e32 v2, v2, v2
	v_max_f32_e32 v3, v15, v15
	v_min_f32_e32 v119, v3, v2
.LBB6_2174:                             ;   in Loop: Header=BB6_130 Depth=2
	v_and_b32_e32 v2, 0x7f800000, v119
	v_mov_b32_e32 v15, 0x80
	s_mov_b32 s29, exec_lo
	v_cmpx_ne_u32_e32 0x7f800000, v2
	s_cbranch_execz .LBB6_2182
; %bb.2175:                             ;   in Loop: Header=BB6_130 Depth=2
	v_mov_b32_e32 v15, 0
	s_mov_b32 s40, exec_lo
	v_cmpx_ne_u32_e32 0, v119
	s_cbranch_execz .LBB6_2181
; %bb.2176:                             ;   in Loop: Header=BB6_130 Depth=2
	v_bfe_u32 v3, v119, 23, 8
	v_and_b32_e32 v2, 0x7fffff, v119
                                        ; implicit-def: $vgpr42
	v_cmp_gt_u32_e64 s13, 0x71, v3
	v_sub_nc_u32_e32 v15, 0x70, v3
	v_cmp_eq_u32_e32 vcc_lo, 0, v3
	v_or_b32_e32 v30, 0x800000, v2
	v_add_nc_u32_e32 v3, 0xffffff91, v3
	v_cndmask_b32_e64 v15, 0, v15, s13
	v_cndmask_b32_e32 v2, v30, v2, vcc_lo
	v_cndmask_b32_e64 v3, v3, 0xffffff92, vcc_lo
	v_cndmask_b32_e64 v15, v15, 0x6f, vcc_lo
	v_lshl_add_u32 v30, 0x200000, v15, -1
	v_lshlrev_b32_e64 v40, v15, 0x100000
	v_and_b32_e32 v30, v30, v2
	v_lshrrev_b32_e32 v2, v15, v2
	v_add_nc_u32_e32 v15, v15, v3
	v_cmp_eq_u32_e64 s13, v30, v40
	v_lshrrev_b32_e32 v3, 23, v2
	v_xor_b32_e32 v40, 1, v3
	v_bfe_u32 v3, v2, 21, 1
	v_add_nc_u32_e32 v3, -1, v3
	v_cndmask_b32_e64 v3, 0, v3, s13
	s_mov_b32 s13, exec_lo
	v_add_nc_u32_e32 v3, v3, v2
	v_and_b32_e32 v3, 0x1fffff, v3
	v_add_nc_u32_e32 v30, v3, v2
	v_cmpx_ne_u32_e64 v15, v40
	s_xor_b32 s13, exec_lo, s13
; %bb.2177:                             ;   in Loop: Header=BB6_130 Depth=2
	v_cmp_lt_u32_e32 vcc_lo, 0xffffff, v30
	v_sub_nc_u32_e32 v2, v15, v40
	v_cndmask_b32_e64 v3, 0, 1, vcc_lo
	v_add_co_ci_u32_e64 v42, null, 0, v2, vcc_lo
	v_lshrrev_b32_e32 v30, v3, v30
; %bb.2178:                             ;   in Loop: Header=BB6_130 Depth=2
	s_andn2_saveexec_b32 s13, s13
; %bb.2179:                             ;   in Loop: Header=BB6_130 Depth=2
	v_bfe_u32 v42, v30, 23, 1
; %bb.2180:                             ;   in Loop: Header=BB6_130 Depth=2
	s_or_b32 exec_lo, exec_lo, s13
	v_lshrrev_b32_e32 v3, 21, v30
	v_min_i32_e32 v15, 31, v42
	v_cmp_gt_i32_e32 vcc_lo, 32, v42
	v_and_b32_sdwa v2, v119, v58 dst_sel:DWORD dst_unused:UNUSED_PAD src0_sel:BYTE_3 src1_sel:DWORD
	v_lshlrev_b32_e32 v15, 2, v15
	v_cndmask_b32_e32 v3, 3, v3, vcc_lo
	v_and_b32_e32 v15, 0xfc, v15
	v_or_b32_e32 v30, v42, v3
	v_and_b32_e32 v3, 3, v3
	v_cmp_ne_u32_e32 vcc_lo, 0, v30
	v_or3_b32 v2, v15, v2, v3
	v_cndmask_b32_e32 v15, 0, v2, vcc_lo
.LBB6_2181:                             ;   in Loop: Header=BB6_130 Depth=2
	s_or_b32 exec_lo, exec_lo, s40
.LBB6_2182:                             ;   in Loop: Header=BB6_130 Depth=2
	s_or_b32 exec_lo, exec_lo, s29
	v_cmp_gt_i16_sdwa s29, v16, v57 src0_sel:BYTE_1 src1_sel:DWORD
	s_andn2_b32 vcc_lo, exec_lo, s28
	s_mov_b32 s13, -1
                                        ; implicit-def: $vgpr119
	s_cbranch_vccnz .LBB6_2196
; %bb.2183:                             ;   in Loop: Header=BB6_130 Depth=2
	s_mov_b32 s13, 0
	s_and_saveexec_b32 s40, s29
	s_xor_b32 s29, exec_lo, s40
	s_cbranch_execz .LBB6_2888
; %bb.2184:                             ;   in Loop: Header=BB6_130 Depth=2
	v_cmp_eq_u16_sdwa s41, v16, v58 src0_sel:BYTE_1 src1_sel:DWORD
	s_mov_b32 s13, -1
	s_and_saveexec_b32 s40, s41
; %bb.2185:                             ;   in Loop: Header=BB6_130 Depth=2
	s_xor_b32 s13, exec_lo, -1
; %bb.2186:                             ;   in Loop: Header=BB6_130 Depth=2
	s_or_b32 exec_lo, exec_lo, s40
	s_and_b32 s13, s13, exec_lo
	s_or_saveexec_b32 s29, s29
	v_mov_b32_e32 v119, 0x7f800001
	s_xor_b32 exec_lo, exec_lo, s29
	s_cbranch_execnz .LBB6_2889
.LBB6_2187:                             ;   in Loop: Header=BB6_130 Depth=2
	s_or_b32 exec_lo, exec_lo, s29
	s_and_saveexec_b32 s29, s13
	s_cbranch_execz .LBB6_2189
.LBB6_2188:                             ;   in Loop: Header=BB6_130 Depth=2
	v_and_b32_sdwa v2, v59, v16 dst_sel:DWORD dst_unused:UNUSED_PAD src0_sel:DWORD src1_sel:BYTE_1
	v_and_b32_e32 v3, 3, v2
	v_bfe_u32 v40, v2, 2, 5
	v_ffbh_u32_e32 v30, v3
	v_cmp_eq_u32_e32 vcc_lo, 0, v40
	v_min_u32_e32 v30, 32, v30
	v_subrev_nc_u32_e32 v119, 29, v30
	v_sub_nc_u32_e32 v30, 30, v30
	v_lshlrev_b32_e32 v2, v119, v2
	v_lshlrev_b32_e32 v119, 16, v16
	v_cndmask_b32_e32 v30, v40, v30, vcc_lo
	v_and_b32_e32 v2, 3, v2
	v_lshl_add_u32 v30, v30, 23, 0x37800000
	v_cndmask_b32_e32 v2, v3, v2, vcc_lo
	v_and_b32_e32 v3, 0x80000000, v119
	v_lshlrev_b32_e32 v2, 21, v2
	v_or3_b32 v119, v3, v30, v2
.LBB6_2189:                             ;   in Loop: Header=BB6_130 Depth=2
	s_or_b32 exec_lo, exec_lo, s29
	v_cmp_gt_i16_sdwa s29, v12, v57 src0_sel:BYTE_1 src1_sel:DWORD
	s_mov_b32 s13, 0
	s_and_saveexec_b32 s40, s29
	s_xor_b32 s29, exec_lo, s40
	s_cbranch_execz .LBB6_2890
; %bb.2190:                             ;   in Loop: Header=BB6_130 Depth=2
	v_cmp_eq_u16_sdwa s41, v12, v58 src0_sel:BYTE_1 src1_sel:DWORD
	s_mov_b32 s13, -1
	s_and_saveexec_b32 s40, s41
; %bb.2191:                             ;   in Loop: Header=BB6_130 Depth=2
	s_xor_b32 s13, exec_lo, -1
; %bb.2192:                             ;   in Loop: Header=BB6_130 Depth=2
	s_or_b32 exec_lo, exec_lo, s40
	s_and_b32 s13, s13, exec_lo
	s_or_saveexec_b32 s29, s29
	v_mov_b32_e32 v2, 0x7f800001
	s_xor_b32 exec_lo, exec_lo, s29
	s_cbranch_execnz .LBB6_2891
.LBB6_2193:                             ;   in Loop: Header=BB6_130 Depth=2
	s_or_b32 exec_lo, exec_lo, s29
	s_and_saveexec_b32 s29, s13
	s_cbranch_execz .LBB6_2195
.LBB6_2194:                             ;   in Loop: Header=BB6_130 Depth=2
	v_and_b32_sdwa v2, v59, v12 dst_sel:DWORD dst_unused:UNUSED_PAD src0_sel:DWORD src1_sel:BYTE_1
	v_and_b32_e32 v3, 3, v2
	v_bfe_u32 v42, v2, 2, 5
	v_ffbh_u32_e32 v30, v3
	v_cmp_eq_u32_e32 vcc_lo, 0, v42
	v_min_u32_e32 v30, 32, v30
	v_subrev_nc_u32_e32 v40, 29, v30
	v_sub_nc_u32_e32 v30, 30, v30
	v_lshlrev_b32_e32 v2, v40, v2
	v_lshlrev_b32_e32 v40, 16, v12
	v_cndmask_b32_e32 v30, v42, v30, vcc_lo
	v_and_b32_e32 v2, 3, v2
	v_lshl_add_u32 v30, v30, 23, 0x37800000
	v_cndmask_b32_e32 v2, v3, v2, vcc_lo
	v_and_b32_e32 v3, 0x80000000, v40
	v_lshlrev_b32_e32 v2, 21, v2
	v_or3_b32 v2, v3, v30, v2
.LBB6_2195:                             ;   in Loop: Header=BB6_130 Depth=2
	s_or_b32 exec_lo, exec_lo, s29
	v_max_f32_e32 v2, v2, v2
	v_max_f32_e32 v3, v119, v119
	s_mov_b32 s13, 0
	v_max_f32_e32 v119, v3, v2
.LBB6_2196:                             ;   in Loop: Header=BB6_130 Depth=2
	s_and_b32 vcc_lo, exec_lo, s13
	s_cbranch_vccz .LBB6_2210
; %bb.2197:                             ;   in Loop: Header=BB6_130 Depth=2
	v_cmp_gt_i16_sdwa s29, v16, v57 src0_sel:BYTE_1 src1_sel:DWORD
	s_mov_b32 s13, 0
	s_and_saveexec_b32 s40, s29
	s_xor_b32 s29, exec_lo, s40
	s_cbranch_execz .LBB6_2892
; %bb.2198:                             ;   in Loop: Header=BB6_130 Depth=2
	v_cmp_eq_u16_sdwa s41, v16, v58 src0_sel:BYTE_1 src1_sel:DWORD
	s_mov_b32 s13, -1
	s_and_saveexec_b32 s40, s41
; %bb.2199:                             ;   in Loop: Header=BB6_130 Depth=2
	s_xor_b32 s13, exec_lo, -1
; %bb.2200:                             ;   in Loop: Header=BB6_130 Depth=2
	s_or_b32 exec_lo, exec_lo, s40
	s_and_b32 s13, s13, exec_lo
	s_or_saveexec_b32 s29, s29
	v_mov_b32_e32 v119, 0x7f800001
	s_xor_b32 exec_lo, exec_lo, s29
	s_cbranch_execnz .LBB6_2893
.LBB6_2201:                             ;   in Loop: Header=BB6_130 Depth=2
	s_or_b32 exec_lo, exec_lo, s29
	s_and_saveexec_b32 s29, s13
	s_cbranch_execz .LBB6_2203
.LBB6_2202:                             ;   in Loop: Header=BB6_130 Depth=2
	v_and_b32_sdwa v2, v59, v16 dst_sel:DWORD dst_unused:UNUSED_PAD src0_sel:DWORD src1_sel:BYTE_1
	v_and_b32_e32 v3, 3, v2
	v_bfe_u32 v40, v2, 2, 5
	v_ffbh_u32_e32 v30, v3
	v_cmp_eq_u32_e32 vcc_lo, 0, v40
	v_min_u32_e32 v30, 32, v30
	v_subrev_nc_u32_e32 v119, 29, v30
	v_sub_nc_u32_e32 v30, 30, v30
	v_lshlrev_b32_e32 v2, v119, v2
	v_lshlrev_b32_e32 v119, 16, v16
	v_cndmask_b32_e32 v30, v40, v30, vcc_lo
	v_and_b32_e32 v2, 3, v2
	v_lshl_add_u32 v30, v30, 23, 0x37800000
	v_cndmask_b32_e32 v2, v3, v2, vcc_lo
	v_and_b32_e32 v3, 0x80000000, v119
	v_lshlrev_b32_e32 v2, 21, v2
	v_or3_b32 v119, v3, v30, v2
.LBB6_2203:                             ;   in Loop: Header=BB6_130 Depth=2
	s_or_b32 exec_lo, exec_lo, s29
	v_cmp_gt_i16_sdwa s29, v12, v57 src0_sel:BYTE_1 src1_sel:DWORD
	s_mov_b32 s13, 0
	s_and_saveexec_b32 s40, s29
	s_xor_b32 s29, exec_lo, s40
	s_cbranch_execz .LBB6_2894
; %bb.2204:                             ;   in Loop: Header=BB6_130 Depth=2
	v_cmp_eq_u16_sdwa s41, v12, v58 src0_sel:BYTE_1 src1_sel:DWORD
	s_mov_b32 s13, -1
	s_and_saveexec_b32 s40, s41
; %bb.2205:                             ;   in Loop: Header=BB6_130 Depth=2
	s_xor_b32 s13, exec_lo, -1
; %bb.2206:                             ;   in Loop: Header=BB6_130 Depth=2
	s_or_b32 exec_lo, exec_lo, s40
	s_and_b32 s13, s13, exec_lo
	s_or_saveexec_b32 s29, s29
	v_mov_b32_e32 v2, 0x7f800001
	s_xor_b32 exec_lo, exec_lo, s29
	s_cbranch_execnz .LBB6_2895
.LBB6_2207:                             ;   in Loop: Header=BB6_130 Depth=2
	s_or_b32 exec_lo, exec_lo, s29
	s_and_saveexec_b32 s29, s13
	s_cbranch_execz .LBB6_2209
.LBB6_2208:                             ;   in Loop: Header=BB6_130 Depth=2
	v_and_b32_sdwa v2, v59, v12 dst_sel:DWORD dst_unused:UNUSED_PAD src0_sel:DWORD src1_sel:BYTE_1
	v_and_b32_e32 v3, 3, v2
	v_bfe_u32 v42, v2, 2, 5
	v_ffbh_u32_e32 v30, v3
	v_cmp_eq_u32_e32 vcc_lo, 0, v42
	v_min_u32_e32 v30, 32, v30
	v_subrev_nc_u32_e32 v40, 29, v30
	v_sub_nc_u32_e32 v30, 30, v30
	v_lshlrev_b32_e32 v2, v40, v2
	v_lshlrev_b32_e32 v40, 16, v12
	v_cndmask_b32_e32 v30, v42, v30, vcc_lo
	v_and_b32_e32 v2, 3, v2
	v_lshl_add_u32 v30, v30, 23, 0x37800000
	v_cndmask_b32_e32 v2, v3, v2, vcc_lo
	v_and_b32_e32 v3, 0x80000000, v40
	v_lshlrev_b32_e32 v2, 21, v2
	v_or3_b32 v2, v3, v30, v2
.LBB6_2209:                             ;   in Loop: Header=BB6_130 Depth=2
	s_or_b32 exec_lo, exec_lo, s29
	v_max_f32_e32 v2, v2, v2
	v_max_f32_e32 v3, v119, v119
	v_min_f32_e32 v119, v3, v2
.LBB6_2210:                             ;   in Loop: Header=BB6_130 Depth=2
	v_and_b32_e32 v2, 0x7f800000, v119
	v_mov_b32_e32 v124, 0x8000
	s_mov_b32 s29, exec_lo
	v_cmpx_ne_u32_e32 0x7f800000, v2
	s_cbranch_execz .LBB6_2218
; %bb.2211:                             ;   in Loop: Header=BB6_130 Depth=2
	v_mov_b32_e32 v124, 0
	s_mov_b32 s40, exec_lo
	v_cmpx_ne_u32_e32 0, v119
	s_cbranch_execz .LBB6_2217
; %bb.2212:                             ;   in Loop: Header=BB6_130 Depth=2
	v_bfe_u32 v3, v119, 23, 8
	v_and_b32_e32 v2, 0x7fffff, v119
	v_cmp_gt_u32_e64 s13, 0x71, v3
	v_sub_nc_u32_e32 v30, 0x70, v3
	v_cmp_eq_u32_e32 vcc_lo, 0, v3
	v_or_b32_e32 v40, 0x800000, v2
	v_add_nc_u32_e32 v3, 0xffffff91, v3
	v_cndmask_b32_e64 v30, 0, v30, s13
	v_cndmask_b32_e32 v2, v40, v2, vcc_lo
	v_cndmask_b32_e64 v3, v3, 0xffffff92, vcc_lo
	v_cndmask_b32_e64 v30, v30, 0x6f, vcc_lo
	v_lshl_add_u32 v40, 0x200000, v30, -1
	v_lshlrev_b32_e64 v42, v30, 0x100000
	v_and_b32_e32 v40, v40, v2
	v_lshrrev_b32_e32 v2, v30, v2
	v_cmp_eq_u32_e64 s13, v40, v42
	v_add_nc_u32_e32 v40, v30, v3
	v_lshrrev_b32_e32 v3, 23, v2
                                        ; implicit-def: $vgpr42
	v_xor_b32_e32 v124, 1, v3
	v_bfe_u32 v3, v2, 21, 1
	v_add_nc_u32_e32 v3, -1, v3
	v_cndmask_b32_e64 v3, 0, v3, s13
	s_mov_b32 s13, exec_lo
	v_add_nc_u32_e32 v3, v3, v2
	v_and_b32_e32 v3, 0x1fffff, v3
	v_add_nc_u32_e32 v30, v3, v2
	v_cmpx_ne_u32_e64 v40, v124
	s_xor_b32 s13, exec_lo, s13
; %bb.2213:                             ;   in Loop: Header=BB6_130 Depth=2
	v_cmp_lt_u32_e32 vcc_lo, 0xffffff, v30
	v_sub_nc_u32_e32 v2, v40, v124
	v_cndmask_b32_e64 v3, 0, 1, vcc_lo
	v_add_co_ci_u32_e64 v42, null, 0, v2, vcc_lo
	v_lshrrev_b32_e32 v30, v3, v30
; %bb.2214:                             ;   in Loop: Header=BB6_130 Depth=2
	s_andn2_saveexec_b32 s13, s13
; %bb.2215:                             ;   in Loop: Header=BB6_130 Depth=2
	v_bfe_u32 v42, v30, 23, 1
; %bb.2216:                             ;   in Loop: Header=BB6_130 Depth=2
	s_or_b32 exec_lo, exec_lo, s13
	v_lshrrev_b32_e32 v3, 21, v30
	v_min_i32_e32 v30, 31, v42
	v_cmp_gt_i32_e32 vcc_lo, 32, v42
	v_and_b32_sdwa v2, v119, v58 dst_sel:DWORD dst_unused:UNUSED_PAD src0_sel:BYTE_3 src1_sel:DWORD
	v_lshlrev_b32_e32 v30, 2, v30
	v_cndmask_b32_e32 v3, 3, v3, vcc_lo
	v_and_b32_e32 v30, 0xfc, v30
	v_or_b32_e32 v119, v42, v3
	v_and_b32_e32 v3, 3, v3
	v_cmp_ne_u32_e32 vcc_lo, 0, v119
	v_or3_b32 v2, v2, v30, v3
	v_lshlrev_b32_e32 v2, 8, v2
	v_cndmask_b32_e32 v124, 0, v2, vcc_lo
.LBB6_2217:                             ;   in Loop: Header=BB6_130 Depth=2
	s_or_b32 exec_lo, exec_lo, s40
.LBB6_2218:                             ;   in Loop: Header=BB6_130 Depth=2
	s_or_b32 exec_lo, exec_lo, s29
	v_and_b32_sdwa v119, v16, v60 dst_sel:DWORD dst_unused:UNUSED_PAD src0_sel:WORD_1 src1_sel:DWORD
	s_andn2_b32 vcc_lo, exec_lo, s28
	s_mov_b32 s29, -1
                                        ; implicit-def: $vgpr126
	v_cmp_lt_i16_e64 s13, 0x7f, v119
	s_cbranch_vccnz .LBB6_2232
; %bb.2219:                             ;   in Loop: Header=BB6_130 Depth=2
	s_mov_b32 s29, 0
	s_and_saveexec_b32 s40, s13
	s_xor_b32 s13, exec_lo, s40
	s_cbranch_execz .LBB6_2896
; %bb.2220:                             ;   in Loop: Header=BB6_130 Depth=2
	s_mov_b32 s29, -1
	s_mov_b32 s40, exec_lo
	v_cmpx_eq_u16_e32 0x80, v119
; %bb.2221:                             ;   in Loop: Header=BB6_130 Depth=2
	s_xor_b32 s29, exec_lo, -1
; %bb.2222:                             ;   in Loop: Header=BB6_130 Depth=2
	s_or_b32 exec_lo, exec_lo, s40
	s_and_b32 s29, s29, exec_lo
	s_or_saveexec_b32 s13, s13
	v_mov_b32_e32 v40, 0x7f800001
	s_xor_b32 exec_lo, exec_lo, s13
	s_cbranch_execnz .LBB6_2897
.LBB6_2223:                             ;   in Loop: Header=BB6_130 Depth=2
	s_or_b32 exec_lo, exec_lo, s13
	s_and_saveexec_b32 s13, s29
	s_cbranch_execz .LBB6_2225
.LBB6_2224:                             ;   in Loop: Header=BB6_130 Depth=2
	v_bfe_u32 v2, v16, 16, 2
	v_bfe_u32 v3, v16, 18, 5
	v_ffbh_u32_e32 v30, v2
	v_cmp_eq_u32_e32 vcc_lo, 0, v3
	v_min_u32_e32 v30, 32, v30
	v_subrev_nc_u32_e32 v40, 29, v30
	v_sub_nc_u32_e32 v30, 30, v30
	v_lshlrev_b32_sdwa v40, v40, v16 dst_sel:DWORD dst_unused:UNUSED_PAD src0_sel:DWORD src1_sel:WORD_1
	v_cndmask_b32_e32 v3, v3, v30, vcc_lo
	v_lshlrev_b32_sdwa v30, v61, v16 dst_sel:DWORD dst_unused:UNUSED_PAD src0_sel:DWORD src1_sel:WORD_1
	v_and_b32_e32 v40, 3, v40
	v_lshl_add_u32 v3, v3, 23, 0x37800000
	v_and_b32_e32 v30, 0x80000000, v30
	v_cndmask_b32_e32 v2, v2, v40, vcc_lo
	v_lshlrev_b32_e32 v2, 21, v2
	v_or3_b32 v40, v30, v3, v2
.LBB6_2225:                             ;   in Loop: Header=BB6_130 Depth=2
	s_or_b32 exec_lo, exec_lo, s13
	v_and_b32_sdwa v3, v12, v60 dst_sel:DWORD dst_unused:UNUSED_PAD src0_sel:WORD_1 src1_sel:DWORD
	s_mov_b32 s29, 0
	s_mov_b32 s13, exec_lo
	v_cmpx_lt_i16_e32 0x7f, v3
	s_xor_b32 s13, exec_lo, s13
	s_cbranch_execz .LBB6_2898
; %bb.2226:                             ;   in Loop: Header=BB6_130 Depth=2
	s_mov_b32 s29, -1
	s_mov_b32 s40, exec_lo
	v_cmpx_eq_u16_e32 0x80, v3
; %bb.2227:                             ;   in Loop: Header=BB6_130 Depth=2
	s_xor_b32 s29, exec_lo, -1
; %bb.2228:                             ;   in Loop: Header=BB6_130 Depth=2
	s_or_b32 exec_lo, exec_lo, s40
	s_and_b32 s29, s29, exec_lo
                                        ; implicit-def: $vgpr3
	s_or_saveexec_b32 s13, s13
	v_mov_b32_e32 v2, 0x7f800001
	s_xor_b32 exec_lo, exec_lo, s13
	s_cbranch_execnz .LBB6_2899
.LBB6_2229:                             ;   in Loop: Header=BB6_130 Depth=2
	s_or_b32 exec_lo, exec_lo, s13
	s_and_saveexec_b32 s13, s29
	s_cbranch_execz .LBB6_2231
.LBB6_2230:                             ;   in Loop: Header=BB6_130 Depth=2
	v_bfe_u32 v2, v12, 16, 2
	v_bfe_u32 v3, v12, 18, 5
	v_ffbh_u32_e32 v30, v2
	v_cmp_eq_u32_e32 vcc_lo, 0, v3
	v_min_u32_e32 v30, 32, v30
	v_subrev_nc_u32_e32 v42, 29, v30
	v_sub_nc_u32_e32 v30, 30, v30
	v_lshlrev_b32_sdwa v42, v42, v12 dst_sel:DWORD dst_unused:UNUSED_PAD src0_sel:DWORD src1_sel:WORD_1
	v_cndmask_b32_e32 v3, v3, v30, vcc_lo
	v_lshlrev_b32_sdwa v30, v61, v12 dst_sel:DWORD dst_unused:UNUSED_PAD src0_sel:DWORD src1_sel:WORD_1
	v_and_b32_e32 v42, 3, v42
	v_lshl_add_u32 v3, v3, 23, 0x37800000
	v_and_b32_e32 v30, 0x80000000, v30
	v_cndmask_b32_e32 v2, v2, v42, vcc_lo
	v_lshlrev_b32_e32 v2, 21, v2
	v_or3_b32 v2, v30, v3, v2
.LBB6_2231:                             ;   in Loop: Header=BB6_130 Depth=2
	s_or_b32 exec_lo, exec_lo, s13
	v_max_f32_e32 v2, v2, v2
	v_max_f32_e32 v3, v40, v40
	s_mov_b32 s29, 0
	v_max_f32_e32 v126, v3, v2
.LBB6_2232:                             ;   in Loop: Header=BB6_130 Depth=2
	s_and_b32 vcc_lo, exec_lo, s29
	s_cbranch_vccz .LBB6_2246
; %bb.2233:                             ;   in Loop: Header=BB6_130 Depth=2
	s_mov_b32 s29, 0
	s_mov_b32 s13, exec_lo
	v_cmpx_lt_i16_e32 0x7f, v119
	s_xor_b32 s13, exec_lo, s13
	s_cbranch_execz .LBB6_2900
; %bb.2234:                             ;   in Loop: Header=BB6_130 Depth=2
	s_mov_b32 s29, -1
	s_mov_b32 s40, exec_lo
	v_cmpx_eq_u16_e32 0x80, v119
; %bb.2235:                             ;   in Loop: Header=BB6_130 Depth=2
	s_xor_b32 s29, exec_lo, -1
; %bb.2236:                             ;   in Loop: Header=BB6_130 Depth=2
	s_or_b32 exec_lo, exec_lo, s40
	s_and_b32 s29, s29, exec_lo
                                        ; implicit-def: $vgpr119
	s_or_saveexec_b32 s13, s13
	v_mov_b32_e32 v40, 0x7f800001
	s_xor_b32 exec_lo, exec_lo, s13
	s_cbranch_execnz .LBB6_2901
.LBB6_2237:                             ;   in Loop: Header=BB6_130 Depth=2
	s_or_b32 exec_lo, exec_lo, s13
	s_and_saveexec_b32 s13, s29
	s_cbranch_execz .LBB6_2239
.LBB6_2238:                             ;   in Loop: Header=BB6_130 Depth=2
	v_bfe_u32 v2, v16, 16, 2
	v_bfe_u32 v3, v16, 18, 5
	v_ffbh_u32_e32 v30, v2
	v_cmp_eq_u32_e32 vcc_lo, 0, v3
	v_min_u32_e32 v30, 32, v30
	v_subrev_nc_u32_e32 v119, 29, v30
	v_sub_nc_u32_e32 v30, 30, v30
	v_lshlrev_b32_sdwa v119, v119, v16 dst_sel:DWORD dst_unused:UNUSED_PAD src0_sel:DWORD src1_sel:WORD_1
	v_cndmask_b32_e32 v3, v3, v30, vcc_lo
	v_lshlrev_b32_sdwa v30, v61, v16 dst_sel:DWORD dst_unused:UNUSED_PAD src0_sel:DWORD src1_sel:WORD_1
	v_and_b32_e32 v119, 3, v119
	v_lshl_add_u32 v3, v3, 23, 0x37800000
	v_and_b32_e32 v30, 0x80000000, v30
	v_cndmask_b32_e32 v2, v2, v119, vcc_lo
	v_lshlrev_b32_e32 v2, 21, v2
	v_or3_b32 v40, v30, v3, v2
.LBB6_2239:                             ;   in Loop: Header=BB6_130 Depth=2
	s_or_b32 exec_lo, exec_lo, s13
	v_and_b32_sdwa v3, v12, v60 dst_sel:DWORD dst_unused:UNUSED_PAD src0_sel:WORD_1 src1_sel:DWORD
	s_mov_b32 s29, 0
	s_mov_b32 s13, exec_lo
	v_cmpx_lt_i16_e32 0x7f, v3
	s_xor_b32 s13, exec_lo, s13
	s_cbranch_execz .LBB6_2902
; %bb.2240:                             ;   in Loop: Header=BB6_130 Depth=2
	s_mov_b32 s29, -1
	s_mov_b32 s40, exec_lo
	v_cmpx_eq_u16_e32 0x80, v3
; %bb.2241:                             ;   in Loop: Header=BB6_130 Depth=2
	s_xor_b32 s29, exec_lo, -1
; %bb.2242:                             ;   in Loop: Header=BB6_130 Depth=2
	s_or_b32 exec_lo, exec_lo, s40
	s_and_b32 s29, s29, exec_lo
                                        ; implicit-def: $vgpr3
	s_or_saveexec_b32 s13, s13
	v_mov_b32_e32 v2, 0x7f800001
	s_xor_b32 exec_lo, exec_lo, s13
	s_cbranch_execnz .LBB6_2903
.LBB6_2243:                             ;   in Loop: Header=BB6_130 Depth=2
	s_or_b32 exec_lo, exec_lo, s13
	s_and_saveexec_b32 s13, s29
	s_cbranch_execz .LBB6_2245
.LBB6_2244:                             ;   in Loop: Header=BB6_130 Depth=2
	v_bfe_u32 v2, v12, 16, 2
	v_bfe_u32 v3, v12, 18, 5
	v_ffbh_u32_e32 v30, v2
	v_cmp_eq_u32_e32 vcc_lo, 0, v3
	v_min_u32_e32 v30, 32, v30
	v_subrev_nc_u32_e32 v119, 29, v30
	v_sub_nc_u32_e32 v30, 30, v30
	v_lshlrev_b32_sdwa v119, v119, v12 dst_sel:DWORD dst_unused:UNUSED_PAD src0_sel:DWORD src1_sel:WORD_1
	v_cndmask_b32_e32 v3, v3, v30, vcc_lo
	v_lshlrev_b32_sdwa v30, v61, v12 dst_sel:DWORD dst_unused:UNUSED_PAD src0_sel:DWORD src1_sel:WORD_1
	v_and_b32_e32 v119, 3, v119
	v_lshl_add_u32 v3, v3, 23, 0x37800000
	v_and_b32_e32 v30, 0x80000000, v30
	v_cndmask_b32_e32 v2, v2, v119, vcc_lo
	v_lshlrev_b32_e32 v2, 21, v2
	v_or3_b32 v2, v30, v3, v2
.LBB6_2245:                             ;   in Loop: Header=BB6_130 Depth=2
	s_or_b32 exec_lo, exec_lo, s13
	v_max_f32_e32 v2, v2, v2
	v_max_f32_e32 v3, v40, v40
	v_min_f32_e32 v126, v3, v2
.LBB6_2246:                             ;   in Loop: Header=BB6_130 Depth=2
	v_and_b32_e32 v2, 0x7f800000, v126
	v_mov_b32_e32 v125, 0x80
	s_mov_b32 s29, exec_lo
	v_cmpx_ne_u32_e32 0x7f800000, v2
	s_cbranch_execz .LBB6_2254
; %bb.2247:                             ;   in Loop: Header=BB6_130 Depth=2
	v_mov_b32_e32 v125, 0
	s_mov_b32 s40, exec_lo
	v_cmpx_ne_u32_e32 0, v126
	s_cbranch_execz .LBB6_2253
; %bb.2248:                             ;   in Loop: Header=BB6_130 Depth=2
	v_bfe_u32 v3, v126, 23, 8
	v_and_b32_e32 v2, 0x7fffff, v126
                                        ; implicit-def: $vgpr42
	v_cmp_gt_u32_e64 s13, 0x71, v3
	v_sub_nc_u32_e32 v30, 0x70, v3
	v_cmp_eq_u32_e32 vcc_lo, 0, v3
	v_or_b32_e32 v119, 0x800000, v2
	v_add_nc_u32_e32 v3, 0xffffff91, v3
	v_cndmask_b32_e64 v30, 0, v30, s13
	v_cndmask_b32_e32 v2, v119, v2, vcc_lo
	v_cndmask_b32_e64 v3, v3, 0xffffff92, vcc_lo
	v_cndmask_b32_e64 v30, v30, 0x6f, vcc_lo
	v_lshl_add_u32 v119, 0x200000, v30, -1
	v_lshlrev_b32_e64 v40, v30, 0x100000
	v_and_b32_e32 v119, v119, v2
	v_lshrrev_b32_e32 v2, v30, v2
	v_cmp_eq_u32_e64 s13, v119, v40
	v_add_nc_u32_e32 v119, v30, v3
	v_lshrrev_b32_e32 v3, 23, v2
	v_xor_b32_e32 v40, 1, v3
	v_bfe_u32 v3, v2, 21, 1
	v_add_nc_u32_e32 v3, -1, v3
	v_cndmask_b32_e64 v3, 0, v3, s13
	s_mov_b32 s13, exec_lo
	v_add_nc_u32_e32 v3, v3, v2
	v_and_b32_e32 v3, 0x1fffff, v3
	v_add_nc_u32_e32 v30, v3, v2
	v_cmpx_ne_u32_e64 v119, v40
	s_xor_b32 s13, exec_lo, s13
; %bb.2249:                             ;   in Loop: Header=BB6_130 Depth=2
	v_cmp_lt_u32_e32 vcc_lo, 0xffffff, v30
	v_sub_nc_u32_e32 v2, v119, v40
	v_cndmask_b32_e64 v3, 0, 1, vcc_lo
	v_add_co_ci_u32_e64 v42, null, 0, v2, vcc_lo
	v_lshrrev_b32_e32 v30, v3, v30
; %bb.2250:                             ;   in Loop: Header=BB6_130 Depth=2
	s_andn2_saveexec_b32 s13, s13
; %bb.2251:                             ;   in Loop: Header=BB6_130 Depth=2
	v_bfe_u32 v42, v30, 23, 1
; %bb.2252:                             ;   in Loop: Header=BB6_130 Depth=2
	s_or_b32 exec_lo, exec_lo, s13
	v_lshrrev_b32_e32 v3, 21, v30
	v_min_i32_e32 v30, 31, v42
	v_cmp_gt_i32_e32 vcc_lo, 32, v42
	v_and_b32_sdwa v2, v126, v58 dst_sel:DWORD dst_unused:UNUSED_PAD src0_sel:BYTE_3 src1_sel:DWORD
	v_lshlrev_b32_e32 v30, 2, v30
	v_cndmask_b32_e32 v3, 3, v3, vcc_lo
	v_and_b32_e32 v30, 0xfc, v30
	v_or_b32_e32 v119, v42, v3
	v_and_b32_e32 v3, 3, v3
	v_cmp_ne_u32_e32 vcc_lo, 0, v119
	v_or3_b32 v2, v30, v2, v3
	v_cndmask_b32_e32 v125, 0, v2, vcc_lo
.LBB6_2253:                             ;   in Loop: Header=BB6_130 Depth=2
	s_or_b32 exec_lo, exec_lo, s40
.LBB6_2254:                             ;   in Loop: Header=BB6_130 Depth=2
	s_or_b32 exec_lo, exec_lo, s29
	v_cmp_gt_i16_sdwa s29, v16, v57 src0_sel:BYTE_3 src1_sel:DWORD
	s_andn2_b32 vcc_lo, exec_lo, s28
	s_mov_b32 s13, -1
                                        ; implicit-def: $vgpr119
	s_cbranch_vccnz .LBB6_2268
; %bb.2255:                             ;   in Loop: Header=BB6_130 Depth=2
	s_mov_b32 s13, 0
	s_and_saveexec_b32 s40, s29
	s_xor_b32 s29, exec_lo, s40
	s_cbranch_execz .LBB6_2904
; %bb.2256:                             ;   in Loop: Header=BB6_130 Depth=2
	v_cmp_eq_u16_sdwa s41, v16, v58 src0_sel:BYTE_3 src1_sel:DWORD
	s_mov_b32 s13, -1
	s_and_saveexec_b32 s40, s41
; %bb.2257:                             ;   in Loop: Header=BB6_130 Depth=2
	s_xor_b32 s13, exec_lo, -1
; %bb.2258:                             ;   in Loop: Header=BB6_130 Depth=2
	s_or_b32 exec_lo, exec_lo, s40
	s_and_b32 s13, s13, exec_lo
	s_or_saveexec_b32 s29, s29
	v_mov_b32_e32 v119, 0x7f800001
	s_xor_b32 exec_lo, exec_lo, s29
	s_cbranch_execnz .LBB6_2905
.LBB6_2259:                             ;   in Loop: Header=BB6_130 Depth=2
	s_or_b32 exec_lo, exec_lo, s29
	s_and_saveexec_b32 s29, s13
	s_cbranch_execz .LBB6_2261
.LBB6_2260:                             ;   in Loop: Header=BB6_130 Depth=2
	v_bfe_u32 v2, v16, 24, 2
	v_bfe_u32 v119, v16, 26, 5
	v_ffbh_u32_e32 v3, v2
	v_cmp_eq_u32_e32 vcc_lo, 0, v119
	v_min_u32_e32 v3, 32, v3
	v_subrev_nc_u32_e32 v30, 29, v3
	v_sub_nc_u32_e32 v3, 30, v3
	v_lshlrev_b32_sdwa v30, v30, v16 dst_sel:DWORD dst_unused:UNUSED_PAD src0_sel:DWORD src1_sel:BYTE_3
	v_cndmask_b32_e32 v3, v119, v3, vcc_lo
	v_and_b32_e32 v30, 3, v30
	v_lshl_add_u32 v3, v3, 23, 0x37800000
	v_cndmask_b32_e32 v2, v2, v30, vcc_lo
	v_and_b32_e32 v30, 0x80000000, v16
	v_lshlrev_b32_e32 v2, 21, v2
	v_or3_b32 v119, v30, v3, v2
.LBB6_2261:                             ;   in Loop: Header=BB6_130 Depth=2
	s_or_b32 exec_lo, exec_lo, s29
	v_cmp_gt_i16_sdwa s29, v12, v57 src0_sel:BYTE_3 src1_sel:DWORD
	s_mov_b32 s13, 0
	s_and_saveexec_b32 s40, s29
	s_xor_b32 s29, exec_lo, s40
	s_cbranch_execz .LBB6_2906
; %bb.2262:                             ;   in Loop: Header=BB6_130 Depth=2
	v_cmp_eq_u16_sdwa s41, v12, v58 src0_sel:BYTE_3 src1_sel:DWORD
	s_mov_b32 s13, -1
	s_and_saveexec_b32 s40, s41
; %bb.2263:                             ;   in Loop: Header=BB6_130 Depth=2
	s_xor_b32 s13, exec_lo, -1
; %bb.2264:                             ;   in Loop: Header=BB6_130 Depth=2
	s_or_b32 exec_lo, exec_lo, s40
	s_and_b32 s13, s13, exec_lo
	s_or_saveexec_b32 s29, s29
	v_mov_b32_e32 v2, 0x7f800001
	s_xor_b32 exec_lo, exec_lo, s29
	s_cbranch_execnz .LBB6_2907
.LBB6_2265:                             ;   in Loop: Header=BB6_130 Depth=2
	s_or_b32 exec_lo, exec_lo, s29
	s_and_saveexec_b32 s29, s13
	s_cbranch_execz .LBB6_2267
.LBB6_2266:                             ;   in Loop: Header=BB6_130 Depth=2
	v_bfe_u32 v2, v12, 24, 2
	v_bfe_u32 v40, v12, 26, 5
	v_ffbh_u32_e32 v3, v2
	v_cmp_eq_u32_e32 vcc_lo, 0, v40
	v_min_u32_e32 v3, 32, v3
	v_subrev_nc_u32_e32 v30, 29, v3
	v_sub_nc_u32_e32 v3, 30, v3
	v_lshlrev_b32_sdwa v30, v30, v12 dst_sel:DWORD dst_unused:UNUSED_PAD src0_sel:DWORD src1_sel:BYTE_3
	v_cndmask_b32_e32 v3, v40, v3, vcc_lo
	v_and_b32_e32 v30, 3, v30
	v_lshl_add_u32 v3, v3, 23, 0x37800000
	v_cndmask_b32_e32 v2, v2, v30, vcc_lo
	v_and_b32_e32 v30, 0x80000000, v12
	v_lshlrev_b32_e32 v2, 21, v2
	v_or3_b32 v2, v30, v3, v2
.LBB6_2267:                             ;   in Loop: Header=BB6_130 Depth=2
	s_or_b32 exec_lo, exec_lo, s29
	v_max_f32_e32 v2, v2, v2
	v_max_f32_e32 v3, v119, v119
	s_mov_b32 s13, 0
	v_max_f32_e32 v119, v3, v2
.LBB6_2268:                             ;   in Loop: Header=BB6_130 Depth=2
	s_and_b32 vcc_lo, exec_lo, s13
	s_cbranch_vccz .LBB6_2282
; %bb.2269:                             ;   in Loop: Header=BB6_130 Depth=2
	v_cmp_gt_i16_sdwa s29, v16, v57 src0_sel:BYTE_3 src1_sel:DWORD
	s_mov_b32 s13, 0
	s_and_saveexec_b32 s40, s29
	s_xor_b32 s29, exec_lo, s40
	s_cbranch_execz .LBB6_2908
; %bb.2270:                             ;   in Loop: Header=BB6_130 Depth=2
	v_cmp_eq_u16_sdwa s41, v16, v58 src0_sel:BYTE_3 src1_sel:DWORD
	s_mov_b32 s13, -1
	s_and_saveexec_b32 s40, s41
; %bb.2271:                             ;   in Loop: Header=BB6_130 Depth=2
	s_xor_b32 s13, exec_lo, -1
; %bb.2272:                             ;   in Loop: Header=BB6_130 Depth=2
	s_or_b32 exec_lo, exec_lo, s40
	s_and_b32 s13, s13, exec_lo
	s_or_saveexec_b32 s29, s29
	v_mov_b32_e32 v119, 0x7f800001
	s_xor_b32 exec_lo, exec_lo, s29
	s_cbranch_execnz .LBB6_2909
.LBB6_2273:                             ;   in Loop: Header=BB6_130 Depth=2
	s_or_b32 exec_lo, exec_lo, s29
	s_and_saveexec_b32 s29, s13
	s_cbranch_execz .LBB6_2275
.LBB6_2274:                             ;   in Loop: Header=BB6_130 Depth=2
	v_bfe_u32 v2, v16, 24, 2
	v_bfe_u32 v119, v16, 26, 5
	v_ffbh_u32_e32 v3, v2
	v_cmp_eq_u32_e32 vcc_lo, 0, v119
	v_min_u32_e32 v3, 32, v3
	v_subrev_nc_u32_e32 v30, 29, v3
	v_sub_nc_u32_e32 v3, 30, v3
	v_lshlrev_b32_sdwa v30, v30, v16 dst_sel:DWORD dst_unused:UNUSED_PAD src0_sel:DWORD src1_sel:BYTE_3
	v_cndmask_b32_e32 v3, v119, v3, vcc_lo
	v_and_b32_e32 v16, 0x80000000, v16
	v_and_b32_e32 v30, 3, v30
	v_lshl_add_u32 v3, v3, 23, 0x37800000
	v_cndmask_b32_e32 v2, v2, v30, vcc_lo
	v_lshlrev_b32_e32 v2, 21, v2
	v_or3_b32 v119, v16, v3, v2
.LBB6_2275:                             ;   in Loop: Header=BB6_130 Depth=2
	s_or_b32 exec_lo, exec_lo, s29
	v_cmp_gt_i16_sdwa s29, v12, v57 src0_sel:BYTE_3 src1_sel:DWORD
	s_mov_b32 s13, 0
	s_and_saveexec_b32 s40, s29
	s_xor_b32 s29, exec_lo, s40
	s_cbranch_execz .LBB6_2910
; %bb.2276:                             ;   in Loop: Header=BB6_130 Depth=2
	v_cmp_eq_u16_sdwa s41, v12, v58 src0_sel:BYTE_3 src1_sel:DWORD
	s_mov_b32 s13, -1
	s_and_saveexec_b32 s40, s41
; %bb.2277:                             ;   in Loop: Header=BB6_130 Depth=2
	s_xor_b32 s13, exec_lo, -1
; %bb.2278:                             ;   in Loop: Header=BB6_130 Depth=2
	s_or_b32 exec_lo, exec_lo, s40
	s_and_b32 s13, s13, exec_lo
	s_or_saveexec_b32 s29, s29
	v_mov_b32_e32 v2, 0x7f800001
	s_xor_b32 exec_lo, exec_lo, s29
	s_cbranch_execnz .LBB6_2911
.LBB6_2279:                             ;   in Loop: Header=BB6_130 Depth=2
	s_or_b32 exec_lo, exec_lo, s29
	s_and_saveexec_b32 s29, s13
	s_cbranch_execz .LBB6_2281
.LBB6_2280:                             ;   in Loop: Header=BB6_130 Depth=2
	v_bfe_u32 v2, v12, 24, 2
	v_bfe_u32 v30, v12, 26, 5
	v_ffbh_u32_e32 v3, v2
	v_cmp_eq_u32_e32 vcc_lo, 0, v30
	v_min_u32_e32 v3, 32, v3
	v_subrev_nc_u32_e32 v16, 29, v3
	v_sub_nc_u32_e32 v3, 30, v3
	v_lshlrev_b32_sdwa v16, v16, v12 dst_sel:DWORD dst_unused:UNUSED_PAD src0_sel:DWORD src1_sel:BYTE_3
	v_cndmask_b32_e32 v3, v30, v3, vcc_lo
	v_and_b32_e32 v12, 0x80000000, v12
	v_and_b32_e32 v16, 3, v16
	v_lshl_add_u32 v3, v3, 23, 0x37800000
	v_cndmask_b32_e32 v2, v2, v16, vcc_lo
	v_lshlrev_b32_e32 v2, 21, v2
	v_or3_b32 v2, v12, v3, v2
.LBB6_2281:                             ;   in Loop: Header=BB6_130 Depth=2
	s_or_b32 exec_lo, exec_lo, s29
	v_max_f32_e32 v2, v2, v2
	v_max_f32_e32 v3, v119, v119
	v_min_f32_e32 v119, v3, v2
.LBB6_2282:                             ;   in Loop: Header=BB6_130 Depth=2
	v_and_b32_e32 v2, 0x7f800000, v119
	v_mov_b32_e32 v12, 0x8000
	s_mov_b32 s29, exec_lo
	v_cmpx_ne_u32_e32 0x7f800000, v2
	s_cbranch_execz .LBB6_2290
; %bb.2283:                             ;   in Loop: Header=BB6_130 Depth=2
	v_mov_b32_e32 v12, 0
	s_mov_b32 s40, exec_lo
	v_cmpx_ne_u32_e32 0, v119
	s_cbranch_execz .LBB6_2289
; %bb.2284:                             ;   in Loop: Header=BB6_130 Depth=2
	v_bfe_u32 v3, v119, 23, 8
	v_and_b32_e32 v2, 0x7fffff, v119
                                        ; implicit-def: $vgpr40
	v_cmp_gt_u32_e64 s13, 0x71, v3
	v_sub_nc_u32_e32 v12, 0x70, v3
	v_cmp_eq_u32_e32 vcc_lo, 0, v3
	v_or_b32_e32 v16, 0x800000, v2
	v_add_nc_u32_e32 v3, 0xffffff91, v3
	v_cndmask_b32_e64 v12, 0, v12, s13
	v_cndmask_b32_e32 v2, v16, v2, vcc_lo
	v_cndmask_b32_e64 v3, v3, 0xffffff92, vcc_lo
	v_cndmask_b32_e64 v12, v12, 0x6f, vcc_lo
	v_lshl_add_u32 v16, 0x200000, v12, -1
	v_lshlrev_b32_e64 v30, v12, 0x100000
	v_and_b32_e32 v16, v16, v2
	v_lshrrev_b32_e32 v2, v12, v2
	v_add_nc_u32_e32 v12, v12, v3
	v_cmp_eq_u32_e64 s13, v16, v30
	v_lshrrev_b32_e32 v3, 23, v2
	v_xor_b32_e32 v16, 1, v3
	v_bfe_u32 v3, v2, 21, 1
	v_add_nc_u32_e32 v3, -1, v3
	v_cndmask_b32_e64 v3, 0, v3, s13
	s_mov_b32 s13, exec_lo
	v_add_nc_u32_e32 v3, v3, v2
	v_and_b32_e32 v3, 0x1fffff, v3
	v_add_nc_u32_e32 v30, v3, v2
	v_cmpx_ne_u32_e64 v12, v16
	s_xor_b32 s13, exec_lo, s13
; %bb.2285:                             ;   in Loop: Header=BB6_130 Depth=2
	v_cmp_lt_u32_e32 vcc_lo, 0xffffff, v30
	v_sub_nc_u32_e32 v2, v12, v16
	v_cndmask_b32_e64 v3, 0, 1, vcc_lo
	v_add_co_ci_u32_e64 v40, null, 0, v2, vcc_lo
	v_lshrrev_b32_e32 v30, v3, v30
; %bb.2286:                             ;   in Loop: Header=BB6_130 Depth=2
	s_andn2_saveexec_b32 s13, s13
; %bb.2287:                             ;   in Loop: Header=BB6_130 Depth=2
	v_bfe_u32 v40, v30, 23, 1
; %bb.2288:                             ;   in Loop: Header=BB6_130 Depth=2
	s_or_b32 exec_lo, exec_lo, s13
	v_lshrrev_b32_e32 v3, 21, v30
	v_min_i32_e32 v12, 31, v40
	v_cmp_gt_i32_e32 vcc_lo, 32, v40
	v_and_b32_sdwa v2, v119, v58 dst_sel:DWORD dst_unused:UNUSED_PAD src0_sel:BYTE_3 src1_sel:DWORD
	v_lshlrev_b32_e32 v12, 2, v12
	v_cndmask_b32_e32 v3, 3, v3, vcc_lo
	v_and_b32_e32 v12, 0xfc, v12
	v_or_b32_e32 v16, v40, v3
	v_and_b32_e32 v3, 3, v3
	v_cmp_ne_u32_e32 vcc_lo, 0, v16
	v_or3_b32 v2, v2, v12, v3
	v_lshlrev_b32_e32 v2, 8, v2
	v_cndmask_b32_e32 v12, 0, v2, vcc_lo
.LBB6_2289:                             ;   in Loop: Header=BB6_130 Depth=2
	s_or_b32 exec_lo, exec_lo, s40
.LBB6_2290:                             ;   in Loop: Header=BB6_130 Depth=2
	s_or_b32 exec_lo, exec_lo, s29
	v_cmp_gt_i16_sdwa s40, v17, v57 src0_sel:BYTE_0 src1_sel:DWORD
	s_andn2_b32 vcc_lo, exec_lo, s28
	s_mov_b32 s13, -1
                                        ; implicit-def: $vgpr119
	s_cbranch_vccnz .LBB6_2304
; %bb.2291:                             ;   in Loop: Header=BB6_130 Depth=2
	s_mov_b32 s29, 0
	s_and_saveexec_b32 s13, s40
	s_xor_b32 s13, exec_lo, s13
	s_cbranch_execz .LBB6_2912
; %bb.2292:                             ;   in Loop: Header=BB6_130 Depth=2
	v_cmp_eq_u16_sdwa s41, v17, v58 src0_sel:BYTE_0 src1_sel:DWORD
	s_mov_b32 s29, -1
	s_and_saveexec_b32 s40, s41
; %bb.2293:                             ;   in Loop: Header=BB6_130 Depth=2
	s_xor_b32 s29, exec_lo, -1
; %bb.2294:                             ;   in Loop: Header=BB6_130 Depth=2
	s_or_b32 exec_lo, exec_lo, s40
	s_and_b32 s29, s29, exec_lo
	s_or_saveexec_b32 s13, s13
	v_mov_b32_e32 v16, 0x7f800001
	s_xor_b32 exec_lo, exec_lo, s13
	s_cbranch_execnz .LBB6_2913
.LBB6_2295:                             ;   in Loop: Header=BB6_130 Depth=2
	s_or_b32 exec_lo, exec_lo, s13
	s_and_saveexec_b32 s13, s29
	s_cbranch_execz .LBB6_2297
.LBB6_2296:                             ;   in Loop: Header=BB6_130 Depth=2
	v_and_b32_e32 v2, 3, v17
	v_bfe_u32 v3, v17, 2, 5
	v_ffbh_u32_e32 v16, v2
	v_cmp_eq_u32_e32 vcc_lo, 0, v3
	v_min_u32_e32 v16, 32, v16
	v_subrev_nc_u32_e32 v30, 29, v16
	v_sub_nc_u32_e32 v16, 30, v16
	v_lshlrev_b32_e32 v30, v30, v17
	v_cndmask_b32_e32 v3, v3, v16, vcc_lo
	v_lshlrev_b32_e32 v16, 24, v17
	v_and_b32_e32 v30, 3, v30
	v_lshl_add_u32 v3, v3, 23, 0x37800000
	v_and_b32_e32 v16, 0x80000000, v16
	v_cndmask_b32_e32 v2, v2, v30, vcc_lo
	v_lshlrev_b32_e32 v2, 21, v2
	v_or3_b32 v16, v16, v3, v2
.LBB6_2297:                             ;   in Loop: Header=BB6_130 Depth=2
	s_or_b32 exec_lo, exec_lo, s13
	v_cmp_gt_i16_sdwa s13, v13, v57 src0_sel:BYTE_0 src1_sel:DWORD
	s_mov_b32 s29, 0
	s_and_saveexec_b32 s40, s13
	s_xor_b32 s13, exec_lo, s40
	s_cbranch_execz .LBB6_2914
; %bb.2298:                             ;   in Loop: Header=BB6_130 Depth=2
	v_cmp_eq_u16_sdwa s41, v13, v58 src0_sel:BYTE_0 src1_sel:DWORD
	s_mov_b32 s29, -1
	s_and_saveexec_b32 s40, s41
; %bb.2299:                             ;   in Loop: Header=BB6_130 Depth=2
	s_xor_b32 s29, exec_lo, -1
; %bb.2300:                             ;   in Loop: Header=BB6_130 Depth=2
	s_or_b32 exec_lo, exec_lo, s40
	s_and_b32 s29, s29, exec_lo
	s_or_saveexec_b32 s13, s13
	v_mov_b32_e32 v2, 0x7f800001
	s_xor_b32 exec_lo, exec_lo, s13
	s_cbranch_execnz .LBB6_2915
.LBB6_2301:                             ;   in Loop: Header=BB6_130 Depth=2
	s_or_b32 exec_lo, exec_lo, s13
	s_and_saveexec_b32 s13, s29
	s_cbranch_execz .LBB6_2303
.LBB6_2302:                             ;   in Loop: Header=BB6_130 Depth=2
	v_and_b32_e32 v2, 3, v13
	v_bfe_u32 v3, v13, 2, 5
	v_ffbh_u32_e32 v30, v2
	v_cmp_eq_u32_e32 vcc_lo, 0, v3
	v_min_u32_e32 v30, 32, v30
	v_subrev_nc_u32_e32 v119, 29, v30
	v_sub_nc_u32_e32 v30, 30, v30
	v_lshlrev_b32_e32 v119, v119, v13
	v_cndmask_b32_e32 v3, v3, v30, vcc_lo
	v_lshlrev_b32_e32 v30, 24, v13
	v_and_b32_e32 v119, 3, v119
	v_lshl_add_u32 v3, v3, 23, 0x37800000
	v_and_b32_e32 v30, 0x80000000, v30
	v_cndmask_b32_e32 v2, v2, v119, vcc_lo
	v_lshlrev_b32_e32 v2, 21, v2
	v_or3_b32 v2, v30, v3, v2
.LBB6_2303:                             ;   in Loop: Header=BB6_130 Depth=2
	s_or_b32 exec_lo, exec_lo, s13
	v_max_f32_e32 v2, v2, v2
	v_max_f32_e32 v3, v16, v16
	s_mov_b32 s13, 0
	v_max_f32_e32 v119, v3, v2
.LBB6_2304:                             ;   in Loop: Header=BB6_130 Depth=2
	s_and_b32 vcc_lo, exec_lo, s13
	s_cbranch_vccz .LBB6_2318
; %bb.2305:                             ;   in Loop: Header=BB6_130 Depth=2
	v_cmp_gt_i16_sdwa s13, v17, v57 src0_sel:BYTE_0 src1_sel:DWORD
	s_mov_b32 s29, 0
	s_and_saveexec_b32 s40, s13
	s_xor_b32 s13, exec_lo, s40
	s_cbranch_execz .LBB6_2916
; %bb.2306:                             ;   in Loop: Header=BB6_130 Depth=2
	v_cmp_eq_u16_sdwa s41, v17, v58 src0_sel:BYTE_0 src1_sel:DWORD
	s_mov_b32 s29, -1
	s_and_saveexec_b32 s40, s41
; %bb.2307:                             ;   in Loop: Header=BB6_130 Depth=2
	s_xor_b32 s29, exec_lo, -1
; %bb.2308:                             ;   in Loop: Header=BB6_130 Depth=2
	s_or_b32 exec_lo, exec_lo, s40
	s_and_b32 s29, s29, exec_lo
	s_or_saveexec_b32 s13, s13
	v_mov_b32_e32 v16, 0x7f800001
	s_xor_b32 exec_lo, exec_lo, s13
	s_cbranch_execnz .LBB6_2917
.LBB6_2309:                             ;   in Loop: Header=BB6_130 Depth=2
	s_or_b32 exec_lo, exec_lo, s13
	s_and_saveexec_b32 s13, s29
	s_cbranch_execz .LBB6_2311
.LBB6_2310:                             ;   in Loop: Header=BB6_130 Depth=2
	v_and_b32_e32 v2, 3, v17
	v_bfe_u32 v3, v17, 2, 5
	v_ffbh_u32_e32 v16, v2
	v_cmp_eq_u32_e32 vcc_lo, 0, v3
	v_min_u32_e32 v16, 32, v16
	v_subrev_nc_u32_e32 v30, 29, v16
	v_sub_nc_u32_e32 v16, 30, v16
	v_lshlrev_b32_e32 v30, v30, v17
	v_cndmask_b32_e32 v3, v3, v16, vcc_lo
	v_lshlrev_b32_e32 v16, 24, v17
	v_and_b32_e32 v30, 3, v30
	v_lshl_add_u32 v3, v3, 23, 0x37800000
	v_and_b32_e32 v16, 0x80000000, v16
	v_cndmask_b32_e32 v2, v2, v30, vcc_lo
	v_lshlrev_b32_e32 v2, 21, v2
	v_or3_b32 v16, v16, v3, v2
.LBB6_2311:                             ;   in Loop: Header=BB6_130 Depth=2
	s_or_b32 exec_lo, exec_lo, s13
	v_cmp_gt_i16_sdwa s13, v13, v57 src0_sel:BYTE_0 src1_sel:DWORD
	s_mov_b32 s29, 0
	s_and_saveexec_b32 s40, s13
	s_xor_b32 s13, exec_lo, s40
	s_cbranch_execz .LBB6_2918
; %bb.2312:                             ;   in Loop: Header=BB6_130 Depth=2
	v_cmp_eq_u16_sdwa s41, v13, v58 src0_sel:BYTE_0 src1_sel:DWORD
	s_mov_b32 s29, -1
	s_and_saveexec_b32 s40, s41
; %bb.2313:                             ;   in Loop: Header=BB6_130 Depth=2
	s_xor_b32 s29, exec_lo, -1
; %bb.2314:                             ;   in Loop: Header=BB6_130 Depth=2
	s_or_b32 exec_lo, exec_lo, s40
	s_and_b32 s29, s29, exec_lo
	s_or_saveexec_b32 s13, s13
	v_mov_b32_e32 v2, 0x7f800001
	s_xor_b32 exec_lo, exec_lo, s13
	s_cbranch_execnz .LBB6_2919
.LBB6_2315:                             ;   in Loop: Header=BB6_130 Depth=2
	s_or_b32 exec_lo, exec_lo, s13
	s_and_saveexec_b32 s13, s29
	s_cbranch_execz .LBB6_2317
.LBB6_2316:                             ;   in Loop: Header=BB6_130 Depth=2
	v_and_b32_e32 v2, 3, v13
	v_bfe_u32 v3, v13, 2, 5
	v_ffbh_u32_e32 v30, v2
	v_cmp_eq_u32_e32 vcc_lo, 0, v3
	v_min_u32_e32 v30, 32, v30
	v_subrev_nc_u32_e32 v119, 29, v30
	v_sub_nc_u32_e32 v30, 30, v30
	v_lshlrev_b32_e32 v119, v119, v13
	v_cndmask_b32_e32 v3, v3, v30, vcc_lo
	v_lshlrev_b32_e32 v30, 24, v13
	v_and_b32_e32 v119, 3, v119
	v_lshl_add_u32 v3, v3, 23, 0x37800000
	v_and_b32_e32 v30, 0x80000000, v30
	v_cndmask_b32_e32 v2, v2, v119, vcc_lo
	v_lshlrev_b32_e32 v2, 21, v2
	v_or3_b32 v2, v30, v3, v2
.LBB6_2317:                             ;   in Loop: Header=BB6_130 Depth=2
	s_or_b32 exec_lo, exec_lo, s13
	v_max_f32_e32 v2, v2, v2
	v_max_f32_e32 v3, v16, v16
	v_min_f32_e32 v119, v3, v2
.LBB6_2318:                             ;   in Loop: Header=BB6_130 Depth=2
	v_and_b32_e32 v2, 0x7f800000, v119
	v_mov_b32_e32 v16, 0x80
	s_mov_b32 s29, exec_lo
	v_cmpx_ne_u32_e32 0x7f800000, v2
	s_cbranch_execz .LBB6_2326
; %bb.2319:                             ;   in Loop: Header=BB6_130 Depth=2
	v_mov_b32_e32 v16, 0
	s_mov_b32 s40, exec_lo
	v_cmpx_ne_u32_e32 0, v119
	s_cbranch_execz .LBB6_2325
; %bb.2320:                             ;   in Loop: Header=BB6_130 Depth=2
	v_bfe_u32 v3, v119, 23, 8
	v_and_b32_e32 v2, 0x7fffff, v119
                                        ; implicit-def: $vgpr42
	v_cmp_gt_u32_e64 s13, 0x71, v3
	v_sub_nc_u32_e32 v16, 0x70, v3
	v_cmp_eq_u32_e32 vcc_lo, 0, v3
	v_or_b32_e32 v30, 0x800000, v2
	v_add_nc_u32_e32 v3, 0xffffff91, v3
	v_cndmask_b32_e64 v16, 0, v16, s13
	v_cndmask_b32_e32 v2, v30, v2, vcc_lo
	v_cndmask_b32_e64 v3, v3, 0xffffff92, vcc_lo
	v_cndmask_b32_e64 v16, v16, 0x6f, vcc_lo
	v_lshl_add_u32 v30, 0x200000, v16, -1
	v_lshlrev_b32_e64 v40, v16, 0x100000
	v_and_b32_e32 v30, v30, v2
	v_lshrrev_b32_e32 v2, v16, v2
	v_add_nc_u32_e32 v16, v16, v3
	v_cmp_eq_u32_e64 s13, v30, v40
	v_lshrrev_b32_e32 v3, 23, v2
	v_xor_b32_e32 v40, 1, v3
	v_bfe_u32 v3, v2, 21, 1
	v_add_nc_u32_e32 v3, -1, v3
	v_cndmask_b32_e64 v3, 0, v3, s13
	s_mov_b32 s13, exec_lo
	v_add_nc_u32_e32 v3, v3, v2
	v_and_b32_e32 v3, 0x1fffff, v3
	v_add_nc_u32_e32 v30, v3, v2
	v_cmpx_ne_u32_e64 v16, v40
	s_xor_b32 s13, exec_lo, s13
; %bb.2321:                             ;   in Loop: Header=BB6_130 Depth=2
	v_cmp_lt_u32_e32 vcc_lo, 0xffffff, v30
	v_sub_nc_u32_e32 v2, v16, v40
	v_cndmask_b32_e64 v3, 0, 1, vcc_lo
	v_add_co_ci_u32_e64 v42, null, 0, v2, vcc_lo
	v_lshrrev_b32_e32 v30, v3, v30
; %bb.2322:                             ;   in Loop: Header=BB6_130 Depth=2
	s_andn2_saveexec_b32 s13, s13
; %bb.2323:                             ;   in Loop: Header=BB6_130 Depth=2
	v_bfe_u32 v42, v30, 23, 1
; %bb.2324:                             ;   in Loop: Header=BB6_130 Depth=2
	s_or_b32 exec_lo, exec_lo, s13
	v_lshrrev_b32_e32 v3, 21, v30
	v_min_i32_e32 v16, 31, v42
	v_cmp_gt_i32_e32 vcc_lo, 32, v42
	v_and_b32_sdwa v2, v119, v58 dst_sel:DWORD dst_unused:UNUSED_PAD src0_sel:BYTE_3 src1_sel:DWORD
	v_lshlrev_b32_e32 v16, 2, v16
	v_cndmask_b32_e32 v3, 3, v3, vcc_lo
	v_and_b32_e32 v16, 0xfc, v16
	v_or_b32_e32 v30, v42, v3
	v_and_b32_e32 v3, 3, v3
	v_cmp_ne_u32_e32 vcc_lo, 0, v30
	v_or3_b32 v2, v16, v2, v3
	v_cndmask_b32_e32 v16, 0, v2, vcc_lo
.LBB6_2325:                             ;   in Loop: Header=BB6_130 Depth=2
	s_or_b32 exec_lo, exec_lo, s40
.LBB6_2326:                             ;   in Loop: Header=BB6_130 Depth=2
	s_or_b32 exec_lo, exec_lo, s29
	v_cmp_gt_i16_sdwa s29, v17, v57 src0_sel:BYTE_1 src1_sel:DWORD
	s_andn2_b32 vcc_lo, exec_lo, s28
	s_mov_b32 s13, -1
                                        ; implicit-def: $vgpr119
	s_cbranch_vccnz .LBB6_2340
; %bb.2327:                             ;   in Loop: Header=BB6_130 Depth=2
	s_mov_b32 s13, 0
	s_and_saveexec_b32 s40, s29
	s_xor_b32 s29, exec_lo, s40
	s_cbranch_execz .LBB6_2920
; %bb.2328:                             ;   in Loop: Header=BB6_130 Depth=2
	v_cmp_eq_u16_sdwa s41, v17, v58 src0_sel:BYTE_1 src1_sel:DWORD
	s_mov_b32 s13, -1
	s_and_saveexec_b32 s40, s41
; %bb.2329:                             ;   in Loop: Header=BB6_130 Depth=2
	s_xor_b32 s13, exec_lo, -1
; %bb.2330:                             ;   in Loop: Header=BB6_130 Depth=2
	s_or_b32 exec_lo, exec_lo, s40
	s_and_b32 s13, s13, exec_lo
	s_or_saveexec_b32 s29, s29
	v_mov_b32_e32 v119, 0x7f800001
	s_xor_b32 exec_lo, exec_lo, s29
	s_cbranch_execnz .LBB6_2921
.LBB6_2331:                             ;   in Loop: Header=BB6_130 Depth=2
	s_or_b32 exec_lo, exec_lo, s29
	s_and_saveexec_b32 s29, s13
	s_cbranch_execz .LBB6_2333
.LBB6_2332:                             ;   in Loop: Header=BB6_130 Depth=2
	v_and_b32_sdwa v2, v59, v17 dst_sel:DWORD dst_unused:UNUSED_PAD src0_sel:DWORD src1_sel:BYTE_1
	v_and_b32_e32 v3, 3, v2
	v_bfe_u32 v40, v2, 2, 5
	v_ffbh_u32_e32 v30, v3
	v_cmp_eq_u32_e32 vcc_lo, 0, v40
	v_min_u32_e32 v30, 32, v30
	v_subrev_nc_u32_e32 v119, 29, v30
	v_sub_nc_u32_e32 v30, 30, v30
	v_lshlrev_b32_e32 v2, v119, v2
	v_lshlrev_b32_e32 v119, 16, v17
	v_cndmask_b32_e32 v30, v40, v30, vcc_lo
	v_and_b32_e32 v2, 3, v2
	v_lshl_add_u32 v30, v30, 23, 0x37800000
	v_cndmask_b32_e32 v2, v3, v2, vcc_lo
	v_and_b32_e32 v3, 0x80000000, v119
	v_lshlrev_b32_e32 v2, 21, v2
	v_or3_b32 v119, v3, v30, v2
.LBB6_2333:                             ;   in Loop: Header=BB6_130 Depth=2
	s_or_b32 exec_lo, exec_lo, s29
	v_cmp_gt_i16_sdwa s29, v13, v57 src0_sel:BYTE_1 src1_sel:DWORD
	s_mov_b32 s13, 0
	s_and_saveexec_b32 s40, s29
	s_xor_b32 s29, exec_lo, s40
	s_cbranch_execz .LBB6_2922
; %bb.2334:                             ;   in Loop: Header=BB6_130 Depth=2
	v_cmp_eq_u16_sdwa s41, v13, v58 src0_sel:BYTE_1 src1_sel:DWORD
	s_mov_b32 s13, -1
	s_and_saveexec_b32 s40, s41
; %bb.2335:                             ;   in Loop: Header=BB6_130 Depth=2
	s_xor_b32 s13, exec_lo, -1
; %bb.2336:                             ;   in Loop: Header=BB6_130 Depth=2
	s_or_b32 exec_lo, exec_lo, s40
	s_and_b32 s13, s13, exec_lo
	s_or_saveexec_b32 s29, s29
	v_mov_b32_e32 v2, 0x7f800001
	s_xor_b32 exec_lo, exec_lo, s29
	s_cbranch_execnz .LBB6_2923
.LBB6_2337:                             ;   in Loop: Header=BB6_130 Depth=2
	s_or_b32 exec_lo, exec_lo, s29
	s_and_saveexec_b32 s29, s13
	s_cbranch_execz .LBB6_2339
.LBB6_2338:                             ;   in Loop: Header=BB6_130 Depth=2
	v_and_b32_sdwa v2, v59, v13 dst_sel:DWORD dst_unused:UNUSED_PAD src0_sel:DWORD src1_sel:BYTE_1
	v_and_b32_e32 v3, 3, v2
	v_bfe_u32 v42, v2, 2, 5
	v_ffbh_u32_e32 v30, v3
	v_cmp_eq_u32_e32 vcc_lo, 0, v42
	v_min_u32_e32 v30, 32, v30
	v_subrev_nc_u32_e32 v40, 29, v30
	v_sub_nc_u32_e32 v30, 30, v30
	v_lshlrev_b32_e32 v2, v40, v2
	v_lshlrev_b32_e32 v40, 16, v13
	v_cndmask_b32_e32 v30, v42, v30, vcc_lo
	v_and_b32_e32 v2, 3, v2
	v_lshl_add_u32 v30, v30, 23, 0x37800000
	v_cndmask_b32_e32 v2, v3, v2, vcc_lo
	v_and_b32_e32 v3, 0x80000000, v40
	v_lshlrev_b32_e32 v2, 21, v2
	v_or3_b32 v2, v3, v30, v2
.LBB6_2339:                             ;   in Loop: Header=BB6_130 Depth=2
	s_or_b32 exec_lo, exec_lo, s29
	v_max_f32_e32 v2, v2, v2
	v_max_f32_e32 v3, v119, v119
	s_mov_b32 s13, 0
	v_max_f32_e32 v119, v3, v2
.LBB6_2340:                             ;   in Loop: Header=BB6_130 Depth=2
	s_and_b32 vcc_lo, exec_lo, s13
	s_cbranch_vccz .LBB6_2354
; %bb.2341:                             ;   in Loop: Header=BB6_130 Depth=2
	v_cmp_gt_i16_sdwa s29, v17, v57 src0_sel:BYTE_1 src1_sel:DWORD
	s_mov_b32 s13, 0
	s_and_saveexec_b32 s40, s29
	s_xor_b32 s29, exec_lo, s40
	s_cbranch_execz .LBB6_2924
; %bb.2342:                             ;   in Loop: Header=BB6_130 Depth=2
	v_cmp_eq_u16_sdwa s41, v17, v58 src0_sel:BYTE_1 src1_sel:DWORD
	s_mov_b32 s13, -1
	s_and_saveexec_b32 s40, s41
; %bb.2343:                             ;   in Loop: Header=BB6_130 Depth=2
	s_xor_b32 s13, exec_lo, -1
; %bb.2344:                             ;   in Loop: Header=BB6_130 Depth=2
	s_or_b32 exec_lo, exec_lo, s40
	s_and_b32 s13, s13, exec_lo
	s_or_saveexec_b32 s29, s29
	v_mov_b32_e32 v119, 0x7f800001
	s_xor_b32 exec_lo, exec_lo, s29
	s_cbranch_execnz .LBB6_2925
.LBB6_2345:                             ;   in Loop: Header=BB6_130 Depth=2
	s_or_b32 exec_lo, exec_lo, s29
	s_and_saveexec_b32 s29, s13
	s_cbranch_execz .LBB6_2347
.LBB6_2346:                             ;   in Loop: Header=BB6_130 Depth=2
	v_and_b32_sdwa v2, v59, v17 dst_sel:DWORD dst_unused:UNUSED_PAD src0_sel:DWORD src1_sel:BYTE_1
	v_and_b32_e32 v3, 3, v2
	v_bfe_u32 v40, v2, 2, 5
	v_ffbh_u32_e32 v30, v3
	v_cmp_eq_u32_e32 vcc_lo, 0, v40
	v_min_u32_e32 v30, 32, v30
	v_subrev_nc_u32_e32 v119, 29, v30
	v_sub_nc_u32_e32 v30, 30, v30
	v_lshlrev_b32_e32 v2, v119, v2
	v_lshlrev_b32_e32 v119, 16, v17
	v_cndmask_b32_e32 v30, v40, v30, vcc_lo
	v_and_b32_e32 v2, 3, v2
	v_lshl_add_u32 v30, v30, 23, 0x37800000
	v_cndmask_b32_e32 v2, v3, v2, vcc_lo
	v_and_b32_e32 v3, 0x80000000, v119
	v_lshlrev_b32_e32 v2, 21, v2
	v_or3_b32 v119, v3, v30, v2
.LBB6_2347:                             ;   in Loop: Header=BB6_130 Depth=2
	s_or_b32 exec_lo, exec_lo, s29
	v_cmp_gt_i16_sdwa s29, v13, v57 src0_sel:BYTE_1 src1_sel:DWORD
	s_mov_b32 s13, 0
	s_and_saveexec_b32 s40, s29
	s_xor_b32 s29, exec_lo, s40
	s_cbranch_execz .LBB6_2926
; %bb.2348:                             ;   in Loop: Header=BB6_130 Depth=2
	v_cmp_eq_u16_sdwa s41, v13, v58 src0_sel:BYTE_1 src1_sel:DWORD
	s_mov_b32 s13, -1
	s_and_saveexec_b32 s40, s41
; %bb.2349:                             ;   in Loop: Header=BB6_130 Depth=2
	s_xor_b32 s13, exec_lo, -1
; %bb.2350:                             ;   in Loop: Header=BB6_130 Depth=2
	s_or_b32 exec_lo, exec_lo, s40
	s_and_b32 s13, s13, exec_lo
	s_or_saveexec_b32 s29, s29
	v_mov_b32_e32 v2, 0x7f800001
	s_xor_b32 exec_lo, exec_lo, s29
	s_cbranch_execnz .LBB6_2927
.LBB6_2351:                             ;   in Loop: Header=BB6_130 Depth=2
	s_or_b32 exec_lo, exec_lo, s29
	s_and_saveexec_b32 s29, s13
	s_cbranch_execz .LBB6_2353
.LBB6_2352:                             ;   in Loop: Header=BB6_130 Depth=2
	v_and_b32_sdwa v2, v59, v13 dst_sel:DWORD dst_unused:UNUSED_PAD src0_sel:DWORD src1_sel:BYTE_1
	v_and_b32_e32 v3, 3, v2
	v_bfe_u32 v42, v2, 2, 5
	v_ffbh_u32_e32 v30, v3
	v_cmp_eq_u32_e32 vcc_lo, 0, v42
	v_min_u32_e32 v30, 32, v30
	v_subrev_nc_u32_e32 v40, 29, v30
	v_sub_nc_u32_e32 v30, 30, v30
	v_lshlrev_b32_e32 v2, v40, v2
	v_lshlrev_b32_e32 v40, 16, v13
	v_cndmask_b32_e32 v30, v42, v30, vcc_lo
	v_and_b32_e32 v2, 3, v2
	v_lshl_add_u32 v30, v30, 23, 0x37800000
	v_cndmask_b32_e32 v2, v3, v2, vcc_lo
	v_and_b32_e32 v3, 0x80000000, v40
	v_lshlrev_b32_e32 v2, 21, v2
	v_or3_b32 v2, v3, v30, v2
.LBB6_2353:                             ;   in Loop: Header=BB6_130 Depth=2
	s_or_b32 exec_lo, exec_lo, s29
	v_max_f32_e32 v2, v2, v2
	v_max_f32_e32 v3, v119, v119
	v_min_f32_e32 v119, v3, v2
.LBB6_2354:                             ;   in Loop: Header=BB6_130 Depth=2
	v_and_b32_e32 v2, 0x7f800000, v119
	v_mov_b32_e32 v126, 0x8000
	s_mov_b32 s29, exec_lo
	v_cmpx_ne_u32_e32 0x7f800000, v2
	s_cbranch_execz .LBB6_2362
; %bb.2355:                             ;   in Loop: Header=BB6_130 Depth=2
	v_mov_b32_e32 v126, 0
	s_mov_b32 s40, exec_lo
	v_cmpx_ne_u32_e32 0, v119
	s_cbranch_execz .LBB6_2361
; %bb.2356:                             ;   in Loop: Header=BB6_130 Depth=2
	v_bfe_u32 v3, v119, 23, 8
	v_and_b32_e32 v2, 0x7fffff, v119
	v_cmp_gt_u32_e64 s13, 0x71, v3
	v_sub_nc_u32_e32 v30, 0x70, v3
	v_cmp_eq_u32_e32 vcc_lo, 0, v3
	v_or_b32_e32 v40, 0x800000, v2
	v_add_nc_u32_e32 v3, 0xffffff91, v3
	v_cndmask_b32_e64 v30, 0, v30, s13
	v_cndmask_b32_e32 v2, v40, v2, vcc_lo
	v_cndmask_b32_e64 v3, v3, 0xffffff92, vcc_lo
	v_cndmask_b32_e64 v30, v30, 0x6f, vcc_lo
	v_lshl_add_u32 v40, 0x200000, v30, -1
	v_lshlrev_b32_e64 v42, v30, 0x100000
	v_and_b32_e32 v40, v40, v2
	v_lshrrev_b32_e32 v2, v30, v2
	v_cmp_eq_u32_e64 s13, v40, v42
	v_add_nc_u32_e32 v40, v30, v3
	v_lshrrev_b32_e32 v3, 23, v2
                                        ; implicit-def: $vgpr42
	v_xor_b32_e32 v126, 1, v3
	v_bfe_u32 v3, v2, 21, 1
	v_add_nc_u32_e32 v3, -1, v3
	v_cndmask_b32_e64 v3, 0, v3, s13
	s_mov_b32 s13, exec_lo
	v_add_nc_u32_e32 v3, v3, v2
	v_and_b32_e32 v3, 0x1fffff, v3
	v_add_nc_u32_e32 v30, v3, v2
	v_cmpx_ne_u32_e64 v40, v126
	s_xor_b32 s13, exec_lo, s13
; %bb.2357:                             ;   in Loop: Header=BB6_130 Depth=2
	v_cmp_lt_u32_e32 vcc_lo, 0xffffff, v30
	v_sub_nc_u32_e32 v2, v40, v126
	v_cndmask_b32_e64 v3, 0, 1, vcc_lo
	v_add_co_ci_u32_e64 v42, null, 0, v2, vcc_lo
	v_lshrrev_b32_e32 v30, v3, v30
; %bb.2358:                             ;   in Loop: Header=BB6_130 Depth=2
	s_andn2_saveexec_b32 s13, s13
; %bb.2359:                             ;   in Loop: Header=BB6_130 Depth=2
	v_bfe_u32 v42, v30, 23, 1
; %bb.2360:                             ;   in Loop: Header=BB6_130 Depth=2
	s_or_b32 exec_lo, exec_lo, s13
	v_lshrrev_b32_e32 v3, 21, v30
	v_min_i32_e32 v30, 31, v42
	v_cmp_gt_i32_e32 vcc_lo, 32, v42
	v_and_b32_sdwa v2, v119, v58 dst_sel:DWORD dst_unused:UNUSED_PAD src0_sel:BYTE_3 src1_sel:DWORD
	v_lshlrev_b32_e32 v30, 2, v30
	v_cndmask_b32_e32 v3, 3, v3, vcc_lo
	v_and_b32_e32 v30, 0xfc, v30
	v_or_b32_e32 v119, v42, v3
	v_and_b32_e32 v3, 3, v3
	v_cmp_ne_u32_e32 vcc_lo, 0, v119
	v_or3_b32 v2, v2, v30, v3
	v_lshlrev_b32_e32 v2, 8, v2
	v_cndmask_b32_e32 v126, 0, v2, vcc_lo
.LBB6_2361:                             ;   in Loop: Header=BB6_130 Depth=2
	s_or_b32 exec_lo, exec_lo, s40
.LBB6_2362:                             ;   in Loop: Header=BB6_130 Depth=2
	s_or_b32 exec_lo, exec_lo, s29
	v_and_b32_sdwa v119, v17, v60 dst_sel:DWORD dst_unused:UNUSED_PAD src0_sel:WORD_1 src1_sel:DWORD
	s_andn2_b32 vcc_lo, exec_lo, s28
	s_mov_b32 s29, -1
                                        ; implicit-def: $vgpr40
	v_cmp_lt_i16_e64 s13, 0x7f, v119
	s_cbranch_vccnz .LBB6_2376
; %bb.2363:                             ;   in Loop: Header=BB6_130 Depth=2
	s_mov_b32 s29, 0
	s_and_saveexec_b32 s40, s13
	s_xor_b32 s13, exec_lo, s40
	s_cbranch_execz .LBB6_2928
; %bb.2364:                             ;   in Loop: Header=BB6_130 Depth=2
	s_mov_b32 s29, -1
	s_mov_b32 s40, exec_lo
	v_cmpx_eq_u16_e32 0x80, v119
; %bb.2365:                             ;   in Loop: Header=BB6_130 Depth=2
	s_xor_b32 s29, exec_lo, -1
; %bb.2366:                             ;   in Loop: Header=BB6_130 Depth=2
	s_or_b32 exec_lo, exec_lo, s40
	s_and_b32 s29, s29, exec_lo
	s_or_saveexec_b32 s13, s13
	v_mov_b32_e32 v40, 0x7f800001
	s_xor_b32 exec_lo, exec_lo, s13
	s_cbranch_execnz .LBB6_2929
.LBB6_2367:                             ;   in Loop: Header=BB6_130 Depth=2
	s_or_b32 exec_lo, exec_lo, s13
	s_and_saveexec_b32 s13, s29
	s_cbranch_execz .LBB6_2369
.LBB6_2368:                             ;   in Loop: Header=BB6_130 Depth=2
	v_bfe_u32 v2, v17, 16, 2
	v_bfe_u32 v3, v17, 18, 5
	v_ffbh_u32_e32 v30, v2
	v_cmp_eq_u32_e32 vcc_lo, 0, v3
	v_min_u32_e32 v30, 32, v30
	v_subrev_nc_u32_e32 v40, 29, v30
	v_sub_nc_u32_e32 v30, 30, v30
	v_lshlrev_b32_sdwa v40, v40, v17 dst_sel:DWORD dst_unused:UNUSED_PAD src0_sel:DWORD src1_sel:WORD_1
	v_cndmask_b32_e32 v3, v3, v30, vcc_lo
	v_lshlrev_b32_sdwa v30, v61, v17 dst_sel:DWORD dst_unused:UNUSED_PAD src0_sel:DWORD src1_sel:WORD_1
	v_and_b32_e32 v40, 3, v40
	v_lshl_add_u32 v3, v3, 23, 0x37800000
	v_and_b32_e32 v30, 0x80000000, v30
	v_cndmask_b32_e32 v2, v2, v40, vcc_lo
	v_lshlrev_b32_e32 v2, 21, v2
	v_or3_b32 v40, v30, v3, v2
.LBB6_2369:                             ;   in Loop: Header=BB6_130 Depth=2
	s_or_b32 exec_lo, exec_lo, s13
	v_and_b32_sdwa v3, v13, v60 dst_sel:DWORD dst_unused:UNUSED_PAD src0_sel:WORD_1 src1_sel:DWORD
	s_mov_b32 s29, 0
	s_mov_b32 s13, exec_lo
	v_cmpx_lt_i16_e32 0x7f, v3
	s_xor_b32 s13, exec_lo, s13
	s_cbranch_execz .LBB6_2930
; %bb.2370:                             ;   in Loop: Header=BB6_130 Depth=2
	s_mov_b32 s29, -1
	s_mov_b32 s40, exec_lo
	v_cmpx_eq_u16_e32 0x80, v3
; %bb.2371:                             ;   in Loop: Header=BB6_130 Depth=2
	s_xor_b32 s29, exec_lo, -1
; %bb.2372:                             ;   in Loop: Header=BB6_130 Depth=2
	s_or_b32 exec_lo, exec_lo, s40
	s_and_b32 s29, s29, exec_lo
                                        ; implicit-def: $vgpr3
	s_or_saveexec_b32 s13, s13
	v_mov_b32_e32 v2, 0x7f800001
	s_xor_b32 exec_lo, exec_lo, s13
	s_cbranch_execnz .LBB6_2931
.LBB6_2373:                             ;   in Loop: Header=BB6_130 Depth=2
	s_or_b32 exec_lo, exec_lo, s13
	s_and_saveexec_b32 s13, s29
	s_cbranch_execz .LBB6_2375
.LBB6_2374:                             ;   in Loop: Header=BB6_130 Depth=2
	v_bfe_u32 v2, v13, 16, 2
	v_bfe_u32 v3, v13, 18, 5
	v_ffbh_u32_e32 v30, v2
	v_cmp_eq_u32_e32 vcc_lo, 0, v3
	v_min_u32_e32 v30, 32, v30
	v_subrev_nc_u32_e32 v42, 29, v30
	v_sub_nc_u32_e32 v30, 30, v30
	v_lshlrev_b32_sdwa v42, v42, v13 dst_sel:DWORD dst_unused:UNUSED_PAD src0_sel:DWORD src1_sel:WORD_1
	v_cndmask_b32_e32 v3, v3, v30, vcc_lo
	v_lshlrev_b32_sdwa v30, v61, v13 dst_sel:DWORD dst_unused:UNUSED_PAD src0_sel:DWORD src1_sel:WORD_1
	v_and_b32_e32 v42, 3, v42
	v_lshl_add_u32 v3, v3, 23, 0x37800000
	v_and_b32_e32 v30, 0x80000000, v30
	v_cndmask_b32_e32 v2, v2, v42, vcc_lo
	v_lshlrev_b32_e32 v2, 21, v2
	v_or3_b32 v2, v30, v3, v2
.LBB6_2375:                             ;   in Loop: Header=BB6_130 Depth=2
	s_or_b32 exec_lo, exec_lo, s13
	v_max_f32_e32 v2, v2, v2
	v_max_f32_e32 v3, v40, v40
	s_mov_b32 s29, 0
	v_max_f32_e32 v40, v3, v2
.LBB6_2376:                             ;   in Loop: Header=BB6_130 Depth=2
	s_and_b32 vcc_lo, exec_lo, s29
	s_cbranch_vccz .LBB6_2390
; %bb.2377:                             ;   in Loop: Header=BB6_130 Depth=2
	s_mov_b32 s29, 0
	s_mov_b32 s13, exec_lo
	v_cmpx_lt_i16_e32 0x7f, v119
	s_xor_b32 s13, exec_lo, s13
	s_cbranch_execz .LBB6_2932
; %bb.2378:                             ;   in Loop: Header=BB6_130 Depth=2
	s_mov_b32 s29, -1
	s_mov_b32 s40, exec_lo
	v_cmpx_eq_u16_e32 0x80, v119
; %bb.2379:                             ;   in Loop: Header=BB6_130 Depth=2
	s_xor_b32 s29, exec_lo, -1
; %bb.2380:                             ;   in Loop: Header=BB6_130 Depth=2
	s_or_b32 exec_lo, exec_lo, s40
	s_and_b32 s29, s29, exec_lo
                                        ; implicit-def: $vgpr119
	s_or_saveexec_b32 s13, s13
	v_mov_b32_e32 v40, 0x7f800001
	s_xor_b32 exec_lo, exec_lo, s13
	s_cbranch_execnz .LBB6_2933
.LBB6_2381:                             ;   in Loop: Header=BB6_130 Depth=2
	s_or_b32 exec_lo, exec_lo, s13
	s_and_saveexec_b32 s13, s29
	s_cbranch_execz .LBB6_2383
.LBB6_2382:                             ;   in Loop: Header=BB6_130 Depth=2
	v_bfe_u32 v2, v17, 16, 2
	v_bfe_u32 v3, v17, 18, 5
	v_ffbh_u32_e32 v30, v2
	v_cmp_eq_u32_e32 vcc_lo, 0, v3
	v_min_u32_e32 v30, 32, v30
	v_subrev_nc_u32_e32 v119, 29, v30
	v_sub_nc_u32_e32 v30, 30, v30
	v_lshlrev_b32_sdwa v119, v119, v17 dst_sel:DWORD dst_unused:UNUSED_PAD src0_sel:DWORD src1_sel:WORD_1
	v_cndmask_b32_e32 v3, v3, v30, vcc_lo
	v_lshlrev_b32_sdwa v30, v61, v17 dst_sel:DWORD dst_unused:UNUSED_PAD src0_sel:DWORD src1_sel:WORD_1
	v_and_b32_e32 v119, 3, v119
	v_lshl_add_u32 v3, v3, 23, 0x37800000
	v_and_b32_e32 v30, 0x80000000, v30
	v_cndmask_b32_e32 v2, v2, v119, vcc_lo
	v_lshlrev_b32_e32 v2, 21, v2
	v_or3_b32 v40, v30, v3, v2
.LBB6_2383:                             ;   in Loop: Header=BB6_130 Depth=2
	s_or_b32 exec_lo, exec_lo, s13
	v_and_b32_sdwa v3, v13, v60 dst_sel:DWORD dst_unused:UNUSED_PAD src0_sel:WORD_1 src1_sel:DWORD
	s_mov_b32 s29, 0
	s_mov_b32 s13, exec_lo
	v_cmpx_lt_i16_e32 0x7f, v3
	s_xor_b32 s13, exec_lo, s13
	s_cbranch_execz .LBB6_2934
; %bb.2384:                             ;   in Loop: Header=BB6_130 Depth=2
	s_mov_b32 s29, -1
	s_mov_b32 s40, exec_lo
	v_cmpx_eq_u16_e32 0x80, v3
; %bb.2385:                             ;   in Loop: Header=BB6_130 Depth=2
	s_xor_b32 s29, exec_lo, -1
; %bb.2386:                             ;   in Loop: Header=BB6_130 Depth=2
	s_or_b32 exec_lo, exec_lo, s40
	s_and_b32 s29, s29, exec_lo
                                        ; implicit-def: $vgpr3
	s_or_saveexec_b32 s13, s13
	v_mov_b32_e32 v2, 0x7f800001
	s_xor_b32 exec_lo, exec_lo, s13
	s_cbranch_execnz .LBB6_2935
.LBB6_2387:                             ;   in Loop: Header=BB6_130 Depth=2
	s_or_b32 exec_lo, exec_lo, s13
	s_and_saveexec_b32 s13, s29
	s_cbranch_execz .LBB6_2389
.LBB6_2388:                             ;   in Loop: Header=BB6_130 Depth=2
	v_bfe_u32 v2, v13, 16, 2
	v_bfe_u32 v3, v13, 18, 5
	v_ffbh_u32_e32 v30, v2
	v_cmp_eq_u32_e32 vcc_lo, 0, v3
	v_min_u32_e32 v30, 32, v30
	v_subrev_nc_u32_e32 v119, 29, v30
	v_sub_nc_u32_e32 v30, 30, v30
	v_lshlrev_b32_sdwa v119, v119, v13 dst_sel:DWORD dst_unused:UNUSED_PAD src0_sel:DWORD src1_sel:WORD_1
	v_cndmask_b32_e32 v3, v3, v30, vcc_lo
	v_lshlrev_b32_sdwa v30, v61, v13 dst_sel:DWORD dst_unused:UNUSED_PAD src0_sel:DWORD src1_sel:WORD_1
	v_and_b32_e32 v119, 3, v119
	v_lshl_add_u32 v3, v3, 23, 0x37800000
	v_and_b32_e32 v30, 0x80000000, v30
	v_cndmask_b32_e32 v2, v2, v119, vcc_lo
	v_lshlrev_b32_e32 v2, 21, v2
	v_or3_b32 v2, v30, v3, v2
.LBB6_2389:                             ;   in Loop: Header=BB6_130 Depth=2
	s_or_b32 exec_lo, exec_lo, s13
	v_max_f32_e32 v2, v2, v2
	v_max_f32_e32 v3, v40, v40
	v_min_f32_e32 v40, v3, v2
.LBB6_2390:                             ;   in Loop: Header=BB6_130 Depth=2
	v_and_b32_e32 v2, 0x7f800000, v40
	v_mov_b32_e32 v119, 0x80
	s_mov_b32 s29, exec_lo
	v_cmpx_ne_u32_e32 0x7f800000, v2
	s_cbranch_execz .LBB6_2398
; %bb.2391:                             ;   in Loop: Header=BB6_130 Depth=2
	v_mov_b32_e32 v119, 0
	s_mov_b32 s40, exec_lo
	v_cmpx_ne_u32_e32 0, v40
	s_cbranch_execz .LBB6_2397
; %bb.2392:                             ;   in Loop: Header=BB6_130 Depth=2
	v_bfe_u32 v3, v40, 23, 8
	v_and_b32_e32 v2, 0x7fffff, v40
	v_cmp_gt_u32_e64 s13, 0x71, v3
	v_sub_nc_u32_e32 v30, 0x70, v3
	v_cmp_eq_u32_e32 vcc_lo, 0, v3
	v_or_b32_e32 v119, 0x800000, v2
	v_add_nc_u32_e32 v3, 0xffffff91, v3
	v_cndmask_b32_e64 v30, 0, v30, s13
	v_cndmask_b32_e32 v2, v119, v2, vcc_lo
	v_cndmask_b32_e64 v3, v3, 0xffffff92, vcc_lo
	v_cndmask_b32_e64 v30, v30, 0x6f, vcc_lo
	v_lshl_add_u32 v119, 0x200000, v30, -1
	v_lshlrev_b32_e64 v42, v30, 0x100000
	v_and_b32_e32 v119, v119, v2
	v_lshrrev_b32_e32 v2, v30, v2
	v_cmp_eq_u32_e64 s13, v119, v42
	v_add_nc_u32_e32 v119, v30, v3
	v_lshrrev_b32_e32 v3, 23, v2
	v_xor_b32_e32 v30, 1, v3
	v_bfe_u32 v3, v2, 21, 1
	v_add_nc_u32_e32 v3, -1, v3
	v_cndmask_b32_e64 v3, 0, v3, s13
	s_mov_b32 s13, exec_lo
	v_add_nc_u32_e32 v3, v3, v2
	v_and_b32_e32 v3, 0x1fffff, v3
	v_add_nc_u32_e32 v42, v3, v2
                                        ; implicit-def: $vgpr2
	v_cmpx_ne_u32_e64 v119, v30
	s_xor_b32 s13, exec_lo, s13
; %bb.2393:                             ;   in Loop: Header=BB6_130 Depth=2
	v_cmp_lt_u32_e32 vcc_lo, 0xffffff, v42
	v_sub_nc_u32_e32 v2, v119, v30
	v_cndmask_b32_e64 v3, 0, 1, vcc_lo
	v_add_co_ci_u32_e64 v2, null, 0, v2, vcc_lo
	v_lshrrev_b32_e32 v42, v3, v42
; %bb.2394:                             ;   in Loop: Header=BB6_130 Depth=2
	s_andn2_saveexec_b32 s13, s13
; %bb.2395:                             ;   in Loop: Header=BB6_130 Depth=2
	v_bfe_u32 v2, v42, 23, 1
; %bb.2396:                             ;   in Loop: Header=BB6_130 Depth=2
	s_or_b32 exec_lo, exec_lo, s13
	v_lshrrev_b32_e32 v30, 21, v42
	v_min_i32_e32 v119, 31, v2
	v_cmp_gt_i32_e32 vcc_lo, 32, v2
	v_and_b32_sdwa v3, v40, v58 dst_sel:DWORD dst_unused:UNUSED_PAD src0_sel:BYTE_3 src1_sel:DWORD
	v_lshlrev_b32_e32 v119, 2, v119
	v_cndmask_b32_e32 v30, 3, v30, vcc_lo
	v_and_b32_e32 v119, 0xfc, v119
	v_or_b32_e32 v2, v2, v30
	v_and_b32_e32 v30, 3, v30
	v_cmp_ne_u32_e32 vcc_lo, 0, v2
	v_or3_b32 v3, v119, v3, v30
	v_cndmask_b32_e32 v119, 0, v3, vcc_lo
.LBB6_2397:                             ;   in Loop: Header=BB6_130 Depth=2
	s_or_b32 exec_lo, exec_lo, s40
.LBB6_2398:                             ;   in Loop: Header=BB6_130 Depth=2
	s_or_b32 exec_lo, exec_lo, s29
	v_cmp_gt_i16_sdwa s29, v17, v57 src0_sel:BYTE_3 src1_sel:DWORD
	s_andn2_b32 vcc_lo, exec_lo, s28
	s_mov_b32 s13, -1
                                        ; implicit-def: $vgpr40
	s_cbranch_vccnz .LBB6_2412
; %bb.2399:                             ;   in Loop: Header=BB6_130 Depth=2
	s_mov_b32 s13, 0
	s_and_saveexec_b32 s40, s29
	s_xor_b32 s29, exec_lo, s40
	s_cbranch_execz .LBB6_2936
; %bb.2400:                             ;   in Loop: Header=BB6_130 Depth=2
	v_cmp_eq_u16_sdwa s41, v17, v58 src0_sel:BYTE_3 src1_sel:DWORD
	s_mov_b32 s13, -1
	s_and_saveexec_b32 s40, s41
; %bb.2401:                             ;   in Loop: Header=BB6_130 Depth=2
	s_xor_b32 s13, exec_lo, -1
; %bb.2402:                             ;   in Loop: Header=BB6_130 Depth=2
	s_or_b32 exec_lo, exec_lo, s40
	s_and_b32 s13, s13, exec_lo
	s_or_saveexec_b32 s29, s29
	v_mov_b32_e32 v40, 0x7f800001
	s_xor_b32 exec_lo, exec_lo, s29
	s_cbranch_execnz .LBB6_2937
.LBB6_2403:                             ;   in Loop: Header=BB6_130 Depth=2
	s_or_b32 exec_lo, exec_lo, s29
	s_and_saveexec_b32 s29, s13
	s_cbranch_execz .LBB6_2405
.LBB6_2404:                             ;   in Loop: Header=BB6_130 Depth=2
	v_bfe_u32 v2, v17, 24, 2
	v_bfe_u32 v40, v17, 26, 5
	v_ffbh_u32_e32 v3, v2
	v_cmp_eq_u32_e32 vcc_lo, 0, v40
	v_min_u32_e32 v3, 32, v3
	v_subrev_nc_u32_e32 v30, 29, v3
	v_sub_nc_u32_e32 v3, 30, v3
	v_lshlrev_b32_sdwa v30, v30, v17 dst_sel:DWORD dst_unused:UNUSED_PAD src0_sel:DWORD src1_sel:BYTE_3
	v_cndmask_b32_e32 v3, v40, v3, vcc_lo
	v_and_b32_e32 v30, 3, v30
	v_lshl_add_u32 v3, v3, 23, 0x37800000
	v_cndmask_b32_e32 v2, v2, v30, vcc_lo
	v_and_b32_e32 v30, 0x80000000, v17
	v_lshlrev_b32_e32 v2, 21, v2
	v_or3_b32 v40, v30, v3, v2
.LBB6_2405:                             ;   in Loop: Header=BB6_130 Depth=2
	s_or_b32 exec_lo, exec_lo, s29
	v_cmp_gt_i16_sdwa s29, v13, v57 src0_sel:BYTE_3 src1_sel:DWORD
	s_mov_b32 s13, 0
	s_and_saveexec_b32 s40, s29
	s_xor_b32 s29, exec_lo, s40
	s_cbranch_execz .LBB6_2938
; %bb.2406:                             ;   in Loop: Header=BB6_130 Depth=2
	v_cmp_eq_u16_sdwa s41, v13, v58 src0_sel:BYTE_3 src1_sel:DWORD
	s_mov_b32 s13, -1
	s_and_saveexec_b32 s40, s41
; %bb.2407:                             ;   in Loop: Header=BB6_130 Depth=2
	s_xor_b32 s13, exec_lo, -1
; %bb.2408:                             ;   in Loop: Header=BB6_130 Depth=2
	s_or_b32 exec_lo, exec_lo, s40
	s_and_b32 s13, s13, exec_lo
	s_or_saveexec_b32 s29, s29
	v_mov_b32_e32 v2, 0x7f800001
	s_xor_b32 exec_lo, exec_lo, s29
	s_cbranch_execnz .LBB6_2939
.LBB6_2409:                             ;   in Loop: Header=BB6_130 Depth=2
	s_or_b32 exec_lo, exec_lo, s29
	s_and_saveexec_b32 s29, s13
	s_cbranch_execz .LBB6_2411
.LBB6_2410:                             ;   in Loop: Header=BB6_130 Depth=2
	v_bfe_u32 v2, v13, 24, 2
	v_bfe_u32 v42, v13, 26, 5
	v_ffbh_u32_e32 v3, v2
	v_cmp_eq_u32_e32 vcc_lo, 0, v42
	v_min_u32_e32 v3, 32, v3
	v_subrev_nc_u32_e32 v30, 29, v3
	v_sub_nc_u32_e32 v3, 30, v3
	v_lshlrev_b32_sdwa v30, v30, v13 dst_sel:DWORD dst_unused:UNUSED_PAD src0_sel:DWORD src1_sel:BYTE_3
	v_cndmask_b32_e32 v3, v42, v3, vcc_lo
	v_and_b32_e32 v30, 3, v30
	v_lshl_add_u32 v3, v3, 23, 0x37800000
	v_cndmask_b32_e32 v2, v2, v30, vcc_lo
	v_and_b32_e32 v30, 0x80000000, v13
	v_lshlrev_b32_e32 v2, 21, v2
	v_or3_b32 v2, v30, v3, v2
.LBB6_2411:                             ;   in Loop: Header=BB6_130 Depth=2
	s_or_b32 exec_lo, exec_lo, s29
	v_max_f32_e32 v2, v2, v2
	v_max_f32_e32 v3, v40, v40
	s_mov_b32 s13, 0
	v_max_f32_e32 v40, v3, v2
.LBB6_2412:                             ;   in Loop: Header=BB6_130 Depth=2
	s_and_b32 vcc_lo, exec_lo, s13
	s_cbranch_vccz .LBB6_2426
; %bb.2413:                             ;   in Loop: Header=BB6_130 Depth=2
	v_cmp_gt_i16_sdwa s29, v17, v57 src0_sel:BYTE_3 src1_sel:DWORD
	s_mov_b32 s13, 0
	s_and_saveexec_b32 s40, s29
	s_xor_b32 s29, exec_lo, s40
	s_cbranch_execz .LBB6_2940
; %bb.2414:                             ;   in Loop: Header=BB6_130 Depth=2
	v_cmp_eq_u16_sdwa s41, v17, v58 src0_sel:BYTE_3 src1_sel:DWORD
	s_mov_b32 s13, -1
	s_and_saveexec_b32 s40, s41
; %bb.2415:                             ;   in Loop: Header=BB6_130 Depth=2
	s_xor_b32 s13, exec_lo, -1
; %bb.2416:                             ;   in Loop: Header=BB6_130 Depth=2
	s_or_b32 exec_lo, exec_lo, s40
	s_and_b32 s13, s13, exec_lo
	s_or_saveexec_b32 s29, s29
	v_mov_b32_e32 v40, 0x7f800001
	s_xor_b32 exec_lo, exec_lo, s29
	s_cbranch_execnz .LBB6_2941
.LBB6_2417:                             ;   in Loop: Header=BB6_130 Depth=2
	s_or_b32 exec_lo, exec_lo, s29
	s_and_saveexec_b32 s29, s13
	s_cbranch_execz .LBB6_2419
.LBB6_2418:                             ;   in Loop: Header=BB6_130 Depth=2
	v_bfe_u32 v2, v17, 24, 2
	v_bfe_u32 v40, v17, 26, 5
	v_ffbh_u32_e32 v3, v2
	v_cmp_eq_u32_e32 vcc_lo, 0, v40
	v_min_u32_e32 v3, 32, v3
	v_subrev_nc_u32_e32 v30, 29, v3
	v_sub_nc_u32_e32 v3, 30, v3
	v_lshlrev_b32_sdwa v30, v30, v17 dst_sel:DWORD dst_unused:UNUSED_PAD src0_sel:DWORD src1_sel:BYTE_3
	v_cndmask_b32_e32 v3, v40, v3, vcc_lo
	v_and_b32_e32 v17, 0x80000000, v17
	v_and_b32_e32 v30, 3, v30
	v_lshl_add_u32 v3, v3, 23, 0x37800000
	v_cndmask_b32_e32 v2, v2, v30, vcc_lo
	v_lshlrev_b32_e32 v2, 21, v2
	v_or3_b32 v40, v17, v3, v2
.LBB6_2419:                             ;   in Loop: Header=BB6_130 Depth=2
	s_or_b32 exec_lo, exec_lo, s29
	v_cmp_gt_i16_sdwa s29, v13, v57 src0_sel:BYTE_3 src1_sel:DWORD
	s_mov_b32 s13, 0
	s_and_saveexec_b32 s40, s29
	s_xor_b32 s29, exec_lo, s40
	s_cbranch_execz .LBB6_2942
; %bb.2420:                             ;   in Loop: Header=BB6_130 Depth=2
	v_cmp_eq_u16_sdwa s41, v13, v58 src0_sel:BYTE_3 src1_sel:DWORD
	s_mov_b32 s13, -1
	s_and_saveexec_b32 s40, s41
; %bb.2421:                             ;   in Loop: Header=BB6_130 Depth=2
	s_xor_b32 s13, exec_lo, -1
; %bb.2422:                             ;   in Loop: Header=BB6_130 Depth=2
	s_or_b32 exec_lo, exec_lo, s40
	s_and_b32 s13, s13, exec_lo
	s_or_saveexec_b32 s29, s29
	v_mov_b32_e32 v2, 0x7f800001
	s_xor_b32 exec_lo, exec_lo, s29
	s_cbranch_execnz .LBB6_2943
.LBB6_2423:                             ;   in Loop: Header=BB6_130 Depth=2
	s_or_b32 exec_lo, exec_lo, s29
	s_and_saveexec_b32 s29, s13
	s_cbranch_execz .LBB6_2425
.LBB6_2424:                             ;   in Loop: Header=BB6_130 Depth=2
	v_bfe_u32 v2, v13, 24, 2
	v_bfe_u32 v30, v13, 26, 5
	v_ffbh_u32_e32 v3, v2
	v_cmp_eq_u32_e32 vcc_lo, 0, v30
	v_min_u32_e32 v3, 32, v3
	v_subrev_nc_u32_e32 v17, 29, v3
	v_sub_nc_u32_e32 v3, 30, v3
	v_lshlrev_b32_sdwa v17, v17, v13 dst_sel:DWORD dst_unused:UNUSED_PAD src0_sel:DWORD src1_sel:BYTE_3
	v_cndmask_b32_e32 v3, v30, v3, vcc_lo
	v_and_b32_e32 v13, 0x80000000, v13
	v_and_b32_e32 v17, 3, v17
	v_lshl_add_u32 v3, v3, 23, 0x37800000
	v_cndmask_b32_e32 v2, v2, v17, vcc_lo
	v_lshlrev_b32_e32 v2, 21, v2
	v_or3_b32 v2, v13, v3, v2
.LBB6_2425:                             ;   in Loop: Header=BB6_130 Depth=2
	s_or_b32 exec_lo, exec_lo, s29
	v_max_f32_e32 v2, v2, v2
	v_max_f32_e32 v3, v40, v40
	v_min_f32_e32 v40, v3, v2
.LBB6_2426:                             ;   in Loop: Header=BB6_130 Depth=2
	v_and_b32_e32 v2, 0x7f800000, v40
	v_mov_b32_e32 v13, 0x8000
	s_mov_b32 s29, exec_lo
	v_cmpx_ne_u32_e32 0x7f800000, v2
	s_cbranch_execz .LBB6_129
; %bb.2427:                             ;   in Loop: Header=BB6_130 Depth=2
	v_mov_b32_e32 v13, 0
	s_mov_b32 s40, exec_lo
	v_cmpx_ne_u32_e32 0, v40
	s_cbranch_execz .LBB6_128
; %bb.2428:                             ;   in Loop: Header=BB6_130 Depth=2
	v_bfe_u32 v3, v40, 23, 8
	v_and_b32_e32 v2, 0x7fffff, v40
	v_cmp_gt_u32_e64 s13, 0x71, v3
	v_sub_nc_u32_e32 v13, 0x70, v3
	v_cmp_eq_u32_e32 vcc_lo, 0, v3
	v_or_b32_e32 v17, 0x800000, v2
	v_add_nc_u32_e32 v3, 0xffffff91, v3
	v_cndmask_b32_e64 v13, 0, v13, s13
	v_cndmask_b32_e32 v2, v17, v2, vcc_lo
	v_cndmask_b32_e64 v3, v3, 0xffffff92, vcc_lo
	v_cndmask_b32_e64 v13, v13, 0x6f, vcc_lo
	v_lshl_add_u32 v17, 0x200000, v13, -1
	v_lshlrev_b32_e64 v30, v13, 0x100000
	v_and_b32_e32 v17, v17, v2
	v_lshrrev_b32_e32 v2, v13, v2
	v_add_nc_u32_e32 v13, v13, v3
	v_cmp_eq_u32_e64 s13, v17, v30
	v_lshrrev_b32_e32 v3, 23, v2
	v_xor_b32_e32 v17, 1, v3
	v_bfe_u32 v3, v2, 21, 1
	v_add_nc_u32_e32 v3, -1, v3
	v_cndmask_b32_e64 v3, 0, v3, s13
	s_mov_b32 s13, exec_lo
	v_add_nc_u32_e32 v3, v3, v2
	v_and_b32_e32 v3, 0x1fffff, v3
	v_add_nc_u32_e32 v30, v3, v2
                                        ; implicit-def: $vgpr2
	v_cmpx_ne_u32_e64 v13, v17
	s_xor_b32 s13, exec_lo, s13
; %bb.2429:                             ;   in Loop: Header=BB6_130 Depth=2
	v_cmp_lt_u32_e32 vcc_lo, 0xffffff, v30
	v_sub_nc_u32_e32 v2, v13, v17
	v_cndmask_b32_e64 v3, 0, 1, vcc_lo
	v_add_co_ci_u32_e64 v2, null, 0, v2, vcc_lo
	v_lshrrev_b32_e32 v30, v3, v30
; %bb.2430:                             ;   in Loop: Header=BB6_130 Depth=2
	s_andn2_saveexec_b32 s13, s13
	s_cbranch_execz .LBB6_127
; %bb.2431:                             ;   in Loop: Header=BB6_130 Depth=2
	v_bfe_u32 v2, v30, 23, 1
	s_branch .LBB6_127
.LBB6_2432:                             ;   in Loop: Header=BB6_130 Depth=2
	s_or_saveexec_b32 s29, s29
	v_mov_b32_e32 v119, 0x7f800001
	s_xor_b32 exec_lo, exec_lo, s29
	s_cbranch_execz .LBB6_135
.LBB6_2433:                             ;   in Loop: Header=BB6_130 Depth=2
	v_cmp_ne_u16_sdwa s40, v48, v84 src0_sel:BYTE_0 src1_sel:DWORD
	v_mov_b32_e32 v119, 0
	s_andn2_b32 s13, s13, exec_lo
	s_and_b32 s40, s40, exec_lo
	s_or_b32 s13, s13, s40
	s_or_b32 exec_lo, exec_lo, s29
	s_and_saveexec_b32 s29, s13
	s_cbranch_execnz .LBB6_136
	s_branch .LBB6_137
.LBB6_2434:                             ;   in Loop: Header=BB6_130 Depth=2
	s_or_saveexec_b32 s29, s29
	v_mov_b32_e32 v2, 0x7f800001
	s_xor_b32 exec_lo, exec_lo, s29
	s_cbranch_execz .LBB6_141
.LBB6_2435:                             ;   in Loop: Header=BB6_130 Depth=2
	v_cmp_ne_u16_sdwa s40, v36, v84 src0_sel:BYTE_0 src1_sel:DWORD
	v_mov_b32_e32 v2, 0
	s_andn2_b32 s13, s13, exec_lo
	s_and_b32 s40, s40, exec_lo
	s_or_b32 s13, s13, s40
	s_or_b32 exec_lo, exec_lo, s29
	s_and_saveexec_b32 s29, s13
	s_cbranch_execnz .LBB6_142
	s_branch .LBB6_143
.LBB6_2436:                             ;   in Loop: Header=BB6_130 Depth=2
	s_or_saveexec_b32 s29, s29
	v_mov_b32_e32 v119, 0x7f800001
	s_xor_b32 exec_lo, exec_lo, s29
	s_cbranch_execz .LBB6_149
.LBB6_2437:                             ;   in Loop: Header=BB6_130 Depth=2
	v_cmp_ne_u16_sdwa s40, v48, v84 src0_sel:BYTE_0 src1_sel:DWORD
	v_mov_b32_e32 v119, 0
	s_andn2_b32 s13, s13, exec_lo
	s_and_b32 s40, s40, exec_lo
	s_or_b32 s13, s13, s40
	s_or_b32 exec_lo, exec_lo, s29
	s_and_saveexec_b32 s29, s13
	s_cbranch_execnz .LBB6_150
	s_branch .LBB6_151
.LBB6_2438:                             ;   in Loop: Header=BB6_130 Depth=2
	s_or_saveexec_b32 s29, s29
	v_mov_b32_e32 v2, 0x7f800001
	s_xor_b32 exec_lo, exec_lo, s29
	s_cbranch_execz .LBB6_155
.LBB6_2439:                             ;   in Loop: Header=BB6_130 Depth=2
	v_cmp_ne_u16_sdwa s40, v36, v84 src0_sel:BYTE_0 src1_sel:DWORD
	v_mov_b32_e32 v2, 0
	s_andn2_b32 s13, s13, exec_lo
	s_and_b32 s40, s40, exec_lo
	s_or_b32 s13, s13, s40
	s_or_b32 exec_lo, exec_lo, s29
	s_and_saveexec_b32 s29, s13
	s_cbranch_execnz .LBB6_156
	s_branch .LBB6_157
.LBB6_2440:                             ;   in Loop: Header=BB6_130 Depth=2
	s_or_saveexec_b32 s29, s29
	v_mov_b32_e32 v119, 0x7f800001
	s_xor_b32 exec_lo, exec_lo, s29
	s_cbranch_execz .LBB6_171
.LBB6_2441:                             ;   in Loop: Header=BB6_130 Depth=2
	v_cmp_ne_u16_sdwa s40, v48, v84 src0_sel:BYTE_1 src1_sel:DWORD
	v_mov_b32_e32 v119, 0
	s_andn2_b32 s13, s13, exec_lo
	s_and_b32 s40, s40, exec_lo
	s_or_b32 s13, s13, s40
	s_or_b32 exec_lo, exec_lo, s29
	s_and_saveexec_b32 s29, s13
	s_cbranch_execnz .LBB6_172
	s_branch .LBB6_173
.LBB6_2442:                             ;   in Loop: Header=BB6_130 Depth=2
	s_or_saveexec_b32 s29, s29
	v_mov_b32_e32 v2, 0x7f800001
	s_xor_b32 exec_lo, exec_lo, s29
	s_cbranch_execz .LBB6_177
.LBB6_2443:                             ;   in Loop: Header=BB6_130 Depth=2
	v_cmp_ne_u16_sdwa s40, v36, v84 src0_sel:BYTE_1 src1_sel:DWORD
	v_mov_b32_e32 v2, 0
	s_andn2_b32 s13, s13, exec_lo
	s_and_b32 s40, s40, exec_lo
	s_or_b32 s13, s13, s40
	s_or_b32 exec_lo, exec_lo, s29
	s_and_saveexec_b32 s29, s13
	s_cbranch_execnz .LBB6_178
	s_branch .LBB6_179
.LBB6_2444:                             ;   in Loop: Header=BB6_130 Depth=2
	s_or_saveexec_b32 s29, s29
	v_mov_b32_e32 v119, 0x7f800001
	s_xor_b32 exec_lo, exec_lo, s29
	s_cbranch_execz .LBB6_185
.LBB6_2445:                             ;   in Loop: Header=BB6_130 Depth=2
	v_cmp_ne_u16_sdwa s40, v48, v84 src0_sel:BYTE_1 src1_sel:DWORD
	v_mov_b32_e32 v119, 0
	s_andn2_b32 s13, s13, exec_lo
	s_and_b32 s40, s40, exec_lo
	s_or_b32 s13, s13, s40
	s_or_b32 exec_lo, exec_lo, s29
	s_and_saveexec_b32 s29, s13
	s_cbranch_execnz .LBB6_186
	s_branch .LBB6_187
.LBB6_2446:                             ;   in Loop: Header=BB6_130 Depth=2
	s_or_saveexec_b32 s29, s29
	v_mov_b32_e32 v2, 0x7f800001
	s_xor_b32 exec_lo, exec_lo, s29
	s_cbranch_execz .LBB6_191
.LBB6_2447:                             ;   in Loop: Header=BB6_130 Depth=2
	v_cmp_ne_u16_sdwa s40, v36, v84 src0_sel:BYTE_1 src1_sel:DWORD
	v_mov_b32_e32 v2, 0
	s_andn2_b32 s13, s13, exec_lo
	s_and_b32 s40, s40, exec_lo
	s_or_b32 s13, s13, s40
	s_or_b32 exec_lo, exec_lo, s29
	s_and_saveexec_b32 s29, s13
	s_cbranch_execnz .LBB6_192
	s_branch .LBB6_193
.LBB6_2448:                             ;   in Loop: Header=BB6_130 Depth=2
	s_or_saveexec_b32 s13, s13
	v_mov_b32_e32 v40, 0x7f800001
	s_xor_b32 exec_lo, exec_lo, s13
	s_cbranch_execz .LBB6_207
.LBB6_2449:                             ;   in Loop: Header=BB6_130 Depth=2
	v_cmp_ne_u16_e32 vcc_lo, 0, v119
	v_mov_b32_e32 v40, 0
	s_andn2_b32 s29, s29, exec_lo
	s_and_b32 s40, vcc_lo, exec_lo
	s_or_b32 s29, s29, s40
	s_or_b32 exec_lo, exec_lo, s13
	s_and_saveexec_b32 s13, s29
	s_cbranch_execnz .LBB6_208
	s_branch .LBB6_209
.LBB6_2450:                             ;   in Loop: Header=BB6_130 Depth=2
	s_or_saveexec_b32 s29, s29
	v_mov_b32_e32 v2, 0x7f800001
	s_xor_b32 exec_lo, exec_lo, s29
	s_cbranch_execz .LBB6_213
.LBB6_2451:                             ;   in Loop: Header=BB6_130 Depth=2
	v_cmp_ne_u16_e32 vcc_lo, 0, v3
	v_mov_b32_e32 v2, 0
	s_andn2_b32 s13, s13, exec_lo
	s_and_b32 s40, vcc_lo, exec_lo
	s_or_b32 s13, s13, s40
	s_or_b32 exec_lo, exec_lo, s29
	s_and_saveexec_b32 s29, s13
	s_cbranch_execnz .LBB6_214
	s_branch .LBB6_215
.LBB6_2452:                             ;   in Loop: Header=BB6_130 Depth=2
	s_or_saveexec_b32 s29, s29
	v_mov_b32_e32 v40, 0x7f800001
	s_xor_b32 exec_lo, exec_lo, s29
	s_cbranch_execz .LBB6_221
.LBB6_2453:                             ;   in Loop: Header=BB6_130 Depth=2
	v_cmp_ne_u16_e32 vcc_lo, 0, v119
	v_mov_b32_e32 v40, 0
	s_andn2_b32 s13, s13, exec_lo
	s_and_b32 s40, vcc_lo, exec_lo
	s_or_b32 s13, s13, s40
	s_or_b32 exec_lo, exec_lo, s29
	s_and_saveexec_b32 s29, s13
	s_cbranch_execnz .LBB6_222
	s_branch .LBB6_223
.LBB6_2454:                             ;   in Loop: Header=BB6_130 Depth=2
	s_or_saveexec_b32 s29, s29
	v_mov_b32_e32 v2, 0x7f800001
	s_xor_b32 exec_lo, exec_lo, s29
	s_cbranch_execz .LBB6_227
.LBB6_2455:                             ;   in Loop: Header=BB6_130 Depth=2
	v_cmp_ne_u16_e32 vcc_lo, 0, v3
	v_mov_b32_e32 v2, 0
	s_andn2_b32 s13, s13, exec_lo
	s_and_b32 s40, vcc_lo, exec_lo
	s_or_b32 s13, s13, s40
	s_or_b32 exec_lo, exec_lo, s29
	s_and_saveexec_b32 s29, s13
	s_cbranch_execnz .LBB6_228
	s_branch .LBB6_229
.LBB6_2456:                             ;   in Loop: Header=BB6_130 Depth=2
	s_or_saveexec_b32 s29, s29
	v_mov_b32_e32 v119, 0x7f800001
	s_xor_b32 exec_lo, exec_lo, s29
	s_cbranch_execz .LBB6_243
.LBB6_2457:                             ;   in Loop: Header=BB6_130 Depth=2
	v_cmp_ne_u16_sdwa s40, v48, v84 src0_sel:BYTE_3 src1_sel:DWORD
	v_mov_b32_e32 v119, 0
	s_andn2_b32 s13, s13, exec_lo
	s_and_b32 s40, s40, exec_lo
	s_or_b32 s13, s13, s40
	s_or_b32 exec_lo, exec_lo, s29
	s_and_saveexec_b32 s29, s13
	s_cbranch_execnz .LBB6_244
	s_branch .LBB6_245
.LBB6_2458:                             ;   in Loop: Header=BB6_130 Depth=2
	s_or_saveexec_b32 s29, s29
	v_mov_b32_e32 v2, 0x7f800001
	s_xor_b32 exec_lo, exec_lo, s29
	s_cbranch_execz .LBB6_249
.LBB6_2459:                             ;   in Loop: Header=BB6_130 Depth=2
	v_cmp_ne_u16_sdwa s40, v36, v84 src0_sel:BYTE_3 src1_sel:DWORD
	v_mov_b32_e32 v2, 0
	s_andn2_b32 s13, s13, exec_lo
	s_and_b32 s40, s40, exec_lo
	s_or_b32 s13, s13, s40
	s_or_b32 exec_lo, exec_lo, s29
	s_and_saveexec_b32 s29, s13
	s_cbranch_execnz .LBB6_250
	s_branch .LBB6_251
.LBB6_2460:                             ;   in Loop: Header=BB6_130 Depth=2
	s_or_saveexec_b32 s29, s29
	v_mov_b32_e32 v119, 0x7f800001
	s_xor_b32 exec_lo, exec_lo, s29
	s_cbranch_execz .LBB6_257
.LBB6_2461:                             ;   in Loop: Header=BB6_130 Depth=2
	v_cmp_ne_u16_sdwa s40, v48, v84 src0_sel:BYTE_3 src1_sel:DWORD
	v_mov_b32_e32 v119, 0
	s_andn2_b32 s13, s13, exec_lo
	s_and_b32 s40, s40, exec_lo
	s_or_b32 s13, s13, s40
	s_or_b32 exec_lo, exec_lo, s29
	s_and_saveexec_b32 s29, s13
	s_cbranch_execnz .LBB6_258
	s_branch .LBB6_259
.LBB6_2462:                             ;   in Loop: Header=BB6_130 Depth=2
	s_or_saveexec_b32 s29, s29
	v_mov_b32_e32 v2, 0x7f800001
	s_xor_b32 exec_lo, exec_lo, s29
	s_cbranch_execz .LBB6_263
.LBB6_2463:                             ;   in Loop: Header=BB6_130 Depth=2
	v_cmp_ne_u16_sdwa s40, v36, v84 src0_sel:BYTE_3 src1_sel:DWORD
	v_mov_b32_e32 v2, 0
	s_andn2_b32 s13, s13, exec_lo
	s_and_b32 s40, s40, exec_lo
	s_or_b32 s13, s13, s40
	s_or_b32 exec_lo, exec_lo, s29
	s_and_saveexec_b32 s29, s13
	s_cbranch_execnz .LBB6_264
	s_branch .LBB6_265
.LBB6_2464:                             ;   in Loop: Header=BB6_130 Depth=2
	s_or_saveexec_b32 s29, s29
	v_mov_b32_e32 v48, 0x7f800001
	s_xor_b32 exec_lo, exec_lo, s29
	s_cbranch_execz .LBB6_279
.LBB6_2465:                             ;   in Loop: Header=BB6_130 Depth=2
	v_cmp_ne_u16_sdwa s40, v49, v84 src0_sel:BYTE_0 src1_sel:DWORD
	v_mov_b32_e32 v48, 0
	s_andn2_b32 s13, s13, exec_lo
	s_and_b32 s40, s40, exec_lo
	s_or_b32 s13, s13, s40
	s_or_b32 exec_lo, exec_lo, s29
	s_and_saveexec_b32 s29, s13
	s_cbranch_execnz .LBB6_280
	s_branch .LBB6_281
.LBB6_2466:                             ;   in Loop: Header=BB6_130 Depth=2
	s_or_saveexec_b32 s29, s29
	v_mov_b32_e32 v2, 0x7f800001
	s_xor_b32 exec_lo, exec_lo, s29
	s_cbranch_execz .LBB6_285
.LBB6_2467:                             ;   in Loop: Header=BB6_130 Depth=2
	v_cmp_ne_u16_sdwa s40, v37, v84 src0_sel:BYTE_0 src1_sel:DWORD
	v_mov_b32_e32 v2, 0
	s_andn2_b32 s13, s13, exec_lo
	s_and_b32 s40, s40, exec_lo
	s_or_b32 s13, s13, s40
	s_or_b32 exec_lo, exec_lo, s29
	s_and_saveexec_b32 s29, s13
	s_cbranch_execnz .LBB6_286
	s_branch .LBB6_287
.LBB6_2468:                             ;   in Loop: Header=BB6_130 Depth=2
	s_or_saveexec_b32 s29, s29
	v_mov_b32_e32 v48, 0x7f800001
	s_xor_b32 exec_lo, exec_lo, s29
	s_cbranch_execz .LBB6_293
.LBB6_2469:                             ;   in Loop: Header=BB6_130 Depth=2
	v_cmp_ne_u16_sdwa s40, v49, v84 src0_sel:BYTE_0 src1_sel:DWORD
	v_mov_b32_e32 v48, 0
	s_andn2_b32 s13, s13, exec_lo
	s_and_b32 s40, s40, exec_lo
	s_or_b32 s13, s13, s40
	s_or_b32 exec_lo, exec_lo, s29
	s_and_saveexec_b32 s29, s13
	s_cbranch_execnz .LBB6_294
	s_branch .LBB6_295
.LBB6_2470:                             ;   in Loop: Header=BB6_130 Depth=2
	s_or_saveexec_b32 s29, s29
	v_mov_b32_e32 v2, 0x7f800001
	s_xor_b32 exec_lo, exec_lo, s29
	s_cbranch_execz .LBB6_299
.LBB6_2471:                             ;   in Loop: Header=BB6_130 Depth=2
	v_cmp_ne_u16_sdwa s40, v37, v84 src0_sel:BYTE_0 src1_sel:DWORD
	v_mov_b32_e32 v2, 0
	s_andn2_b32 s13, s13, exec_lo
	s_and_b32 s40, s40, exec_lo
	s_or_b32 s13, s13, s40
	s_or_b32 exec_lo, exec_lo, s29
	s_and_saveexec_b32 s29, s13
	s_cbranch_execnz .LBB6_300
	s_branch .LBB6_301
.LBB6_2472:                             ;   in Loop: Header=BB6_130 Depth=2
	s_or_saveexec_b32 s29, s29
	v_mov_b32_e32 v119, 0x7f800001
	s_xor_b32 exec_lo, exec_lo, s29
	s_cbranch_execz .LBB6_315
.LBB6_2473:                             ;   in Loop: Header=BB6_130 Depth=2
	v_cmp_ne_u16_sdwa s40, v49, v84 src0_sel:BYTE_1 src1_sel:DWORD
	v_mov_b32_e32 v119, 0
	s_andn2_b32 s13, s13, exec_lo
	s_and_b32 s40, s40, exec_lo
	s_or_b32 s13, s13, s40
	s_or_b32 exec_lo, exec_lo, s29
	s_and_saveexec_b32 s29, s13
	s_cbranch_execnz .LBB6_316
	s_branch .LBB6_317
.LBB6_2474:                             ;   in Loop: Header=BB6_130 Depth=2
	s_or_saveexec_b32 s29, s29
	v_mov_b32_e32 v2, 0x7f800001
	s_xor_b32 exec_lo, exec_lo, s29
	s_cbranch_execz .LBB6_321
.LBB6_2475:                             ;   in Loop: Header=BB6_130 Depth=2
	v_cmp_ne_u16_sdwa s40, v37, v84 src0_sel:BYTE_1 src1_sel:DWORD
	v_mov_b32_e32 v2, 0
	s_andn2_b32 s13, s13, exec_lo
	s_and_b32 s40, s40, exec_lo
	s_or_b32 s13, s13, s40
	s_or_b32 exec_lo, exec_lo, s29
	s_and_saveexec_b32 s29, s13
	s_cbranch_execnz .LBB6_322
	s_branch .LBB6_323
.LBB6_2476:                             ;   in Loop: Header=BB6_130 Depth=2
	s_or_saveexec_b32 s29, s29
	v_mov_b32_e32 v119, 0x7f800001
	s_xor_b32 exec_lo, exec_lo, s29
	s_cbranch_execz .LBB6_329
.LBB6_2477:                             ;   in Loop: Header=BB6_130 Depth=2
	v_cmp_ne_u16_sdwa s40, v49, v84 src0_sel:BYTE_1 src1_sel:DWORD
	v_mov_b32_e32 v119, 0
	s_andn2_b32 s13, s13, exec_lo
	s_and_b32 s40, s40, exec_lo
	s_or_b32 s13, s13, s40
	s_or_b32 exec_lo, exec_lo, s29
	s_and_saveexec_b32 s29, s13
	s_cbranch_execnz .LBB6_330
	s_branch .LBB6_331
.LBB6_2478:                             ;   in Loop: Header=BB6_130 Depth=2
	s_or_saveexec_b32 s29, s29
	v_mov_b32_e32 v2, 0x7f800001
	s_xor_b32 exec_lo, exec_lo, s29
	s_cbranch_execz .LBB6_335
.LBB6_2479:                             ;   in Loop: Header=BB6_130 Depth=2
	v_cmp_ne_u16_sdwa s40, v37, v84 src0_sel:BYTE_1 src1_sel:DWORD
	v_mov_b32_e32 v2, 0
	s_andn2_b32 s13, s13, exec_lo
	s_and_b32 s40, s40, exec_lo
	s_or_b32 s13, s13, s40
	s_or_b32 exec_lo, exec_lo, s29
	s_and_saveexec_b32 s29, s13
	s_cbranch_execnz .LBB6_336
	s_branch .LBB6_337
.LBB6_2480:                             ;   in Loop: Header=BB6_130 Depth=2
	s_or_saveexec_b32 s13, s13
	v_mov_b32_e32 v40, 0x7f800001
	s_xor_b32 exec_lo, exec_lo, s13
	s_cbranch_execz .LBB6_351
.LBB6_2481:                             ;   in Loop: Header=BB6_130 Depth=2
	v_cmp_ne_u16_e32 vcc_lo, 0, v119
	v_mov_b32_e32 v40, 0
	s_andn2_b32 s29, s29, exec_lo
	s_and_b32 s40, vcc_lo, exec_lo
	s_or_b32 s29, s29, s40
	s_or_b32 exec_lo, exec_lo, s13
	s_and_saveexec_b32 s13, s29
	s_cbranch_execnz .LBB6_352
	s_branch .LBB6_353
.LBB6_2482:                             ;   in Loop: Header=BB6_130 Depth=2
	s_or_saveexec_b32 s29, s29
	v_mov_b32_e32 v2, 0x7f800001
	s_xor_b32 exec_lo, exec_lo, s29
	s_cbranch_execz .LBB6_357
.LBB6_2483:                             ;   in Loop: Header=BB6_130 Depth=2
	v_cmp_ne_u16_e32 vcc_lo, 0, v3
	v_mov_b32_e32 v2, 0
	s_andn2_b32 s13, s13, exec_lo
	s_and_b32 s40, vcc_lo, exec_lo
	s_or_b32 s13, s13, s40
	s_or_b32 exec_lo, exec_lo, s29
	s_and_saveexec_b32 s29, s13
	s_cbranch_execnz .LBB6_358
	s_branch .LBB6_359
.LBB6_2484:                             ;   in Loop: Header=BB6_130 Depth=2
	s_or_saveexec_b32 s29, s29
	v_mov_b32_e32 v40, 0x7f800001
	s_xor_b32 exec_lo, exec_lo, s29
	s_cbranch_execz .LBB6_365
.LBB6_2485:                             ;   in Loop: Header=BB6_130 Depth=2
	v_cmp_ne_u16_e32 vcc_lo, 0, v119
	v_mov_b32_e32 v40, 0
	s_andn2_b32 s13, s13, exec_lo
	s_and_b32 s40, vcc_lo, exec_lo
	s_or_b32 s13, s13, s40
	s_or_b32 exec_lo, exec_lo, s29
	s_and_saveexec_b32 s29, s13
	s_cbranch_execnz .LBB6_366
	s_branch .LBB6_367
.LBB6_2486:                             ;   in Loop: Header=BB6_130 Depth=2
	s_or_saveexec_b32 s29, s29
	v_mov_b32_e32 v2, 0x7f800001
	s_xor_b32 exec_lo, exec_lo, s29
	s_cbranch_execz .LBB6_371
.LBB6_2487:                             ;   in Loop: Header=BB6_130 Depth=2
	v_cmp_ne_u16_e32 vcc_lo, 0, v3
	v_mov_b32_e32 v2, 0
	s_andn2_b32 s13, s13, exec_lo
	s_and_b32 s40, vcc_lo, exec_lo
	s_or_b32 s13, s13, s40
	s_or_b32 exec_lo, exec_lo, s29
	s_and_saveexec_b32 s29, s13
	s_cbranch_execnz .LBB6_372
	s_branch .LBB6_373
.LBB6_2488:                             ;   in Loop: Header=BB6_130 Depth=2
	s_or_saveexec_b32 s29, s29
	v_mov_b32_e32 v119, 0x7f800001
	s_xor_b32 exec_lo, exec_lo, s29
	s_cbranch_execz .LBB6_387
.LBB6_2489:                             ;   in Loop: Header=BB6_130 Depth=2
	v_cmp_ne_u16_sdwa s40, v49, v84 src0_sel:BYTE_3 src1_sel:DWORD
	v_mov_b32_e32 v119, 0
	s_andn2_b32 s13, s13, exec_lo
	s_and_b32 s40, s40, exec_lo
	s_or_b32 s13, s13, s40
	s_or_b32 exec_lo, exec_lo, s29
	s_and_saveexec_b32 s29, s13
	s_cbranch_execnz .LBB6_388
	s_branch .LBB6_389
.LBB6_2490:                             ;   in Loop: Header=BB6_130 Depth=2
	s_or_saveexec_b32 s29, s29
	v_mov_b32_e32 v2, 0x7f800001
	s_xor_b32 exec_lo, exec_lo, s29
	s_cbranch_execz .LBB6_393
.LBB6_2491:                             ;   in Loop: Header=BB6_130 Depth=2
	v_cmp_ne_u16_sdwa s40, v37, v84 src0_sel:BYTE_3 src1_sel:DWORD
	v_mov_b32_e32 v2, 0
	s_andn2_b32 s13, s13, exec_lo
	s_and_b32 s40, s40, exec_lo
	s_or_b32 s13, s13, s40
	s_or_b32 exec_lo, exec_lo, s29
	s_and_saveexec_b32 s29, s13
	s_cbranch_execnz .LBB6_394
	s_branch .LBB6_395
.LBB6_2492:                             ;   in Loop: Header=BB6_130 Depth=2
	s_or_saveexec_b32 s29, s29
	v_mov_b32_e32 v119, 0x7f800001
	s_xor_b32 exec_lo, exec_lo, s29
	s_cbranch_execz .LBB6_401
.LBB6_2493:                             ;   in Loop: Header=BB6_130 Depth=2
	v_cmp_ne_u16_sdwa s40, v49, v84 src0_sel:BYTE_3 src1_sel:DWORD
	v_mov_b32_e32 v119, 0
	s_andn2_b32 s13, s13, exec_lo
	s_and_b32 s40, s40, exec_lo
	s_or_b32 s13, s13, s40
	s_or_b32 exec_lo, exec_lo, s29
	s_and_saveexec_b32 s29, s13
	s_cbranch_execnz .LBB6_402
	s_branch .LBB6_403
.LBB6_2494:                             ;   in Loop: Header=BB6_130 Depth=2
	s_or_saveexec_b32 s29, s29
	v_mov_b32_e32 v2, 0x7f800001
	s_xor_b32 exec_lo, exec_lo, s29
	s_cbranch_execz .LBB6_407
.LBB6_2495:                             ;   in Loop: Header=BB6_130 Depth=2
	v_cmp_ne_u16_sdwa s40, v37, v84 src0_sel:BYTE_3 src1_sel:DWORD
	v_mov_b32_e32 v2, 0
	s_andn2_b32 s13, s13, exec_lo
	s_and_b32 s40, s40, exec_lo
	s_or_b32 s13, s13, s40
	s_or_b32 exec_lo, exec_lo, s29
	s_and_saveexec_b32 s29, s13
	s_cbranch_execnz .LBB6_408
	s_branch .LBB6_409
.LBB6_2496:                             ;   in Loop: Header=BB6_130 Depth=2
	s_or_saveexec_b32 s29, s29
	v_mov_b32_e32 v49, 0x7f800001
	s_xor_b32 exec_lo, exec_lo, s29
	s_cbranch_execz .LBB6_423
.LBB6_2497:                             ;   in Loop: Header=BB6_130 Depth=2
	v_cmp_ne_u16_sdwa s40, v50, v84 src0_sel:BYTE_0 src1_sel:DWORD
	v_mov_b32_e32 v49, 0
	s_andn2_b32 s13, s13, exec_lo
	s_and_b32 s40, s40, exec_lo
	s_or_b32 s13, s13, s40
	s_or_b32 exec_lo, exec_lo, s29
	s_and_saveexec_b32 s29, s13
	s_cbranch_execnz .LBB6_424
	s_branch .LBB6_425
.LBB6_2498:                             ;   in Loop: Header=BB6_130 Depth=2
	s_or_saveexec_b32 s29, s29
	v_mov_b32_e32 v2, 0x7f800001
	s_xor_b32 exec_lo, exec_lo, s29
	s_cbranch_execz .LBB6_429
.LBB6_2499:                             ;   in Loop: Header=BB6_130 Depth=2
	v_cmp_ne_u16_sdwa s40, v38, v84 src0_sel:BYTE_0 src1_sel:DWORD
	v_mov_b32_e32 v2, 0
	s_andn2_b32 s13, s13, exec_lo
	s_and_b32 s40, s40, exec_lo
	s_or_b32 s13, s13, s40
	s_or_b32 exec_lo, exec_lo, s29
	s_and_saveexec_b32 s29, s13
	s_cbranch_execnz .LBB6_430
	s_branch .LBB6_431
.LBB6_2500:                             ;   in Loop: Header=BB6_130 Depth=2
	s_or_saveexec_b32 s29, s29
	v_mov_b32_e32 v49, 0x7f800001
	s_xor_b32 exec_lo, exec_lo, s29
	s_cbranch_execz .LBB6_437
.LBB6_2501:                             ;   in Loop: Header=BB6_130 Depth=2
	v_cmp_ne_u16_sdwa s40, v50, v84 src0_sel:BYTE_0 src1_sel:DWORD
	v_mov_b32_e32 v49, 0
	s_andn2_b32 s13, s13, exec_lo
	s_and_b32 s40, s40, exec_lo
	s_or_b32 s13, s13, s40
	s_or_b32 exec_lo, exec_lo, s29
	s_and_saveexec_b32 s29, s13
	s_cbranch_execnz .LBB6_438
	s_branch .LBB6_439
.LBB6_2502:                             ;   in Loop: Header=BB6_130 Depth=2
	s_or_saveexec_b32 s29, s29
	v_mov_b32_e32 v2, 0x7f800001
	s_xor_b32 exec_lo, exec_lo, s29
	s_cbranch_execz .LBB6_443
.LBB6_2503:                             ;   in Loop: Header=BB6_130 Depth=2
	v_cmp_ne_u16_sdwa s40, v38, v84 src0_sel:BYTE_0 src1_sel:DWORD
	v_mov_b32_e32 v2, 0
	s_andn2_b32 s13, s13, exec_lo
	s_and_b32 s40, s40, exec_lo
	s_or_b32 s13, s13, s40
	s_or_b32 exec_lo, exec_lo, s29
	s_and_saveexec_b32 s29, s13
	s_cbranch_execnz .LBB6_444
	s_branch .LBB6_445
.LBB6_2504:                             ;   in Loop: Header=BB6_130 Depth=2
	s_or_saveexec_b32 s29, s29
	v_mov_b32_e32 v119, 0x7f800001
	s_xor_b32 exec_lo, exec_lo, s29
	s_cbranch_execz .LBB6_459
.LBB6_2505:                             ;   in Loop: Header=BB6_130 Depth=2
	v_cmp_ne_u16_sdwa s40, v50, v84 src0_sel:BYTE_1 src1_sel:DWORD
	v_mov_b32_e32 v119, 0
	s_andn2_b32 s13, s13, exec_lo
	s_and_b32 s40, s40, exec_lo
	s_or_b32 s13, s13, s40
	s_or_b32 exec_lo, exec_lo, s29
	s_and_saveexec_b32 s29, s13
	s_cbranch_execnz .LBB6_460
	s_branch .LBB6_461
.LBB6_2506:                             ;   in Loop: Header=BB6_130 Depth=2
	s_or_saveexec_b32 s29, s29
	v_mov_b32_e32 v2, 0x7f800001
	s_xor_b32 exec_lo, exec_lo, s29
	s_cbranch_execz .LBB6_465
.LBB6_2507:                             ;   in Loop: Header=BB6_130 Depth=2
	v_cmp_ne_u16_sdwa s40, v38, v84 src0_sel:BYTE_1 src1_sel:DWORD
	v_mov_b32_e32 v2, 0
	s_andn2_b32 s13, s13, exec_lo
	s_and_b32 s40, s40, exec_lo
	s_or_b32 s13, s13, s40
	s_or_b32 exec_lo, exec_lo, s29
	s_and_saveexec_b32 s29, s13
	s_cbranch_execnz .LBB6_466
	s_branch .LBB6_467
.LBB6_2508:                             ;   in Loop: Header=BB6_130 Depth=2
	s_or_saveexec_b32 s29, s29
	v_mov_b32_e32 v119, 0x7f800001
	s_xor_b32 exec_lo, exec_lo, s29
	s_cbranch_execz .LBB6_473
.LBB6_2509:                             ;   in Loop: Header=BB6_130 Depth=2
	v_cmp_ne_u16_sdwa s40, v50, v84 src0_sel:BYTE_1 src1_sel:DWORD
	v_mov_b32_e32 v119, 0
	s_andn2_b32 s13, s13, exec_lo
	s_and_b32 s40, s40, exec_lo
	s_or_b32 s13, s13, s40
	s_or_b32 exec_lo, exec_lo, s29
	s_and_saveexec_b32 s29, s13
	s_cbranch_execnz .LBB6_474
	s_branch .LBB6_475
.LBB6_2510:                             ;   in Loop: Header=BB6_130 Depth=2
	s_or_saveexec_b32 s29, s29
	v_mov_b32_e32 v2, 0x7f800001
	s_xor_b32 exec_lo, exec_lo, s29
	s_cbranch_execz .LBB6_479
.LBB6_2511:                             ;   in Loop: Header=BB6_130 Depth=2
	v_cmp_ne_u16_sdwa s40, v38, v84 src0_sel:BYTE_1 src1_sel:DWORD
	v_mov_b32_e32 v2, 0
	s_andn2_b32 s13, s13, exec_lo
	s_and_b32 s40, s40, exec_lo
	s_or_b32 s13, s13, s40
	s_or_b32 exec_lo, exec_lo, s29
	s_and_saveexec_b32 s29, s13
	s_cbranch_execnz .LBB6_480
	s_branch .LBB6_481
.LBB6_2512:                             ;   in Loop: Header=BB6_130 Depth=2
	s_or_saveexec_b32 s13, s13
	v_mov_b32_e32 v40, 0x7f800001
	s_xor_b32 exec_lo, exec_lo, s13
	s_cbranch_execz .LBB6_495
.LBB6_2513:                             ;   in Loop: Header=BB6_130 Depth=2
	v_cmp_ne_u16_e32 vcc_lo, 0, v119
	v_mov_b32_e32 v40, 0
	s_andn2_b32 s29, s29, exec_lo
	s_and_b32 s40, vcc_lo, exec_lo
	s_or_b32 s29, s29, s40
	s_or_b32 exec_lo, exec_lo, s13
	s_and_saveexec_b32 s13, s29
	s_cbranch_execnz .LBB6_496
	s_branch .LBB6_497
.LBB6_2514:                             ;   in Loop: Header=BB6_130 Depth=2
	s_or_saveexec_b32 s29, s29
	v_mov_b32_e32 v2, 0x7f800001
	s_xor_b32 exec_lo, exec_lo, s29
	s_cbranch_execz .LBB6_501
.LBB6_2515:                             ;   in Loop: Header=BB6_130 Depth=2
	v_cmp_ne_u16_e32 vcc_lo, 0, v3
	v_mov_b32_e32 v2, 0
	s_andn2_b32 s13, s13, exec_lo
	s_and_b32 s40, vcc_lo, exec_lo
	s_or_b32 s13, s13, s40
	s_or_b32 exec_lo, exec_lo, s29
	s_and_saveexec_b32 s29, s13
	s_cbranch_execnz .LBB6_502
	s_branch .LBB6_503
.LBB6_2516:                             ;   in Loop: Header=BB6_130 Depth=2
	s_or_saveexec_b32 s29, s29
	v_mov_b32_e32 v40, 0x7f800001
	s_xor_b32 exec_lo, exec_lo, s29
	s_cbranch_execz .LBB6_509
.LBB6_2517:                             ;   in Loop: Header=BB6_130 Depth=2
	v_cmp_ne_u16_e32 vcc_lo, 0, v119
	v_mov_b32_e32 v40, 0
	s_andn2_b32 s13, s13, exec_lo
	s_and_b32 s40, vcc_lo, exec_lo
	s_or_b32 s13, s13, s40
	s_or_b32 exec_lo, exec_lo, s29
	s_and_saveexec_b32 s29, s13
	s_cbranch_execnz .LBB6_510
	s_branch .LBB6_511
.LBB6_2518:                             ;   in Loop: Header=BB6_130 Depth=2
	s_or_saveexec_b32 s29, s29
	v_mov_b32_e32 v2, 0x7f800001
	s_xor_b32 exec_lo, exec_lo, s29
	s_cbranch_execz .LBB6_515
.LBB6_2519:                             ;   in Loop: Header=BB6_130 Depth=2
	v_cmp_ne_u16_e32 vcc_lo, 0, v3
	v_mov_b32_e32 v2, 0
	s_andn2_b32 s13, s13, exec_lo
	s_and_b32 s40, vcc_lo, exec_lo
	s_or_b32 s13, s13, s40
	s_or_b32 exec_lo, exec_lo, s29
	s_and_saveexec_b32 s29, s13
	s_cbranch_execnz .LBB6_516
	s_branch .LBB6_517
.LBB6_2520:                             ;   in Loop: Header=BB6_130 Depth=2
	s_or_saveexec_b32 s29, s29
	v_mov_b32_e32 v119, 0x7f800001
	s_xor_b32 exec_lo, exec_lo, s29
	s_cbranch_execz .LBB6_531
.LBB6_2521:                             ;   in Loop: Header=BB6_130 Depth=2
	v_cmp_ne_u16_sdwa s40, v50, v84 src0_sel:BYTE_3 src1_sel:DWORD
	v_mov_b32_e32 v119, 0
	s_andn2_b32 s13, s13, exec_lo
	s_and_b32 s40, s40, exec_lo
	s_or_b32 s13, s13, s40
	s_or_b32 exec_lo, exec_lo, s29
	s_and_saveexec_b32 s29, s13
	s_cbranch_execnz .LBB6_532
	s_branch .LBB6_533
.LBB6_2522:                             ;   in Loop: Header=BB6_130 Depth=2
	s_or_saveexec_b32 s29, s29
	v_mov_b32_e32 v2, 0x7f800001
	s_xor_b32 exec_lo, exec_lo, s29
	s_cbranch_execz .LBB6_537
.LBB6_2523:                             ;   in Loop: Header=BB6_130 Depth=2
	v_cmp_ne_u16_sdwa s40, v38, v84 src0_sel:BYTE_3 src1_sel:DWORD
	v_mov_b32_e32 v2, 0
	s_andn2_b32 s13, s13, exec_lo
	s_and_b32 s40, s40, exec_lo
	s_or_b32 s13, s13, s40
	s_or_b32 exec_lo, exec_lo, s29
	s_and_saveexec_b32 s29, s13
	s_cbranch_execnz .LBB6_538
	s_branch .LBB6_539
.LBB6_2524:                             ;   in Loop: Header=BB6_130 Depth=2
	s_or_saveexec_b32 s29, s29
	v_mov_b32_e32 v119, 0x7f800001
	s_xor_b32 exec_lo, exec_lo, s29
	s_cbranch_execz .LBB6_545
.LBB6_2525:                             ;   in Loop: Header=BB6_130 Depth=2
	v_cmp_ne_u16_sdwa s40, v50, v84 src0_sel:BYTE_3 src1_sel:DWORD
	v_mov_b32_e32 v119, 0
	s_andn2_b32 s13, s13, exec_lo
	s_and_b32 s40, s40, exec_lo
	s_or_b32 s13, s13, s40
	s_or_b32 exec_lo, exec_lo, s29
	s_and_saveexec_b32 s29, s13
	s_cbranch_execnz .LBB6_546
	s_branch .LBB6_547
.LBB6_2526:                             ;   in Loop: Header=BB6_130 Depth=2
	s_or_saveexec_b32 s29, s29
	v_mov_b32_e32 v2, 0x7f800001
	s_xor_b32 exec_lo, exec_lo, s29
	s_cbranch_execz .LBB6_551
.LBB6_2527:                             ;   in Loop: Header=BB6_130 Depth=2
	v_cmp_ne_u16_sdwa s40, v38, v84 src0_sel:BYTE_3 src1_sel:DWORD
	v_mov_b32_e32 v2, 0
	s_andn2_b32 s13, s13, exec_lo
	s_and_b32 s40, s40, exec_lo
	s_or_b32 s13, s13, s40
	s_or_b32 exec_lo, exec_lo, s29
	s_and_saveexec_b32 s29, s13
	s_cbranch_execnz .LBB6_552
	s_branch .LBB6_553
.LBB6_2528:                             ;   in Loop: Header=BB6_130 Depth=2
	s_or_saveexec_b32 s29, s29
	v_mov_b32_e32 v50, 0x7f800001
	s_xor_b32 exec_lo, exec_lo, s29
	s_cbranch_execz .LBB6_567
.LBB6_2529:                             ;   in Loop: Header=BB6_130 Depth=2
	v_cmp_ne_u16_sdwa s40, v51, v84 src0_sel:BYTE_0 src1_sel:DWORD
	v_mov_b32_e32 v50, 0
	s_andn2_b32 s13, s13, exec_lo
	s_and_b32 s40, s40, exec_lo
	s_or_b32 s13, s13, s40
	s_or_b32 exec_lo, exec_lo, s29
	s_and_saveexec_b32 s29, s13
	s_cbranch_execnz .LBB6_568
	s_branch .LBB6_569
.LBB6_2530:                             ;   in Loop: Header=BB6_130 Depth=2
	s_or_saveexec_b32 s29, s29
	v_mov_b32_e32 v2, 0x7f800001
	s_xor_b32 exec_lo, exec_lo, s29
	s_cbranch_execz .LBB6_573
.LBB6_2531:                             ;   in Loop: Header=BB6_130 Depth=2
	v_cmp_ne_u16_sdwa s40, v39, v84 src0_sel:BYTE_0 src1_sel:DWORD
	v_mov_b32_e32 v2, 0
	s_andn2_b32 s13, s13, exec_lo
	s_and_b32 s40, s40, exec_lo
	s_or_b32 s13, s13, s40
	s_or_b32 exec_lo, exec_lo, s29
	s_and_saveexec_b32 s29, s13
	s_cbranch_execnz .LBB6_574
	s_branch .LBB6_575
.LBB6_2532:                             ;   in Loop: Header=BB6_130 Depth=2
	s_or_saveexec_b32 s29, s29
	v_mov_b32_e32 v50, 0x7f800001
	s_xor_b32 exec_lo, exec_lo, s29
	s_cbranch_execz .LBB6_581
.LBB6_2533:                             ;   in Loop: Header=BB6_130 Depth=2
	v_cmp_ne_u16_sdwa s40, v51, v84 src0_sel:BYTE_0 src1_sel:DWORD
	v_mov_b32_e32 v50, 0
	s_andn2_b32 s13, s13, exec_lo
	s_and_b32 s40, s40, exec_lo
	s_or_b32 s13, s13, s40
	s_or_b32 exec_lo, exec_lo, s29
	s_and_saveexec_b32 s29, s13
	s_cbranch_execnz .LBB6_582
	s_branch .LBB6_583
.LBB6_2534:                             ;   in Loop: Header=BB6_130 Depth=2
	s_or_saveexec_b32 s29, s29
	v_mov_b32_e32 v2, 0x7f800001
	s_xor_b32 exec_lo, exec_lo, s29
	s_cbranch_execz .LBB6_587
.LBB6_2535:                             ;   in Loop: Header=BB6_130 Depth=2
	v_cmp_ne_u16_sdwa s40, v39, v84 src0_sel:BYTE_0 src1_sel:DWORD
	v_mov_b32_e32 v2, 0
	s_andn2_b32 s13, s13, exec_lo
	s_and_b32 s40, s40, exec_lo
	s_or_b32 s13, s13, s40
	s_or_b32 exec_lo, exec_lo, s29
	s_and_saveexec_b32 s29, s13
	s_cbranch_execnz .LBB6_588
	s_branch .LBB6_589
.LBB6_2536:                             ;   in Loop: Header=BB6_130 Depth=2
	s_or_saveexec_b32 s29, s29
	v_mov_b32_e32 v119, 0x7f800001
	s_xor_b32 exec_lo, exec_lo, s29
	s_cbranch_execz .LBB6_603
.LBB6_2537:                             ;   in Loop: Header=BB6_130 Depth=2
	v_cmp_ne_u16_sdwa s40, v51, v84 src0_sel:BYTE_1 src1_sel:DWORD
	v_mov_b32_e32 v119, 0
	s_andn2_b32 s13, s13, exec_lo
	s_and_b32 s40, s40, exec_lo
	s_or_b32 s13, s13, s40
	s_or_b32 exec_lo, exec_lo, s29
	s_and_saveexec_b32 s29, s13
	s_cbranch_execnz .LBB6_604
	s_branch .LBB6_605
.LBB6_2538:                             ;   in Loop: Header=BB6_130 Depth=2
	s_or_saveexec_b32 s29, s29
	v_mov_b32_e32 v2, 0x7f800001
	s_xor_b32 exec_lo, exec_lo, s29
	s_cbranch_execz .LBB6_609
.LBB6_2539:                             ;   in Loop: Header=BB6_130 Depth=2
	v_cmp_ne_u16_sdwa s40, v39, v84 src0_sel:BYTE_1 src1_sel:DWORD
	v_mov_b32_e32 v2, 0
	s_andn2_b32 s13, s13, exec_lo
	s_and_b32 s40, s40, exec_lo
	s_or_b32 s13, s13, s40
	s_or_b32 exec_lo, exec_lo, s29
	s_and_saveexec_b32 s29, s13
	s_cbranch_execnz .LBB6_610
	s_branch .LBB6_611
.LBB6_2540:                             ;   in Loop: Header=BB6_130 Depth=2
	s_or_saveexec_b32 s29, s29
	v_mov_b32_e32 v119, 0x7f800001
	s_xor_b32 exec_lo, exec_lo, s29
	s_cbranch_execz .LBB6_617
.LBB6_2541:                             ;   in Loop: Header=BB6_130 Depth=2
	v_cmp_ne_u16_sdwa s40, v51, v84 src0_sel:BYTE_1 src1_sel:DWORD
	v_mov_b32_e32 v119, 0
	s_andn2_b32 s13, s13, exec_lo
	s_and_b32 s40, s40, exec_lo
	s_or_b32 s13, s13, s40
	s_or_b32 exec_lo, exec_lo, s29
	s_and_saveexec_b32 s29, s13
	s_cbranch_execnz .LBB6_618
	s_branch .LBB6_619
.LBB6_2542:                             ;   in Loop: Header=BB6_130 Depth=2
	s_or_saveexec_b32 s29, s29
	v_mov_b32_e32 v2, 0x7f800001
	s_xor_b32 exec_lo, exec_lo, s29
	s_cbranch_execz .LBB6_623
.LBB6_2543:                             ;   in Loop: Header=BB6_130 Depth=2
	v_cmp_ne_u16_sdwa s40, v39, v84 src0_sel:BYTE_1 src1_sel:DWORD
	v_mov_b32_e32 v2, 0
	s_andn2_b32 s13, s13, exec_lo
	s_and_b32 s40, s40, exec_lo
	s_or_b32 s13, s13, s40
	s_or_b32 exec_lo, exec_lo, s29
	s_and_saveexec_b32 s29, s13
	s_cbranch_execnz .LBB6_624
	s_branch .LBB6_625
.LBB6_2544:                             ;   in Loop: Header=BB6_130 Depth=2
	s_or_saveexec_b32 s13, s13
	v_mov_b32_e32 v40, 0x7f800001
	s_xor_b32 exec_lo, exec_lo, s13
	s_cbranch_execz .LBB6_639
.LBB6_2545:                             ;   in Loop: Header=BB6_130 Depth=2
	v_cmp_ne_u16_e32 vcc_lo, 0, v119
	v_mov_b32_e32 v40, 0
	s_andn2_b32 s29, s29, exec_lo
	s_and_b32 s40, vcc_lo, exec_lo
	s_or_b32 s29, s29, s40
	s_or_b32 exec_lo, exec_lo, s13
	s_and_saveexec_b32 s13, s29
	s_cbranch_execnz .LBB6_640
	s_branch .LBB6_641
.LBB6_2546:                             ;   in Loop: Header=BB6_130 Depth=2
	s_or_saveexec_b32 s29, s29
	v_mov_b32_e32 v2, 0x7f800001
	s_xor_b32 exec_lo, exec_lo, s29
	s_cbranch_execz .LBB6_645
.LBB6_2547:                             ;   in Loop: Header=BB6_130 Depth=2
	v_cmp_ne_u16_e32 vcc_lo, 0, v3
	v_mov_b32_e32 v2, 0
	s_andn2_b32 s13, s13, exec_lo
	s_and_b32 s40, vcc_lo, exec_lo
	s_or_b32 s13, s13, s40
	s_or_b32 exec_lo, exec_lo, s29
	s_and_saveexec_b32 s29, s13
	s_cbranch_execnz .LBB6_646
	s_branch .LBB6_647
.LBB6_2548:                             ;   in Loop: Header=BB6_130 Depth=2
	s_or_saveexec_b32 s29, s29
	v_mov_b32_e32 v40, 0x7f800001
	s_xor_b32 exec_lo, exec_lo, s29
	s_cbranch_execz .LBB6_653
.LBB6_2549:                             ;   in Loop: Header=BB6_130 Depth=2
	v_cmp_ne_u16_e32 vcc_lo, 0, v119
	v_mov_b32_e32 v40, 0
	s_andn2_b32 s13, s13, exec_lo
	s_and_b32 s40, vcc_lo, exec_lo
	s_or_b32 s13, s13, s40
	s_or_b32 exec_lo, exec_lo, s29
	s_and_saveexec_b32 s29, s13
	s_cbranch_execnz .LBB6_654
	s_branch .LBB6_655
.LBB6_2550:                             ;   in Loop: Header=BB6_130 Depth=2
	s_or_saveexec_b32 s29, s29
	v_mov_b32_e32 v2, 0x7f800001
	s_xor_b32 exec_lo, exec_lo, s29
	s_cbranch_execz .LBB6_659
.LBB6_2551:                             ;   in Loop: Header=BB6_130 Depth=2
	v_cmp_ne_u16_e32 vcc_lo, 0, v3
	v_mov_b32_e32 v2, 0
	s_andn2_b32 s13, s13, exec_lo
	s_and_b32 s40, vcc_lo, exec_lo
	s_or_b32 s13, s13, s40
	s_or_b32 exec_lo, exec_lo, s29
	s_and_saveexec_b32 s29, s13
	s_cbranch_execnz .LBB6_660
	s_branch .LBB6_661
.LBB6_2552:                             ;   in Loop: Header=BB6_130 Depth=2
	s_or_saveexec_b32 s29, s29
	v_mov_b32_e32 v119, 0x7f800001
	s_xor_b32 exec_lo, exec_lo, s29
	s_cbranch_execz .LBB6_675
.LBB6_2553:                             ;   in Loop: Header=BB6_130 Depth=2
	v_cmp_ne_u16_sdwa s40, v51, v84 src0_sel:BYTE_3 src1_sel:DWORD
	v_mov_b32_e32 v119, 0
	s_andn2_b32 s13, s13, exec_lo
	s_and_b32 s40, s40, exec_lo
	s_or_b32 s13, s13, s40
	s_or_b32 exec_lo, exec_lo, s29
	s_and_saveexec_b32 s29, s13
	s_cbranch_execnz .LBB6_676
	s_branch .LBB6_677
.LBB6_2554:                             ;   in Loop: Header=BB6_130 Depth=2
	s_or_saveexec_b32 s29, s29
	v_mov_b32_e32 v2, 0x7f800001
	s_xor_b32 exec_lo, exec_lo, s29
	s_cbranch_execz .LBB6_681
.LBB6_2555:                             ;   in Loop: Header=BB6_130 Depth=2
	v_cmp_ne_u16_sdwa s40, v39, v84 src0_sel:BYTE_3 src1_sel:DWORD
	v_mov_b32_e32 v2, 0
	s_andn2_b32 s13, s13, exec_lo
	s_and_b32 s40, s40, exec_lo
	s_or_b32 s13, s13, s40
	s_or_b32 exec_lo, exec_lo, s29
	s_and_saveexec_b32 s29, s13
	s_cbranch_execnz .LBB6_682
	s_branch .LBB6_683
.LBB6_2556:                             ;   in Loop: Header=BB6_130 Depth=2
	s_or_saveexec_b32 s29, s29
	v_mov_b32_e32 v119, 0x7f800001
	s_xor_b32 exec_lo, exec_lo, s29
	s_cbranch_execz .LBB6_689
.LBB6_2557:                             ;   in Loop: Header=BB6_130 Depth=2
	v_cmp_ne_u16_sdwa s40, v51, v84 src0_sel:BYTE_3 src1_sel:DWORD
	v_mov_b32_e32 v119, 0
	s_andn2_b32 s13, s13, exec_lo
	s_and_b32 s40, s40, exec_lo
	s_or_b32 s13, s13, s40
	s_or_b32 exec_lo, exec_lo, s29
	s_and_saveexec_b32 s29, s13
	s_cbranch_execnz .LBB6_690
	s_branch .LBB6_691
.LBB6_2558:                             ;   in Loop: Header=BB6_130 Depth=2
	s_or_saveexec_b32 s29, s29
	v_mov_b32_e32 v2, 0x7f800001
	s_xor_b32 exec_lo, exec_lo, s29
	s_cbranch_execz .LBB6_695
.LBB6_2559:                             ;   in Loop: Header=BB6_130 Depth=2
	v_cmp_ne_u16_sdwa s40, v39, v84 src0_sel:BYTE_3 src1_sel:DWORD
	v_mov_b32_e32 v2, 0
	s_andn2_b32 s13, s13, exec_lo
	s_and_b32 s40, s40, exec_lo
	s_or_b32 s13, s13, s40
	s_or_b32 exec_lo, exec_lo, s29
	s_and_saveexec_b32 s29, s13
	s_cbranch_execnz .LBB6_696
	s_branch .LBB6_697
.LBB6_2560:                             ;   in Loop: Header=BB6_130 Depth=2
	s_or_saveexec_b32 s29, s29
	v_mov_b32_e32 v51, 0x7f800001
	s_xor_b32 exec_lo, exec_lo, s29
	s_cbranch_execz .LBB6_711
.LBB6_2561:                             ;   in Loop: Header=BB6_130 Depth=2
	v_cmp_ne_u16_sdwa s40, v32, v84 src0_sel:BYTE_0 src1_sel:DWORD
	v_mov_b32_e32 v51, 0
	s_andn2_b32 s13, s13, exec_lo
	s_and_b32 s40, s40, exec_lo
	s_or_b32 s13, s13, s40
	s_or_b32 exec_lo, exec_lo, s29
	s_and_saveexec_b32 s29, s13
	s_cbranch_execnz .LBB6_712
	s_branch .LBB6_713
.LBB6_2562:                             ;   in Loop: Header=BB6_130 Depth=2
	s_or_saveexec_b32 s29, s29
	v_mov_b32_e32 v2, 0x7f800001
	s_xor_b32 exec_lo, exec_lo, s29
	s_cbranch_execz .LBB6_717
.LBB6_2563:                             ;   in Loop: Header=BB6_130 Depth=2
	v_cmp_ne_u16_sdwa s40, v26, v84 src0_sel:BYTE_0 src1_sel:DWORD
	v_mov_b32_e32 v2, 0
	s_andn2_b32 s13, s13, exec_lo
	s_and_b32 s40, s40, exec_lo
	s_or_b32 s13, s13, s40
	s_or_b32 exec_lo, exec_lo, s29
	s_and_saveexec_b32 s29, s13
	s_cbranch_execnz .LBB6_718
	s_branch .LBB6_719
.LBB6_2564:                             ;   in Loop: Header=BB6_130 Depth=2
	s_or_saveexec_b32 s29, s29
	v_mov_b32_e32 v51, 0x7f800001
	s_xor_b32 exec_lo, exec_lo, s29
	s_cbranch_execz .LBB6_725
.LBB6_2565:                             ;   in Loop: Header=BB6_130 Depth=2
	v_cmp_ne_u16_sdwa s40, v32, v84 src0_sel:BYTE_0 src1_sel:DWORD
	v_mov_b32_e32 v51, 0
	s_andn2_b32 s13, s13, exec_lo
	s_and_b32 s40, s40, exec_lo
	s_or_b32 s13, s13, s40
	s_or_b32 exec_lo, exec_lo, s29
	s_and_saveexec_b32 s29, s13
	s_cbranch_execnz .LBB6_726
	s_branch .LBB6_727
.LBB6_2566:                             ;   in Loop: Header=BB6_130 Depth=2
	s_or_saveexec_b32 s29, s29
	v_mov_b32_e32 v2, 0x7f800001
	s_xor_b32 exec_lo, exec_lo, s29
	s_cbranch_execz .LBB6_731
.LBB6_2567:                             ;   in Loop: Header=BB6_130 Depth=2
	v_cmp_ne_u16_sdwa s40, v26, v84 src0_sel:BYTE_0 src1_sel:DWORD
	v_mov_b32_e32 v2, 0
	s_andn2_b32 s13, s13, exec_lo
	s_and_b32 s40, s40, exec_lo
	s_or_b32 s13, s13, s40
	s_or_b32 exec_lo, exec_lo, s29
	s_and_saveexec_b32 s29, s13
	s_cbranch_execnz .LBB6_732
	s_branch .LBB6_733
.LBB6_2568:                             ;   in Loop: Header=BB6_130 Depth=2
	s_or_saveexec_b32 s29, s29
	v_mov_b32_e32 v119, 0x7f800001
	s_xor_b32 exec_lo, exec_lo, s29
	s_cbranch_execz .LBB6_747
.LBB6_2569:                             ;   in Loop: Header=BB6_130 Depth=2
	v_cmp_ne_u16_sdwa s40, v32, v84 src0_sel:BYTE_1 src1_sel:DWORD
	v_mov_b32_e32 v119, 0
	s_andn2_b32 s13, s13, exec_lo
	s_and_b32 s40, s40, exec_lo
	s_or_b32 s13, s13, s40
	s_or_b32 exec_lo, exec_lo, s29
	s_and_saveexec_b32 s29, s13
	s_cbranch_execnz .LBB6_748
	s_branch .LBB6_749
.LBB6_2570:                             ;   in Loop: Header=BB6_130 Depth=2
	s_or_saveexec_b32 s29, s29
	v_mov_b32_e32 v2, 0x7f800001
	s_xor_b32 exec_lo, exec_lo, s29
	s_cbranch_execz .LBB6_753
.LBB6_2571:                             ;   in Loop: Header=BB6_130 Depth=2
	v_cmp_ne_u16_sdwa s40, v26, v84 src0_sel:BYTE_1 src1_sel:DWORD
	v_mov_b32_e32 v2, 0
	s_andn2_b32 s13, s13, exec_lo
	s_and_b32 s40, s40, exec_lo
	s_or_b32 s13, s13, s40
	s_or_b32 exec_lo, exec_lo, s29
	s_and_saveexec_b32 s29, s13
	s_cbranch_execnz .LBB6_754
	s_branch .LBB6_755
.LBB6_2572:                             ;   in Loop: Header=BB6_130 Depth=2
	s_or_saveexec_b32 s29, s29
	v_mov_b32_e32 v119, 0x7f800001
	s_xor_b32 exec_lo, exec_lo, s29
	s_cbranch_execz .LBB6_761
.LBB6_2573:                             ;   in Loop: Header=BB6_130 Depth=2
	v_cmp_ne_u16_sdwa s40, v32, v84 src0_sel:BYTE_1 src1_sel:DWORD
	v_mov_b32_e32 v119, 0
	s_andn2_b32 s13, s13, exec_lo
	s_and_b32 s40, s40, exec_lo
	s_or_b32 s13, s13, s40
	s_or_b32 exec_lo, exec_lo, s29
	s_and_saveexec_b32 s29, s13
	s_cbranch_execnz .LBB6_762
	s_branch .LBB6_763
.LBB6_2574:                             ;   in Loop: Header=BB6_130 Depth=2
	s_or_saveexec_b32 s29, s29
	v_mov_b32_e32 v2, 0x7f800001
	s_xor_b32 exec_lo, exec_lo, s29
	s_cbranch_execz .LBB6_767
.LBB6_2575:                             ;   in Loop: Header=BB6_130 Depth=2
	v_cmp_ne_u16_sdwa s40, v26, v84 src0_sel:BYTE_1 src1_sel:DWORD
	v_mov_b32_e32 v2, 0
	s_andn2_b32 s13, s13, exec_lo
	s_and_b32 s40, s40, exec_lo
	s_or_b32 s13, s13, s40
	s_or_b32 exec_lo, exec_lo, s29
	s_and_saveexec_b32 s29, s13
	s_cbranch_execnz .LBB6_768
	s_branch .LBB6_769
.LBB6_2576:                             ;   in Loop: Header=BB6_130 Depth=2
	s_or_saveexec_b32 s13, s13
	v_mov_b32_e32 v40, 0x7f800001
	s_xor_b32 exec_lo, exec_lo, s13
	s_cbranch_execz .LBB6_783
.LBB6_2577:                             ;   in Loop: Header=BB6_130 Depth=2
	v_cmp_ne_u16_e32 vcc_lo, 0, v119
	v_mov_b32_e32 v40, 0
	s_andn2_b32 s29, s29, exec_lo
	s_and_b32 s40, vcc_lo, exec_lo
	s_or_b32 s29, s29, s40
	s_or_b32 exec_lo, exec_lo, s13
	s_and_saveexec_b32 s13, s29
	s_cbranch_execnz .LBB6_784
	s_branch .LBB6_785
.LBB6_2578:                             ;   in Loop: Header=BB6_130 Depth=2
	s_or_saveexec_b32 s29, s29
	v_mov_b32_e32 v2, 0x7f800001
	s_xor_b32 exec_lo, exec_lo, s29
	s_cbranch_execz .LBB6_789
.LBB6_2579:                             ;   in Loop: Header=BB6_130 Depth=2
	v_cmp_ne_u16_e32 vcc_lo, 0, v3
	v_mov_b32_e32 v2, 0
	s_andn2_b32 s13, s13, exec_lo
	s_and_b32 s40, vcc_lo, exec_lo
	s_or_b32 s13, s13, s40
	s_or_b32 exec_lo, exec_lo, s29
	s_and_saveexec_b32 s29, s13
	s_cbranch_execnz .LBB6_790
	s_branch .LBB6_791
.LBB6_2580:                             ;   in Loop: Header=BB6_130 Depth=2
	s_or_saveexec_b32 s29, s29
	v_mov_b32_e32 v40, 0x7f800001
	s_xor_b32 exec_lo, exec_lo, s29
	s_cbranch_execz .LBB6_797
.LBB6_2581:                             ;   in Loop: Header=BB6_130 Depth=2
	v_cmp_ne_u16_e32 vcc_lo, 0, v119
	v_mov_b32_e32 v40, 0
	s_andn2_b32 s13, s13, exec_lo
	s_and_b32 s40, vcc_lo, exec_lo
	s_or_b32 s13, s13, s40
	s_or_b32 exec_lo, exec_lo, s29
	s_and_saveexec_b32 s29, s13
	s_cbranch_execnz .LBB6_798
	s_branch .LBB6_799
.LBB6_2582:                             ;   in Loop: Header=BB6_130 Depth=2
	s_or_saveexec_b32 s29, s29
	v_mov_b32_e32 v2, 0x7f800001
	s_xor_b32 exec_lo, exec_lo, s29
	s_cbranch_execz .LBB6_803
.LBB6_2583:                             ;   in Loop: Header=BB6_130 Depth=2
	v_cmp_ne_u16_e32 vcc_lo, 0, v3
	v_mov_b32_e32 v2, 0
	s_andn2_b32 s13, s13, exec_lo
	s_and_b32 s40, vcc_lo, exec_lo
	s_or_b32 s13, s13, s40
	s_or_b32 exec_lo, exec_lo, s29
	s_and_saveexec_b32 s29, s13
	s_cbranch_execnz .LBB6_804
	s_branch .LBB6_805
.LBB6_2584:                             ;   in Loop: Header=BB6_130 Depth=2
	s_or_saveexec_b32 s29, s29
	v_mov_b32_e32 v119, 0x7f800001
	s_xor_b32 exec_lo, exec_lo, s29
	s_cbranch_execz .LBB6_819
.LBB6_2585:                             ;   in Loop: Header=BB6_130 Depth=2
	v_cmp_ne_u16_sdwa s40, v32, v84 src0_sel:BYTE_3 src1_sel:DWORD
	v_mov_b32_e32 v119, 0
	s_andn2_b32 s13, s13, exec_lo
	s_and_b32 s40, s40, exec_lo
	s_or_b32 s13, s13, s40
	s_or_b32 exec_lo, exec_lo, s29
	s_and_saveexec_b32 s29, s13
	s_cbranch_execnz .LBB6_820
	s_branch .LBB6_821
.LBB6_2586:                             ;   in Loop: Header=BB6_130 Depth=2
	s_or_saveexec_b32 s29, s29
	v_mov_b32_e32 v2, 0x7f800001
	s_xor_b32 exec_lo, exec_lo, s29
	s_cbranch_execz .LBB6_825
.LBB6_2587:                             ;   in Loop: Header=BB6_130 Depth=2
	v_cmp_ne_u16_sdwa s40, v26, v84 src0_sel:BYTE_3 src1_sel:DWORD
	v_mov_b32_e32 v2, 0
	s_andn2_b32 s13, s13, exec_lo
	s_and_b32 s40, s40, exec_lo
	s_or_b32 s13, s13, s40
	s_or_b32 exec_lo, exec_lo, s29
	s_and_saveexec_b32 s29, s13
	s_cbranch_execnz .LBB6_826
	s_branch .LBB6_827
.LBB6_2588:                             ;   in Loop: Header=BB6_130 Depth=2
	s_or_saveexec_b32 s29, s29
	v_mov_b32_e32 v119, 0x7f800001
	s_xor_b32 exec_lo, exec_lo, s29
	s_cbranch_execz .LBB6_833
.LBB6_2589:                             ;   in Loop: Header=BB6_130 Depth=2
	v_cmp_ne_u16_sdwa s40, v32, v84 src0_sel:BYTE_3 src1_sel:DWORD
	v_mov_b32_e32 v119, 0
	s_andn2_b32 s13, s13, exec_lo
	s_and_b32 s40, s40, exec_lo
	s_or_b32 s13, s13, s40
	s_or_b32 exec_lo, exec_lo, s29
	s_and_saveexec_b32 s29, s13
	s_cbranch_execnz .LBB6_834
	s_branch .LBB6_835
.LBB6_2590:                             ;   in Loop: Header=BB6_130 Depth=2
	s_or_saveexec_b32 s29, s29
	v_mov_b32_e32 v2, 0x7f800001
	s_xor_b32 exec_lo, exec_lo, s29
	s_cbranch_execz .LBB6_839
.LBB6_2591:                             ;   in Loop: Header=BB6_130 Depth=2
	v_cmp_ne_u16_sdwa s40, v26, v84 src0_sel:BYTE_3 src1_sel:DWORD
	v_mov_b32_e32 v2, 0
	s_andn2_b32 s13, s13, exec_lo
	s_and_b32 s40, s40, exec_lo
	s_or_b32 s13, s13, s40
	s_or_b32 exec_lo, exec_lo, s29
	s_and_saveexec_b32 s29, s13
	s_cbranch_execnz .LBB6_840
	s_branch .LBB6_841
.LBB6_2592:                             ;   in Loop: Header=BB6_130 Depth=2
	s_or_saveexec_b32 s29, s29
	v_mov_b32_e32 v32, 0x7f800001
	s_xor_b32 exec_lo, exec_lo, s29
	s_cbranch_execz .LBB6_855
.LBB6_2593:                             ;   in Loop: Header=BB6_130 Depth=2
	v_cmp_ne_u16_sdwa s40, v33, v84 src0_sel:BYTE_0 src1_sel:DWORD
	v_mov_b32_e32 v32, 0
	s_andn2_b32 s13, s13, exec_lo
	s_and_b32 s40, s40, exec_lo
	s_or_b32 s13, s13, s40
	s_or_b32 exec_lo, exec_lo, s29
	s_and_saveexec_b32 s29, s13
	s_cbranch_execnz .LBB6_856
	s_branch .LBB6_857
.LBB6_2594:                             ;   in Loop: Header=BB6_130 Depth=2
	s_or_saveexec_b32 s29, s29
	v_mov_b32_e32 v2, 0x7f800001
	s_xor_b32 exec_lo, exec_lo, s29
	s_cbranch_execz .LBB6_861
.LBB6_2595:                             ;   in Loop: Header=BB6_130 Depth=2
	v_cmp_ne_u16_sdwa s40, v27, v84 src0_sel:BYTE_0 src1_sel:DWORD
	v_mov_b32_e32 v2, 0
	s_andn2_b32 s13, s13, exec_lo
	s_and_b32 s40, s40, exec_lo
	s_or_b32 s13, s13, s40
	s_or_b32 exec_lo, exec_lo, s29
	s_and_saveexec_b32 s29, s13
	s_cbranch_execnz .LBB6_862
	s_branch .LBB6_863
.LBB6_2596:                             ;   in Loop: Header=BB6_130 Depth=2
	s_or_saveexec_b32 s29, s29
	v_mov_b32_e32 v32, 0x7f800001
	s_xor_b32 exec_lo, exec_lo, s29
	s_cbranch_execz .LBB6_869
.LBB6_2597:                             ;   in Loop: Header=BB6_130 Depth=2
	v_cmp_ne_u16_sdwa s40, v33, v84 src0_sel:BYTE_0 src1_sel:DWORD
	v_mov_b32_e32 v32, 0
	s_andn2_b32 s13, s13, exec_lo
	s_and_b32 s40, s40, exec_lo
	s_or_b32 s13, s13, s40
	s_or_b32 exec_lo, exec_lo, s29
	s_and_saveexec_b32 s29, s13
	s_cbranch_execnz .LBB6_870
	s_branch .LBB6_871
.LBB6_2598:                             ;   in Loop: Header=BB6_130 Depth=2
	s_or_saveexec_b32 s29, s29
	v_mov_b32_e32 v2, 0x7f800001
	s_xor_b32 exec_lo, exec_lo, s29
	s_cbranch_execz .LBB6_875
.LBB6_2599:                             ;   in Loop: Header=BB6_130 Depth=2
	v_cmp_ne_u16_sdwa s40, v27, v84 src0_sel:BYTE_0 src1_sel:DWORD
	v_mov_b32_e32 v2, 0
	s_andn2_b32 s13, s13, exec_lo
	s_and_b32 s40, s40, exec_lo
	s_or_b32 s13, s13, s40
	s_or_b32 exec_lo, exec_lo, s29
	s_and_saveexec_b32 s29, s13
	s_cbranch_execnz .LBB6_876
	s_branch .LBB6_877
.LBB6_2600:                             ;   in Loop: Header=BB6_130 Depth=2
	s_or_saveexec_b32 s29, s29
	v_mov_b32_e32 v119, 0x7f800001
	s_xor_b32 exec_lo, exec_lo, s29
	s_cbranch_execz .LBB6_891
.LBB6_2601:                             ;   in Loop: Header=BB6_130 Depth=2
	v_cmp_ne_u16_sdwa s40, v33, v84 src0_sel:BYTE_1 src1_sel:DWORD
	v_mov_b32_e32 v119, 0
	s_andn2_b32 s13, s13, exec_lo
	s_and_b32 s40, s40, exec_lo
	s_or_b32 s13, s13, s40
	s_or_b32 exec_lo, exec_lo, s29
	s_and_saveexec_b32 s29, s13
	s_cbranch_execnz .LBB6_892
	s_branch .LBB6_893
.LBB6_2602:                             ;   in Loop: Header=BB6_130 Depth=2
	s_or_saveexec_b32 s29, s29
	v_mov_b32_e32 v2, 0x7f800001
	s_xor_b32 exec_lo, exec_lo, s29
	s_cbranch_execz .LBB6_897
.LBB6_2603:                             ;   in Loop: Header=BB6_130 Depth=2
	v_cmp_ne_u16_sdwa s40, v27, v84 src0_sel:BYTE_1 src1_sel:DWORD
	v_mov_b32_e32 v2, 0
	s_andn2_b32 s13, s13, exec_lo
	s_and_b32 s40, s40, exec_lo
	s_or_b32 s13, s13, s40
	s_or_b32 exec_lo, exec_lo, s29
	s_and_saveexec_b32 s29, s13
	s_cbranch_execnz .LBB6_898
	s_branch .LBB6_899
.LBB6_2604:                             ;   in Loop: Header=BB6_130 Depth=2
	s_or_saveexec_b32 s29, s29
	v_mov_b32_e32 v119, 0x7f800001
	s_xor_b32 exec_lo, exec_lo, s29
	s_cbranch_execz .LBB6_905
.LBB6_2605:                             ;   in Loop: Header=BB6_130 Depth=2
	v_cmp_ne_u16_sdwa s40, v33, v84 src0_sel:BYTE_1 src1_sel:DWORD
	v_mov_b32_e32 v119, 0
	s_andn2_b32 s13, s13, exec_lo
	s_and_b32 s40, s40, exec_lo
	s_or_b32 s13, s13, s40
	s_or_b32 exec_lo, exec_lo, s29
	s_and_saveexec_b32 s29, s13
	s_cbranch_execnz .LBB6_906
	s_branch .LBB6_907
.LBB6_2606:                             ;   in Loop: Header=BB6_130 Depth=2
	s_or_saveexec_b32 s29, s29
	v_mov_b32_e32 v2, 0x7f800001
	s_xor_b32 exec_lo, exec_lo, s29
	s_cbranch_execz .LBB6_911
.LBB6_2607:                             ;   in Loop: Header=BB6_130 Depth=2
	v_cmp_ne_u16_sdwa s40, v27, v84 src0_sel:BYTE_1 src1_sel:DWORD
	v_mov_b32_e32 v2, 0
	s_andn2_b32 s13, s13, exec_lo
	s_and_b32 s40, s40, exec_lo
	s_or_b32 s13, s13, s40
	s_or_b32 exec_lo, exec_lo, s29
	s_and_saveexec_b32 s29, s13
	s_cbranch_execnz .LBB6_912
	s_branch .LBB6_913
.LBB6_2608:                             ;   in Loop: Header=BB6_130 Depth=2
	s_or_saveexec_b32 s13, s13
	v_mov_b32_e32 v40, 0x7f800001
	s_xor_b32 exec_lo, exec_lo, s13
	s_cbranch_execz .LBB6_927
.LBB6_2609:                             ;   in Loop: Header=BB6_130 Depth=2
	v_cmp_ne_u16_e32 vcc_lo, 0, v119
	v_mov_b32_e32 v40, 0
	s_andn2_b32 s29, s29, exec_lo
	s_and_b32 s40, vcc_lo, exec_lo
	s_or_b32 s29, s29, s40
	s_or_b32 exec_lo, exec_lo, s13
	s_and_saveexec_b32 s13, s29
	s_cbranch_execnz .LBB6_928
	s_branch .LBB6_929
.LBB6_2610:                             ;   in Loop: Header=BB6_130 Depth=2
	s_or_saveexec_b32 s29, s29
	v_mov_b32_e32 v2, 0x7f800001
	s_xor_b32 exec_lo, exec_lo, s29
	s_cbranch_execz .LBB6_933
.LBB6_2611:                             ;   in Loop: Header=BB6_130 Depth=2
	v_cmp_ne_u16_e32 vcc_lo, 0, v3
	v_mov_b32_e32 v2, 0
	s_andn2_b32 s13, s13, exec_lo
	s_and_b32 s40, vcc_lo, exec_lo
	s_or_b32 s13, s13, s40
	s_or_b32 exec_lo, exec_lo, s29
	s_and_saveexec_b32 s29, s13
	s_cbranch_execnz .LBB6_934
	s_branch .LBB6_935
.LBB6_2612:                             ;   in Loop: Header=BB6_130 Depth=2
	s_or_saveexec_b32 s29, s29
	v_mov_b32_e32 v40, 0x7f800001
	s_xor_b32 exec_lo, exec_lo, s29
	s_cbranch_execz .LBB6_941
.LBB6_2613:                             ;   in Loop: Header=BB6_130 Depth=2
	v_cmp_ne_u16_e32 vcc_lo, 0, v119
	v_mov_b32_e32 v40, 0
	s_andn2_b32 s13, s13, exec_lo
	s_and_b32 s40, vcc_lo, exec_lo
	s_or_b32 s13, s13, s40
	s_or_b32 exec_lo, exec_lo, s29
	s_and_saveexec_b32 s29, s13
	s_cbranch_execnz .LBB6_942
	s_branch .LBB6_943
.LBB6_2614:                             ;   in Loop: Header=BB6_130 Depth=2
	s_or_saveexec_b32 s29, s29
	v_mov_b32_e32 v2, 0x7f800001
	s_xor_b32 exec_lo, exec_lo, s29
	s_cbranch_execz .LBB6_947
.LBB6_2615:                             ;   in Loop: Header=BB6_130 Depth=2
	v_cmp_ne_u16_e32 vcc_lo, 0, v3
	v_mov_b32_e32 v2, 0
	s_andn2_b32 s13, s13, exec_lo
	s_and_b32 s40, vcc_lo, exec_lo
	s_or_b32 s13, s13, s40
	s_or_b32 exec_lo, exec_lo, s29
	s_and_saveexec_b32 s29, s13
	s_cbranch_execnz .LBB6_948
	s_branch .LBB6_949
.LBB6_2616:                             ;   in Loop: Header=BB6_130 Depth=2
	s_or_saveexec_b32 s29, s29
	v_mov_b32_e32 v119, 0x7f800001
	s_xor_b32 exec_lo, exec_lo, s29
	s_cbranch_execz .LBB6_963
.LBB6_2617:                             ;   in Loop: Header=BB6_130 Depth=2
	v_cmp_ne_u16_sdwa s40, v33, v84 src0_sel:BYTE_3 src1_sel:DWORD
	v_mov_b32_e32 v119, 0
	s_andn2_b32 s13, s13, exec_lo
	s_and_b32 s40, s40, exec_lo
	s_or_b32 s13, s13, s40
	s_or_b32 exec_lo, exec_lo, s29
	s_and_saveexec_b32 s29, s13
	s_cbranch_execnz .LBB6_964
	s_branch .LBB6_965
.LBB6_2618:                             ;   in Loop: Header=BB6_130 Depth=2
	s_or_saveexec_b32 s29, s29
	v_mov_b32_e32 v2, 0x7f800001
	s_xor_b32 exec_lo, exec_lo, s29
	s_cbranch_execz .LBB6_969
.LBB6_2619:                             ;   in Loop: Header=BB6_130 Depth=2
	v_cmp_ne_u16_sdwa s40, v27, v84 src0_sel:BYTE_3 src1_sel:DWORD
	v_mov_b32_e32 v2, 0
	s_andn2_b32 s13, s13, exec_lo
	s_and_b32 s40, s40, exec_lo
	s_or_b32 s13, s13, s40
	s_or_b32 exec_lo, exec_lo, s29
	s_and_saveexec_b32 s29, s13
	s_cbranch_execnz .LBB6_970
	s_branch .LBB6_971
.LBB6_2620:                             ;   in Loop: Header=BB6_130 Depth=2
	s_or_saveexec_b32 s29, s29
	v_mov_b32_e32 v119, 0x7f800001
	s_xor_b32 exec_lo, exec_lo, s29
	s_cbranch_execz .LBB6_977
.LBB6_2621:                             ;   in Loop: Header=BB6_130 Depth=2
	v_cmp_ne_u16_sdwa s40, v33, v84 src0_sel:BYTE_3 src1_sel:DWORD
	v_mov_b32_e32 v119, 0
	s_andn2_b32 s13, s13, exec_lo
	s_and_b32 s40, s40, exec_lo
	s_or_b32 s13, s13, s40
	s_or_b32 exec_lo, exec_lo, s29
	s_and_saveexec_b32 s29, s13
	s_cbranch_execnz .LBB6_978
	s_branch .LBB6_979
.LBB6_2622:                             ;   in Loop: Header=BB6_130 Depth=2
	s_or_saveexec_b32 s29, s29
	v_mov_b32_e32 v2, 0x7f800001
	s_xor_b32 exec_lo, exec_lo, s29
	s_cbranch_execz .LBB6_983
.LBB6_2623:                             ;   in Loop: Header=BB6_130 Depth=2
	v_cmp_ne_u16_sdwa s40, v27, v84 src0_sel:BYTE_3 src1_sel:DWORD
	v_mov_b32_e32 v2, 0
	s_andn2_b32 s13, s13, exec_lo
	s_and_b32 s40, s40, exec_lo
	s_or_b32 s13, s13, s40
	s_or_b32 exec_lo, exec_lo, s29
	s_and_saveexec_b32 s29, s13
	s_cbranch_execnz .LBB6_984
	s_branch .LBB6_985
.LBB6_2624:                             ;   in Loop: Header=BB6_130 Depth=2
	s_or_saveexec_b32 s29, s29
	v_mov_b32_e32 v33, 0x7f800001
	s_xor_b32 exec_lo, exec_lo, s29
	s_cbranch_execz .LBB6_999
.LBB6_2625:                             ;   in Loop: Header=BB6_130 Depth=2
	v_cmp_ne_u16_sdwa s40, v34, v84 src0_sel:BYTE_0 src1_sel:DWORD
	v_mov_b32_e32 v33, 0
	s_andn2_b32 s13, s13, exec_lo
	s_and_b32 s40, s40, exec_lo
	s_or_b32 s13, s13, s40
	s_or_b32 exec_lo, exec_lo, s29
	s_and_saveexec_b32 s29, s13
	s_cbranch_execnz .LBB6_1000
	s_branch .LBB6_1001
.LBB6_2626:                             ;   in Loop: Header=BB6_130 Depth=2
	s_or_saveexec_b32 s29, s29
	v_mov_b32_e32 v2, 0x7f800001
	s_xor_b32 exec_lo, exec_lo, s29
	s_cbranch_execz .LBB6_1005
.LBB6_2627:                             ;   in Loop: Header=BB6_130 Depth=2
	v_cmp_ne_u16_sdwa s40, v28, v84 src0_sel:BYTE_0 src1_sel:DWORD
	v_mov_b32_e32 v2, 0
	s_andn2_b32 s13, s13, exec_lo
	s_and_b32 s40, s40, exec_lo
	s_or_b32 s13, s13, s40
	s_or_b32 exec_lo, exec_lo, s29
	s_and_saveexec_b32 s29, s13
	s_cbranch_execnz .LBB6_1006
	s_branch .LBB6_1007
.LBB6_2628:                             ;   in Loop: Header=BB6_130 Depth=2
	s_or_saveexec_b32 s29, s29
	v_mov_b32_e32 v33, 0x7f800001
	s_xor_b32 exec_lo, exec_lo, s29
	s_cbranch_execz .LBB6_1013
.LBB6_2629:                             ;   in Loop: Header=BB6_130 Depth=2
	v_cmp_ne_u16_sdwa s40, v34, v84 src0_sel:BYTE_0 src1_sel:DWORD
	v_mov_b32_e32 v33, 0
	s_andn2_b32 s13, s13, exec_lo
	s_and_b32 s40, s40, exec_lo
	s_or_b32 s13, s13, s40
	s_or_b32 exec_lo, exec_lo, s29
	s_and_saveexec_b32 s29, s13
	s_cbranch_execnz .LBB6_1014
	s_branch .LBB6_1015
.LBB6_2630:                             ;   in Loop: Header=BB6_130 Depth=2
	s_or_saveexec_b32 s29, s29
	v_mov_b32_e32 v2, 0x7f800001
	s_xor_b32 exec_lo, exec_lo, s29
	s_cbranch_execz .LBB6_1019
.LBB6_2631:                             ;   in Loop: Header=BB6_130 Depth=2
	v_cmp_ne_u16_sdwa s40, v28, v84 src0_sel:BYTE_0 src1_sel:DWORD
	v_mov_b32_e32 v2, 0
	s_andn2_b32 s13, s13, exec_lo
	s_and_b32 s40, s40, exec_lo
	s_or_b32 s13, s13, s40
	s_or_b32 exec_lo, exec_lo, s29
	s_and_saveexec_b32 s29, s13
	s_cbranch_execnz .LBB6_1020
	s_branch .LBB6_1021
.LBB6_2632:                             ;   in Loop: Header=BB6_130 Depth=2
	s_or_saveexec_b32 s29, s29
	v_mov_b32_e32 v119, 0x7f800001
	s_xor_b32 exec_lo, exec_lo, s29
	s_cbranch_execz .LBB6_1035
.LBB6_2633:                             ;   in Loop: Header=BB6_130 Depth=2
	v_cmp_ne_u16_sdwa s40, v34, v84 src0_sel:BYTE_1 src1_sel:DWORD
	v_mov_b32_e32 v119, 0
	s_andn2_b32 s13, s13, exec_lo
	s_and_b32 s40, s40, exec_lo
	s_or_b32 s13, s13, s40
	s_or_b32 exec_lo, exec_lo, s29
	s_and_saveexec_b32 s29, s13
	s_cbranch_execnz .LBB6_1036
	s_branch .LBB6_1037
.LBB6_2634:                             ;   in Loop: Header=BB6_130 Depth=2
	s_or_saveexec_b32 s29, s29
	v_mov_b32_e32 v2, 0x7f800001
	s_xor_b32 exec_lo, exec_lo, s29
	s_cbranch_execz .LBB6_1041
.LBB6_2635:                             ;   in Loop: Header=BB6_130 Depth=2
	v_cmp_ne_u16_sdwa s40, v28, v84 src0_sel:BYTE_1 src1_sel:DWORD
	v_mov_b32_e32 v2, 0
	s_andn2_b32 s13, s13, exec_lo
	s_and_b32 s40, s40, exec_lo
	s_or_b32 s13, s13, s40
	s_or_b32 exec_lo, exec_lo, s29
	s_and_saveexec_b32 s29, s13
	s_cbranch_execnz .LBB6_1042
	s_branch .LBB6_1043
.LBB6_2636:                             ;   in Loop: Header=BB6_130 Depth=2
	s_or_saveexec_b32 s29, s29
	v_mov_b32_e32 v119, 0x7f800001
	s_xor_b32 exec_lo, exec_lo, s29
	s_cbranch_execz .LBB6_1049
.LBB6_2637:                             ;   in Loop: Header=BB6_130 Depth=2
	v_cmp_ne_u16_sdwa s40, v34, v84 src0_sel:BYTE_1 src1_sel:DWORD
	v_mov_b32_e32 v119, 0
	s_andn2_b32 s13, s13, exec_lo
	s_and_b32 s40, s40, exec_lo
	s_or_b32 s13, s13, s40
	s_or_b32 exec_lo, exec_lo, s29
	s_and_saveexec_b32 s29, s13
	s_cbranch_execnz .LBB6_1050
	s_branch .LBB6_1051
.LBB6_2638:                             ;   in Loop: Header=BB6_130 Depth=2
	s_or_saveexec_b32 s29, s29
	v_mov_b32_e32 v2, 0x7f800001
	s_xor_b32 exec_lo, exec_lo, s29
	s_cbranch_execz .LBB6_1055
.LBB6_2639:                             ;   in Loop: Header=BB6_130 Depth=2
	v_cmp_ne_u16_sdwa s40, v28, v84 src0_sel:BYTE_1 src1_sel:DWORD
	v_mov_b32_e32 v2, 0
	s_andn2_b32 s13, s13, exec_lo
	s_and_b32 s40, s40, exec_lo
	s_or_b32 s13, s13, s40
	s_or_b32 exec_lo, exec_lo, s29
	s_and_saveexec_b32 s29, s13
	s_cbranch_execnz .LBB6_1056
	s_branch .LBB6_1057
.LBB6_2640:                             ;   in Loop: Header=BB6_130 Depth=2
	s_or_saveexec_b32 s13, s13
	v_mov_b32_e32 v40, 0x7f800001
	s_xor_b32 exec_lo, exec_lo, s13
	s_cbranch_execz .LBB6_1071
.LBB6_2641:                             ;   in Loop: Header=BB6_130 Depth=2
	v_cmp_ne_u16_e32 vcc_lo, 0, v119
	v_mov_b32_e32 v40, 0
	s_andn2_b32 s29, s29, exec_lo
	s_and_b32 s40, vcc_lo, exec_lo
	s_or_b32 s29, s29, s40
	s_or_b32 exec_lo, exec_lo, s13
	s_and_saveexec_b32 s13, s29
	s_cbranch_execnz .LBB6_1072
	s_branch .LBB6_1073
.LBB6_2642:                             ;   in Loop: Header=BB6_130 Depth=2
	s_or_saveexec_b32 s29, s29
	v_mov_b32_e32 v2, 0x7f800001
	s_xor_b32 exec_lo, exec_lo, s29
	s_cbranch_execz .LBB6_1077
.LBB6_2643:                             ;   in Loop: Header=BB6_130 Depth=2
	v_cmp_ne_u16_e32 vcc_lo, 0, v3
	v_mov_b32_e32 v2, 0
	s_andn2_b32 s13, s13, exec_lo
	s_and_b32 s40, vcc_lo, exec_lo
	s_or_b32 s13, s13, s40
	s_or_b32 exec_lo, exec_lo, s29
	s_and_saveexec_b32 s29, s13
	s_cbranch_execnz .LBB6_1078
	s_branch .LBB6_1079
.LBB6_2644:                             ;   in Loop: Header=BB6_130 Depth=2
	s_or_saveexec_b32 s29, s29
	v_mov_b32_e32 v40, 0x7f800001
	s_xor_b32 exec_lo, exec_lo, s29
	s_cbranch_execz .LBB6_1085
.LBB6_2645:                             ;   in Loop: Header=BB6_130 Depth=2
	v_cmp_ne_u16_e32 vcc_lo, 0, v119
	v_mov_b32_e32 v40, 0
	s_andn2_b32 s13, s13, exec_lo
	s_and_b32 s40, vcc_lo, exec_lo
	s_or_b32 s13, s13, s40
	s_or_b32 exec_lo, exec_lo, s29
	s_and_saveexec_b32 s29, s13
	s_cbranch_execnz .LBB6_1086
	s_branch .LBB6_1087
.LBB6_2646:                             ;   in Loop: Header=BB6_130 Depth=2
	s_or_saveexec_b32 s29, s29
	v_mov_b32_e32 v2, 0x7f800001
	s_xor_b32 exec_lo, exec_lo, s29
	s_cbranch_execz .LBB6_1091
.LBB6_2647:                             ;   in Loop: Header=BB6_130 Depth=2
	v_cmp_ne_u16_e32 vcc_lo, 0, v3
	v_mov_b32_e32 v2, 0
	s_andn2_b32 s13, s13, exec_lo
	s_and_b32 s40, vcc_lo, exec_lo
	s_or_b32 s13, s13, s40
	s_or_b32 exec_lo, exec_lo, s29
	s_and_saveexec_b32 s29, s13
	s_cbranch_execnz .LBB6_1092
	s_branch .LBB6_1093
.LBB6_2648:                             ;   in Loop: Header=BB6_130 Depth=2
	s_or_saveexec_b32 s29, s29
	v_mov_b32_e32 v119, 0x7f800001
	s_xor_b32 exec_lo, exec_lo, s29
	s_cbranch_execz .LBB6_1107
.LBB6_2649:                             ;   in Loop: Header=BB6_130 Depth=2
	v_cmp_ne_u16_sdwa s40, v34, v84 src0_sel:BYTE_3 src1_sel:DWORD
	v_mov_b32_e32 v119, 0
	s_andn2_b32 s13, s13, exec_lo
	s_and_b32 s40, s40, exec_lo
	s_or_b32 s13, s13, s40
	s_or_b32 exec_lo, exec_lo, s29
	s_and_saveexec_b32 s29, s13
	s_cbranch_execnz .LBB6_1108
	s_branch .LBB6_1109
.LBB6_2650:                             ;   in Loop: Header=BB6_130 Depth=2
	s_or_saveexec_b32 s29, s29
	v_mov_b32_e32 v2, 0x7f800001
	s_xor_b32 exec_lo, exec_lo, s29
	s_cbranch_execz .LBB6_1113
.LBB6_2651:                             ;   in Loop: Header=BB6_130 Depth=2
	v_cmp_ne_u16_sdwa s40, v28, v84 src0_sel:BYTE_3 src1_sel:DWORD
	v_mov_b32_e32 v2, 0
	s_andn2_b32 s13, s13, exec_lo
	s_and_b32 s40, s40, exec_lo
	s_or_b32 s13, s13, s40
	s_or_b32 exec_lo, exec_lo, s29
	s_and_saveexec_b32 s29, s13
	s_cbranch_execnz .LBB6_1114
	s_branch .LBB6_1115
.LBB6_2652:                             ;   in Loop: Header=BB6_130 Depth=2
	s_or_saveexec_b32 s29, s29
	v_mov_b32_e32 v119, 0x7f800001
	s_xor_b32 exec_lo, exec_lo, s29
	s_cbranch_execz .LBB6_1121
.LBB6_2653:                             ;   in Loop: Header=BB6_130 Depth=2
	v_cmp_ne_u16_sdwa s40, v34, v84 src0_sel:BYTE_3 src1_sel:DWORD
	v_mov_b32_e32 v119, 0
	s_andn2_b32 s13, s13, exec_lo
	s_and_b32 s40, s40, exec_lo
	s_or_b32 s13, s13, s40
	s_or_b32 exec_lo, exec_lo, s29
	s_and_saveexec_b32 s29, s13
	s_cbranch_execnz .LBB6_1122
	s_branch .LBB6_1123
.LBB6_2654:                             ;   in Loop: Header=BB6_130 Depth=2
	s_or_saveexec_b32 s29, s29
	v_mov_b32_e32 v2, 0x7f800001
	s_xor_b32 exec_lo, exec_lo, s29
	s_cbranch_execz .LBB6_1127
.LBB6_2655:                             ;   in Loop: Header=BB6_130 Depth=2
	v_cmp_ne_u16_sdwa s40, v28, v84 src0_sel:BYTE_3 src1_sel:DWORD
	v_mov_b32_e32 v2, 0
	s_andn2_b32 s13, s13, exec_lo
	s_and_b32 s40, s40, exec_lo
	s_or_b32 s13, s13, s40
	s_or_b32 exec_lo, exec_lo, s29
	s_and_saveexec_b32 s29, s13
	s_cbranch_execnz .LBB6_1128
	s_branch .LBB6_1129
.LBB6_2656:                             ;   in Loop: Header=BB6_130 Depth=2
	s_or_saveexec_b32 s29, s29
	v_mov_b32_e32 v34, 0x7f800001
	s_xor_b32 exec_lo, exec_lo, s29
	s_cbranch_execz .LBB6_1143
.LBB6_2657:                             ;   in Loop: Header=BB6_130 Depth=2
	v_cmp_ne_u16_sdwa s40, v35, v84 src0_sel:BYTE_0 src1_sel:DWORD
	v_mov_b32_e32 v34, 0
	s_andn2_b32 s13, s13, exec_lo
	s_and_b32 s40, s40, exec_lo
	s_or_b32 s13, s13, s40
	s_or_b32 exec_lo, exec_lo, s29
	s_and_saveexec_b32 s29, s13
	s_cbranch_execnz .LBB6_1144
	s_branch .LBB6_1145
.LBB6_2658:                             ;   in Loop: Header=BB6_130 Depth=2
	s_or_saveexec_b32 s29, s29
	v_mov_b32_e32 v2, 0x7f800001
	s_xor_b32 exec_lo, exec_lo, s29
	s_cbranch_execz .LBB6_1149
.LBB6_2659:                             ;   in Loop: Header=BB6_130 Depth=2
	v_cmp_ne_u16_sdwa s40, v29, v84 src0_sel:BYTE_0 src1_sel:DWORD
	v_mov_b32_e32 v2, 0
	s_andn2_b32 s13, s13, exec_lo
	s_and_b32 s40, s40, exec_lo
	s_or_b32 s13, s13, s40
	s_or_b32 exec_lo, exec_lo, s29
	s_and_saveexec_b32 s29, s13
	s_cbranch_execnz .LBB6_1150
	s_branch .LBB6_1151
.LBB6_2660:                             ;   in Loop: Header=BB6_130 Depth=2
	s_or_saveexec_b32 s29, s29
	v_mov_b32_e32 v34, 0x7f800001
	s_xor_b32 exec_lo, exec_lo, s29
	s_cbranch_execz .LBB6_1157
.LBB6_2661:                             ;   in Loop: Header=BB6_130 Depth=2
	v_cmp_ne_u16_sdwa s40, v35, v84 src0_sel:BYTE_0 src1_sel:DWORD
	v_mov_b32_e32 v34, 0
	s_andn2_b32 s13, s13, exec_lo
	s_and_b32 s40, s40, exec_lo
	s_or_b32 s13, s13, s40
	s_or_b32 exec_lo, exec_lo, s29
	s_and_saveexec_b32 s29, s13
	s_cbranch_execnz .LBB6_1158
	s_branch .LBB6_1159
.LBB6_2662:                             ;   in Loop: Header=BB6_130 Depth=2
	s_or_saveexec_b32 s29, s29
	v_mov_b32_e32 v2, 0x7f800001
	s_xor_b32 exec_lo, exec_lo, s29
	s_cbranch_execz .LBB6_1163
.LBB6_2663:                             ;   in Loop: Header=BB6_130 Depth=2
	v_cmp_ne_u16_sdwa s40, v29, v84 src0_sel:BYTE_0 src1_sel:DWORD
	v_mov_b32_e32 v2, 0
	s_andn2_b32 s13, s13, exec_lo
	s_and_b32 s40, s40, exec_lo
	s_or_b32 s13, s13, s40
	s_or_b32 exec_lo, exec_lo, s29
	s_and_saveexec_b32 s29, s13
	s_cbranch_execnz .LBB6_1164
	s_branch .LBB6_1165
.LBB6_2664:                             ;   in Loop: Header=BB6_130 Depth=2
	s_or_saveexec_b32 s29, s29
	v_mov_b32_e32 v119, 0x7f800001
	s_xor_b32 exec_lo, exec_lo, s29
	s_cbranch_execz .LBB6_1179
.LBB6_2665:                             ;   in Loop: Header=BB6_130 Depth=2
	v_cmp_ne_u16_sdwa s40, v35, v84 src0_sel:BYTE_1 src1_sel:DWORD
	v_mov_b32_e32 v119, 0
	s_andn2_b32 s13, s13, exec_lo
	s_and_b32 s40, s40, exec_lo
	s_or_b32 s13, s13, s40
	s_or_b32 exec_lo, exec_lo, s29
	s_and_saveexec_b32 s29, s13
	s_cbranch_execnz .LBB6_1180
	s_branch .LBB6_1181
.LBB6_2666:                             ;   in Loop: Header=BB6_130 Depth=2
	s_or_saveexec_b32 s29, s29
	v_mov_b32_e32 v2, 0x7f800001
	s_xor_b32 exec_lo, exec_lo, s29
	s_cbranch_execz .LBB6_1185
.LBB6_2667:                             ;   in Loop: Header=BB6_130 Depth=2
	v_cmp_ne_u16_sdwa s40, v29, v84 src0_sel:BYTE_1 src1_sel:DWORD
	v_mov_b32_e32 v2, 0
	s_andn2_b32 s13, s13, exec_lo
	s_and_b32 s40, s40, exec_lo
	s_or_b32 s13, s13, s40
	s_or_b32 exec_lo, exec_lo, s29
	s_and_saveexec_b32 s29, s13
	s_cbranch_execnz .LBB6_1186
	s_branch .LBB6_1187
.LBB6_2668:                             ;   in Loop: Header=BB6_130 Depth=2
	s_or_saveexec_b32 s29, s29
	v_mov_b32_e32 v119, 0x7f800001
	s_xor_b32 exec_lo, exec_lo, s29
	s_cbranch_execz .LBB6_1193
.LBB6_2669:                             ;   in Loop: Header=BB6_130 Depth=2
	v_cmp_ne_u16_sdwa s40, v35, v84 src0_sel:BYTE_1 src1_sel:DWORD
	v_mov_b32_e32 v119, 0
	s_andn2_b32 s13, s13, exec_lo
	s_and_b32 s40, s40, exec_lo
	s_or_b32 s13, s13, s40
	s_or_b32 exec_lo, exec_lo, s29
	s_and_saveexec_b32 s29, s13
	s_cbranch_execnz .LBB6_1194
	s_branch .LBB6_1195
.LBB6_2670:                             ;   in Loop: Header=BB6_130 Depth=2
	s_or_saveexec_b32 s29, s29
	v_mov_b32_e32 v2, 0x7f800001
	s_xor_b32 exec_lo, exec_lo, s29
	s_cbranch_execz .LBB6_1199
.LBB6_2671:                             ;   in Loop: Header=BB6_130 Depth=2
	v_cmp_ne_u16_sdwa s40, v29, v84 src0_sel:BYTE_1 src1_sel:DWORD
	v_mov_b32_e32 v2, 0
	s_andn2_b32 s13, s13, exec_lo
	s_and_b32 s40, s40, exec_lo
	s_or_b32 s13, s13, s40
	s_or_b32 exec_lo, exec_lo, s29
	s_and_saveexec_b32 s29, s13
	s_cbranch_execnz .LBB6_1200
	s_branch .LBB6_1201
.LBB6_2672:                             ;   in Loop: Header=BB6_130 Depth=2
	s_or_saveexec_b32 s13, s13
	v_mov_b32_e32 v40, 0x7f800001
	s_xor_b32 exec_lo, exec_lo, s13
	s_cbranch_execz .LBB6_1215
.LBB6_2673:                             ;   in Loop: Header=BB6_130 Depth=2
	v_cmp_ne_u16_e32 vcc_lo, 0, v119
	v_mov_b32_e32 v40, 0
	s_andn2_b32 s29, s29, exec_lo
	s_and_b32 s40, vcc_lo, exec_lo
	s_or_b32 s29, s29, s40
	s_or_b32 exec_lo, exec_lo, s13
	s_and_saveexec_b32 s13, s29
	s_cbranch_execnz .LBB6_1216
	s_branch .LBB6_1217
.LBB6_2674:                             ;   in Loop: Header=BB6_130 Depth=2
	s_or_saveexec_b32 s29, s29
	v_mov_b32_e32 v2, 0x7f800001
	s_xor_b32 exec_lo, exec_lo, s29
	s_cbranch_execz .LBB6_1221
.LBB6_2675:                             ;   in Loop: Header=BB6_130 Depth=2
	v_cmp_ne_u16_e32 vcc_lo, 0, v3
	v_mov_b32_e32 v2, 0
	s_andn2_b32 s13, s13, exec_lo
	s_and_b32 s40, vcc_lo, exec_lo
	s_or_b32 s13, s13, s40
	s_or_b32 exec_lo, exec_lo, s29
	s_and_saveexec_b32 s29, s13
	s_cbranch_execnz .LBB6_1222
	s_branch .LBB6_1223
.LBB6_2676:                             ;   in Loop: Header=BB6_130 Depth=2
	s_or_saveexec_b32 s29, s29
	v_mov_b32_e32 v40, 0x7f800001
	s_xor_b32 exec_lo, exec_lo, s29
	s_cbranch_execz .LBB6_1229
.LBB6_2677:                             ;   in Loop: Header=BB6_130 Depth=2
	v_cmp_ne_u16_e32 vcc_lo, 0, v119
	v_mov_b32_e32 v40, 0
	s_andn2_b32 s13, s13, exec_lo
	s_and_b32 s40, vcc_lo, exec_lo
	s_or_b32 s13, s13, s40
	s_or_b32 exec_lo, exec_lo, s29
	s_and_saveexec_b32 s29, s13
	s_cbranch_execnz .LBB6_1230
	s_branch .LBB6_1231
.LBB6_2678:                             ;   in Loop: Header=BB6_130 Depth=2
	s_or_saveexec_b32 s29, s29
	v_mov_b32_e32 v2, 0x7f800001
	s_xor_b32 exec_lo, exec_lo, s29
	s_cbranch_execz .LBB6_1235
.LBB6_2679:                             ;   in Loop: Header=BB6_130 Depth=2
	v_cmp_ne_u16_e32 vcc_lo, 0, v3
	v_mov_b32_e32 v2, 0
	s_andn2_b32 s13, s13, exec_lo
	s_and_b32 s40, vcc_lo, exec_lo
	s_or_b32 s13, s13, s40
	s_or_b32 exec_lo, exec_lo, s29
	s_and_saveexec_b32 s29, s13
	s_cbranch_execnz .LBB6_1236
	s_branch .LBB6_1237
.LBB6_2680:                             ;   in Loop: Header=BB6_130 Depth=2
	s_or_saveexec_b32 s29, s29
	v_mov_b32_e32 v119, 0x7f800001
	s_xor_b32 exec_lo, exec_lo, s29
	s_cbranch_execz .LBB6_1251
.LBB6_2681:                             ;   in Loop: Header=BB6_130 Depth=2
	v_cmp_ne_u16_sdwa s40, v35, v84 src0_sel:BYTE_3 src1_sel:DWORD
	v_mov_b32_e32 v119, 0
	s_andn2_b32 s13, s13, exec_lo
	s_and_b32 s40, s40, exec_lo
	s_or_b32 s13, s13, s40
	s_or_b32 exec_lo, exec_lo, s29
	s_and_saveexec_b32 s29, s13
	s_cbranch_execnz .LBB6_1252
	s_branch .LBB6_1253
.LBB6_2682:                             ;   in Loop: Header=BB6_130 Depth=2
	s_or_saveexec_b32 s29, s29
	v_mov_b32_e32 v2, 0x7f800001
	s_xor_b32 exec_lo, exec_lo, s29
	s_cbranch_execz .LBB6_1257
.LBB6_2683:                             ;   in Loop: Header=BB6_130 Depth=2
	v_cmp_ne_u16_sdwa s40, v29, v84 src0_sel:BYTE_3 src1_sel:DWORD
	v_mov_b32_e32 v2, 0
	s_andn2_b32 s13, s13, exec_lo
	s_and_b32 s40, s40, exec_lo
	s_or_b32 s13, s13, s40
	s_or_b32 exec_lo, exec_lo, s29
	s_and_saveexec_b32 s29, s13
	s_cbranch_execnz .LBB6_1258
	s_branch .LBB6_1259
.LBB6_2684:                             ;   in Loop: Header=BB6_130 Depth=2
	s_or_saveexec_b32 s29, s29
	v_mov_b32_e32 v119, 0x7f800001
	s_xor_b32 exec_lo, exec_lo, s29
	s_cbranch_execz .LBB6_1265
.LBB6_2685:                             ;   in Loop: Header=BB6_130 Depth=2
	v_cmp_ne_u16_sdwa s40, v35, v84 src0_sel:BYTE_3 src1_sel:DWORD
	v_mov_b32_e32 v119, 0
	s_andn2_b32 s13, s13, exec_lo
	s_and_b32 s40, s40, exec_lo
	s_or_b32 s13, s13, s40
	s_or_b32 exec_lo, exec_lo, s29
	s_and_saveexec_b32 s29, s13
	s_cbranch_execnz .LBB6_1266
	s_branch .LBB6_1267
.LBB6_2686:                             ;   in Loop: Header=BB6_130 Depth=2
	s_or_saveexec_b32 s29, s29
	v_mov_b32_e32 v2, 0x7f800001
	s_xor_b32 exec_lo, exec_lo, s29
	s_cbranch_execz .LBB6_1271
.LBB6_2687:                             ;   in Loop: Header=BB6_130 Depth=2
	v_cmp_ne_u16_sdwa s40, v29, v84 src0_sel:BYTE_3 src1_sel:DWORD
	v_mov_b32_e32 v2, 0
	s_andn2_b32 s13, s13, exec_lo
	s_and_b32 s40, s40, exec_lo
	s_or_b32 s13, s13, s40
	s_or_b32 exec_lo, exec_lo, s29
	s_and_saveexec_b32 s29, s13
	s_cbranch_execnz .LBB6_1272
	s_branch .LBB6_1273
.LBB6_2688:                             ;   in Loop: Header=BB6_130 Depth=2
	s_or_saveexec_b32 s29, s29
	v_mov_b32_e32 v35, 0x7f800001
	s_xor_b32 exec_lo, exec_lo, s29
	s_cbranch_execz .LBB6_1287
.LBB6_2689:                             ;   in Loop: Header=BB6_130 Depth=2
	v_cmp_ne_u16_sdwa s40, v22, v84 src0_sel:BYTE_0 src1_sel:DWORD
	v_mov_b32_e32 v35, 0
	s_andn2_b32 s13, s13, exec_lo
	s_and_b32 s40, s40, exec_lo
	s_or_b32 s13, s13, s40
	s_or_b32 exec_lo, exec_lo, s29
	s_and_saveexec_b32 s29, s13
	s_cbranch_execnz .LBB6_1288
	s_branch .LBB6_1289
.LBB6_2690:                             ;   in Loop: Header=BB6_130 Depth=2
	s_or_saveexec_b32 s29, s29
	v_mov_b32_e32 v2, 0x7f800001
	s_xor_b32 exec_lo, exec_lo, s29
	s_cbranch_execz .LBB6_1293
.LBB6_2691:                             ;   in Loop: Header=BB6_130 Depth=2
	v_cmp_ne_u16_sdwa s40, v18, v84 src0_sel:BYTE_0 src1_sel:DWORD
	v_mov_b32_e32 v2, 0
	s_andn2_b32 s13, s13, exec_lo
	s_and_b32 s40, s40, exec_lo
	s_or_b32 s13, s13, s40
	s_or_b32 exec_lo, exec_lo, s29
	s_and_saveexec_b32 s29, s13
	s_cbranch_execnz .LBB6_1294
	s_branch .LBB6_1295
.LBB6_2692:                             ;   in Loop: Header=BB6_130 Depth=2
	s_or_saveexec_b32 s29, s29
	v_mov_b32_e32 v35, 0x7f800001
	s_xor_b32 exec_lo, exec_lo, s29
	s_cbranch_execz .LBB6_1301
.LBB6_2693:                             ;   in Loop: Header=BB6_130 Depth=2
	v_cmp_ne_u16_sdwa s40, v22, v84 src0_sel:BYTE_0 src1_sel:DWORD
	v_mov_b32_e32 v35, 0
	s_andn2_b32 s13, s13, exec_lo
	s_and_b32 s40, s40, exec_lo
	s_or_b32 s13, s13, s40
	s_or_b32 exec_lo, exec_lo, s29
	s_and_saveexec_b32 s29, s13
	s_cbranch_execnz .LBB6_1302
	s_branch .LBB6_1303
.LBB6_2694:                             ;   in Loop: Header=BB6_130 Depth=2
	s_or_saveexec_b32 s29, s29
	v_mov_b32_e32 v2, 0x7f800001
	s_xor_b32 exec_lo, exec_lo, s29
	s_cbranch_execz .LBB6_1307
.LBB6_2695:                             ;   in Loop: Header=BB6_130 Depth=2
	v_cmp_ne_u16_sdwa s40, v18, v84 src0_sel:BYTE_0 src1_sel:DWORD
	v_mov_b32_e32 v2, 0
	s_andn2_b32 s13, s13, exec_lo
	s_and_b32 s40, s40, exec_lo
	s_or_b32 s13, s13, s40
	s_or_b32 exec_lo, exec_lo, s29
	s_and_saveexec_b32 s29, s13
	s_cbranch_execnz .LBB6_1308
	s_branch .LBB6_1309
.LBB6_2696:                             ;   in Loop: Header=BB6_130 Depth=2
	s_or_saveexec_b32 s29, s29
	v_mov_b32_e32 v119, 0x7f800001
	s_xor_b32 exec_lo, exec_lo, s29
	s_cbranch_execz .LBB6_1323
.LBB6_2697:                             ;   in Loop: Header=BB6_130 Depth=2
	v_cmp_ne_u16_sdwa s40, v22, v84 src0_sel:BYTE_1 src1_sel:DWORD
	v_mov_b32_e32 v119, 0
	s_andn2_b32 s13, s13, exec_lo
	s_and_b32 s40, s40, exec_lo
	s_or_b32 s13, s13, s40
	s_or_b32 exec_lo, exec_lo, s29
	s_and_saveexec_b32 s29, s13
	s_cbranch_execnz .LBB6_1324
	s_branch .LBB6_1325
.LBB6_2698:                             ;   in Loop: Header=BB6_130 Depth=2
	s_or_saveexec_b32 s29, s29
	v_mov_b32_e32 v2, 0x7f800001
	s_xor_b32 exec_lo, exec_lo, s29
	s_cbranch_execz .LBB6_1329
.LBB6_2699:                             ;   in Loop: Header=BB6_130 Depth=2
	v_cmp_ne_u16_sdwa s40, v18, v84 src0_sel:BYTE_1 src1_sel:DWORD
	v_mov_b32_e32 v2, 0
	s_andn2_b32 s13, s13, exec_lo
	s_and_b32 s40, s40, exec_lo
	s_or_b32 s13, s13, s40
	s_or_b32 exec_lo, exec_lo, s29
	s_and_saveexec_b32 s29, s13
	s_cbranch_execnz .LBB6_1330
	s_branch .LBB6_1331
.LBB6_2700:                             ;   in Loop: Header=BB6_130 Depth=2
	s_or_saveexec_b32 s29, s29
	v_mov_b32_e32 v119, 0x7f800001
	s_xor_b32 exec_lo, exec_lo, s29
	s_cbranch_execz .LBB6_1337
.LBB6_2701:                             ;   in Loop: Header=BB6_130 Depth=2
	v_cmp_ne_u16_sdwa s40, v22, v84 src0_sel:BYTE_1 src1_sel:DWORD
	v_mov_b32_e32 v119, 0
	s_andn2_b32 s13, s13, exec_lo
	s_and_b32 s40, s40, exec_lo
	s_or_b32 s13, s13, s40
	s_or_b32 exec_lo, exec_lo, s29
	s_and_saveexec_b32 s29, s13
	s_cbranch_execnz .LBB6_1338
	s_branch .LBB6_1339
.LBB6_2702:                             ;   in Loop: Header=BB6_130 Depth=2
	s_or_saveexec_b32 s29, s29
	v_mov_b32_e32 v2, 0x7f800001
	s_xor_b32 exec_lo, exec_lo, s29
	s_cbranch_execz .LBB6_1343
.LBB6_2703:                             ;   in Loop: Header=BB6_130 Depth=2
	v_cmp_ne_u16_sdwa s40, v18, v84 src0_sel:BYTE_1 src1_sel:DWORD
	v_mov_b32_e32 v2, 0
	s_andn2_b32 s13, s13, exec_lo
	s_and_b32 s40, s40, exec_lo
	s_or_b32 s13, s13, s40
	s_or_b32 exec_lo, exec_lo, s29
	s_and_saveexec_b32 s29, s13
	s_cbranch_execnz .LBB6_1344
	s_branch .LBB6_1345
.LBB6_2704:                             ;   in Loop: Header=BB6_130 Depth=2
	s_or_saveexec_b32 s13, s13
	v_mov_b32_e32 v40, 0x7f800001
	s_xor_b32 exec_lo, exec_lo, s13
	s_cbranch_execz .LBB6_1359
.LBB6_2705:                             ;   in Loop: Header=BB6_130 Depth=2
	v_cmp_ne_u16_e32 vcc_lo, 0, v119
	v_mov_b32_e32 v40, 0
	s_andn2_b32 s29, s29, exec_lo
	s_and_b32 s40, vcc_lo, exec_lo
	s_or_b32 s29, s29, s40
	s_or_b32 exec_lo, exec_lo, s13
	s_and_saveexec_b32 s13, s29
	s_cbranch_execnz .LBB6_1360
	s_branch .LBB6_1361
.LBB6_2706:                             ;   in Loop: Header=BB6_130 Depth=2
	s_or_saveexec_b32 s29, s29
	v_mov_b32_e32 v2, 0x7f800001
	s_xor_b32 exec_lo, exec_lo, s29
	s_cbranch_execz .LBB6_1365
.LBB6_2707:                             ;   in Loop: Header=BB6_130 Depth=2
	v_cmp_ne_u16_e32 vcc_lo, 0, v3
	v_mov_b32_e32 v2, 0
	s_andn2_b32 s13, s13, exec_lo
	s_and_b32 s40, vcc_lo, exec_lo
	s_or_b32 s13, s13, s40
	s_or_b32 exec_lo, exec_lo, s29
	s_and_saveexec_b32 s29, s13
	s_cbranch_execnz .LBB6_1366
	s_branch .LBB6_1367
.LBB6_2708:                             ;   in Loop: Header=BB6_130 Depth=2
	s_or_saveexec_b32 s29, s29
	v_mov_b32_e32 v40, 0x7f800001
	s_xor_b32 exec_lo, exec_lo, s29
	s_cbranch_execz .LBB6_1373
.LBB6_2709:                             ;   in Loop: Header=BB6_130 Depth=2
	v_cmp_ne_u16_e32 vcc_lo, 0, v119
	v_mov_b32_e32 v40, 0
	s_andn2_b32 s13, s13, exec_lo
	s_and_b32 s40, vcc_lo, exec_lo
	s_or_b32 s13, s13, s40
	s_or_b32 exec_lo, exec_lo, s29
	s_and_saveexec_b32 s29, s13
	s_cbranch_execnz .LBB6_1374
	s_branch .LBB6_1375
.LBB6_2710:                             ;   in Loop: Header=BB6_130 Depth=2
	s_or_saveexec_b32 s29, s29
	v_mov_b32_e32 v2, 0x7f800001
	s_xor_b32 exec_lo, exec_lo, s29
	s_cbranch_execz .LBB6_1379
.LBB6_2711:                             ;   in Loop: Header=BB6_130 Depth=2
	v_cmp_ne_u16_e32 vcc_lo, 0, v3
	v_mov_b32_e32 v2, 0
	s_andn2_b32 s13, s13, exec_lo
	s_and_b32 s40, vcc_lo, exec_lo
	s_or_b32 s13, s13, s40
	s_or_b32 exec_lo, exec_lo, s29
	s_and_saveexec_b32 s29, s13
	s_cbranch_execnz .LBB6_1380
	s_branch .LBB6_1381
.LBB6_2712:                             ;   in Loop: Header=BB6_130 Depth=2
	s_or_saveexec_b32 s29, s29
	v_mov_b32_e32 v119, 0x7f800001
	s_xor_b32 exec_lo, exec_lo, s29
	s_cbranch_execz .LBB6_1395
.LBB6_2713:                             ;   in Loop: Header=BB6_130 Depth=2
	v_cmp_ne_u16_sdwa s40, v22, v84 src0_sel:BYTE_3 src1_sel:DWORD
	v_mov_b32_e32 v119, 0
	s_andn2_b32 s13, s13, exec_lo
	s_and_b32 s40, s40, exec_lo
	s_or_b32 s13, s13, s40
	s_or_b32 exec_lo, exec_lo, s29
	s_and_saveexec_b32 s29, s13
	s_cbranch_execnz .LBB6_1396
	s_branch .LBB6_1397
.LBB6_2714:                             ;   in Loop: Header=BB6_130 Depth=2
	s_or_saveexec_b32 s29, s29
	v_mov_b32_e32 v2, 0x7f800001
	s_xor_b32 exec_lo, exec_lo, s29
	s_cbranch_execz .LBB6_1401
.LBB6_2715:                             ;   in Loop: Header=BB6_130 Depth=2
	v_cmp_ne_u16_sdwa s40, v18, v84 src0_sel:BYTE_3 src1_sel:DWORD
	v_mov_b32_e32 v2, 0
	s_andn2_b32 s13, s13, exec_lo
	s_and_b32 s40, s40, exec_lo
	s_or_b32 s13, s13, s40
	s_or_b32 exec_lo, exec_lo, s29
	s_and_saveexec_b32 s29, s13
	s_cbranch_execnz .LBB6_1402
	s_branch .LBB6_1403
.LBB6_2716:                             ;   in Loop: Header=BB6_130 Depth=2
	s_or_saveexec_b32 s29, s29
	v_mov_b32_e32 v119, 0x7f800001
	s_xor_b32 exec_lo, exec_lo, s29
	s_cbranch_execz .LBB6_1409
.LBB6_2717:                             ;   in Loop: Header=BB6_130 Depth=2
	v_cmp_ne_u16_sdwa s40, v22, v84 src0_sel:BYTE_3 src1_sel:DWORD
	v_mov_b32_e32 v119, 0
	s_andn2_b32 s13, s13, exec_lo
	s_and_b32 s40, s40, exec_lo
	s_or_b32 s13, s13, s40
	s_or_b32 exec_lo, exec_lo, s29
	s_and_saveexec_b32 s29, s13
	s_cbranch_execnz .LBB6_1410
	s_branch .LBB6_1411
.LBB6_2718:                             ;   in Loop: Header=BB6_130 Depth=2
	s_or_saveexec_b32 s29, s29
	v_mov_b32_e32 v2, 0x7f800001
	s_xor_b32 exec_lo, exec_lo, s29
	s_cbranch_execz .LBB6_1415
.LBB6_2719:                             ;   in Loop: Header=BB6_130 Depth=2
	v_cmp_ne_u16_sdwa s40, v18, v84 src0_sel:BYTE_3 src1_sel:DWORD
	v_mov_b32_e32 v2, 0
	s_andn2_b32 s13, s13, exec_lo
	s_and_b32 s40, s40, exec_lo
	s_or_b32 s13, s13, s40
	s_or_b32 exec_lo, exec_lo, s29
	s_and_saveexec_b32 s29, s13
	s_cbranch_execnz .LBB6_1416
	s_branch .LBB6_1417
.LBB6_2720:                             ;   in Loop: Header=BB6_130 Depth=2
	s_or_saveexec_b32 s29, s29
	v_mov_b32_e32 v22, 0x7f800001
	s_xor_b32 exec_lo, exec_lo, s29
	s_cbranch_execz .LBB6_1431
.LBB6_2721:                             ;   in Loop: Header=BB6_130 Depth=2
	v_cmp_ne_u16_sdwa s40, v23, v84 src0_sel:BYTE_0 src1_sel:DWORD
	v_mov_b32_e32 v22, 0
	s_andn2_b32 s13, s13, exec_lo
	s_and_b32 s40, s40, exec_lo
	s_or_b32 s13, s13, s40
	s_or_b32 exec_lo, exec_lo, s29
	s_and_saveexec_b32 s29, s13
	s_cbranch_execnz .LBB6_1432
	s_branch .LBB6_1433
.LBB6_2722:                             ;   in Loop: Header=BB6_130 Depth=2
	s_or_saveexec_b32 s29, s29
	v_mov_b32_e32 v2, 0x7f800001
	s_xor_b32 exec_lo, exec_lo, s29
	s_cbranch_execz .LBB6_1437
.LBB6_2723:                             ;   in Loop: Header=BB6_130 Depth=2
	v_cmp_ne_u16_sdwa s40, v19, v84 src0_sel:BYTE_0 src1_sel:DWORD
	v_mov_b32_e32 v2, 0
	s_andn2_b32 s13, s13, exec_lo
	s_and_b32 s40, s40, exec_lo
	s_or_b32 s13, s13, s40
	s_or_b32 exec_lo, exec_lo, s29
	s_and_saveexec_b32 s29, s13
	s_cbranch_execnz .LBB6_1438
	s_branch .LBB6_1439
.LBB6_2724:                             ;   in Loop: Header=BB6_130 Depth=2
	s_or_saveexec_b32 s29, s29
	v_mov_b32_e32 v22, 0x7f800001
	s_xor_b32 exec_lo, exec_lo, s29
	s_cbranch_execz .LBB6_1445
.LBB6_2725:                             ;   in Loop: Header=BB6_130 Depth=2
	v_cmp_ne_u16_sdwa s40, v23, v84 src0_sel:BYTE_0 src1_sel:DWORD
	v_mov_b32_e32 v22, 0
	s_andn2_b32 s13, s13, exec_lo
	s_and_b32 s40, s40, exec_lo
	s_or_b32 s13, s13, s40
	s_or_b32 exec_lo, exec_lo, s29
	s_and_saveexec_b32 s29, s13
	s_cbranch_execnz .LBB6_1446
	s_branch .LBB6_1447
.LBB6_2726:                             ;   in Loop: Header=BB6_130 Depth=2
	s_or_saveexec_b32 s29, s29
	v_mov_b32_e32 v2, 0x7f800001
	s_xor_b32 exec_lo, exec_lo, s29
	s_cbranch_execz .LBB6_1451
.LBB6_2727:                             ;   in Loop: Header=BB6_130 Depth=2
	v_cmp_ne_u16_sdwa s40, v19, v84 src0_sel:BYTE_0 src1_sel:DWORD
	v_mov_b32_e32 v2, 0
	s_andn2_b32 s13, s13, exec_lo
	s_and_b32 s40, s40, exec_lo
	s_or_b32 s13, s13, s40
	s_or_b32 exec_lo, exec_lo, s29
	s_and_saveexec_b32 s29, s13
	s_cbranch_execnz .LBB6_1452
	s_branch .LBB6_1453
.LBB6_2728:                             ;   in Loop: Header=BB6_130 Depth=2
	s_or_saveexec_b32 s29, s29
	v_mov_b32_e32 v119, 0x7f800001
	s_xor_b32 exec_lo, exec_lo, s29
	s_cbranch_execz .LBB6_1467
.LBB6_2729:                             ;   in Loop: Header=BB6_130 Depth=2
	v_cmp_ne_u16_sdwa s40, v23, v84 src0_sel:BYTE_1 src1_sel:DWORD
	v_mov_b32_e32 v119, 0
	s_andn2_b32 s13, s13, exec_lo
	s_and_b32 s40, s40, exec_lo
	s_or_b32 s13, s13, s40
	s_or_b32 exec_lo, exec_lo, s29
	s_and_saveexec_b32 s29, s13
	s_cbranch_execnz .LBB6_1468
	s_branch .LBB6_1469
.LBB6_2730:                             ;   in Loop: Header=BB6_130 Depth=2
	s_or_saveexec_b32 s29, s29
	v_mov_b32_e32 v2, 0x7f800001
	s_xor_b32 exec_lo, exec_lo, s29
	s_cbranch_execz .LBB6_1473
.LBB6_2731:                             ;   in Loop: Header=BB6_130 Depth=2
	v_cmp_ne_u16_sdwa s40, v19, v84 src0_sel:BYTE_1 src1_sel:DWORD
	v_mov_b32_e32 v2, 0
	s_andn2_b32 s13, s13, exec_lo
	s_and_b32 s40, s40, exec_lo
	s_or_b32 s13, s13, s40
	s_or_b32 exec_lo, exec_lo, s29
	s_and_saveexec_b32 s29, s13
	s_cbranch_execnz .LBB6_1474
	s_branch .LBB6_1475
.LBB6_2732:                             ;   in Loop: Header=BB6_130 Depth=2
	s_or_saveexec_b32 s29, s29
	v_mov_b32_e32 v119, 0x7f800001
	s_xor_b32 exec_lo, exec_lo, s29
	s_cbranch_execz .LBB6_1481
.LBB6_2733:                             ;   in Loop: Header=BB6_130 Depth=2
	v_cmp_ne_u16_sdwa s40, v23, v84 src0_sel:BYTE_1 src1_sel:DWORD
	v_mov_b32_e32 v119, 0
	s_andn2_b32 s13, s13, exec_lo
	s_and_b32 s40, s40, exec_lo
	s_or_b32 s13, s13, s40
	s_or_b32 exec_lo, exec_lo, s29
	s_and_saveexec_b32 s29, s13
	s_cbranch_execnz .LBB6_1482
	s_branch .LBB6_1483
.LBB6_2734:                             ;   in Loop: Header=BB6_130 Depth=2
	s_or_saveexec_b32 s29, s29
	v_mov_b32_e32 v2, 0x7f800001
	s_xor_b32 exec_lo, exec_lo, s29
	s_cbranch_execz .LBB6_1487
.LBB6_2735:                             ;   in Loop: Header=BB6_130 Depth=2
	v_cmp_ne_u16_sdwa s40, v19, v84 src0_sel:BYTE_1 src1_sel:DWORD
	v_mov_b32_e32 v2, 0
	s_andn2_b32 s13, s13, exec_lo
	s_and_b32 s40, s40, exec_lo
	s_or_b32 s13, s13, s40
	s_or_b32 exec_lo, exec_lo, s29
	s_and_saveexec_b32 s29, s13
	s_cbranch_execnz .LBB6_1488
	s_branch .LBB6_1489
.LBB6_2736:                             ;   in Loop: Header=BB6_130 Depth=2
	s_or_saveexec_b32 s13, s13
	v_mov_b32_e32 v40, 0x7f800001
	s_xor_b32 exec_lo, exec_lo, s13
	s_cbranch_execz .LBB6_1503
.LBB6_2737:                             ;   in Loop: Header=BB6_130 Depth=2
	v_cmp_ne_u16_e32 vcc_lo, 0, v119
	v_mov_b32_e32 v40, 0
	s_andn2_b32 s29, s29, exec_lo
	s_and_b32 s40, vcc_lo, exec_lo
	s_or_b32 s29, s29, s40
	s_or_b32 exec_lo, exec_lo, s13
	s_and_saveexec_b32 s13, s29
	s_cbranch_execnz .LBB6_1504
	s_branch .LBB6_1505
.LBB6_2738:                             ;   in Loop: Header=BB6_130 Depth=2
	s_or_saveexec_b32 s29, s29
	v_mov_b32_e32 v2, 0x7f800001
	s_xor_b32 exec_lo, exec_lo, s29
	s_cbranch_execz .LBB6_1509
.LBB6_2739:                             ;   in Loop: Header=BB6_130 Depth=2
	v_cmp_ne_u16_e32 vcc_lo, 0, v3
	v_mov_b32_e32 v2, 0
	s_andn2_b32 s13, s13, exec_lo
	s_and_b32 s40, vcc_lo, exec_lo
	s_or_b32 s13, s13, s40
	s_or_b32 exec_lo, exec_lo, s29
	s_and_saveexec_b32 s29, s13
	s_cbranch_execnz .LBB6_1510
	s_branch .LBB6_1511
.LBB6_2740:                             ;   in Loop: Header=BB6_130 Depth=2
	s_or_saveexec_b32 s29, s29
	v_mov_b32_e32 v40, 0x7f800001
	s_xor_b32 exec_lo, exec_lo, s29
	s_cbranch_execz .LBB6_1517
.LBB6_2741:                             ;   in Loop: Header=BB6_130 Depth=2
	v_cmp_ne_u16_e32 vcc_lo, 0, v119
	v_mov_b32_e32 v40, 0
	s_andn2_b32 s13, s13, exec_lo
	s_and_b32 s40, vcc_lo, exec_lo
	s_or_b32 s13, s13, s40
	s_or_b32 exec_lo, exec_lo, s29
	s_and_saveexec_b32 s29, s13
	s_cbranch_execnz .LBB6_1518
	s_branch .LBB6_1519
.LBB6_2742:                             ;   in Loop: Header=BB6_130 Depth=2
	s_or_saveexec_b32 s29, s29
	v_mov_b32_e32 v2, 0x7f800001
	s_xor_b32 exec_lo, exec_lo, s29
	s_cbranch_execz .LBB6_1523
.LBB6_2743:                             ;   in Loop: Header=BB6_130 Depth=2
	v_cmp_ne_u16_e32 vcc_lo, 0, v3
	v_mov_b32_e32 v2, 0
	s_andn2_b32 s13, s13, exec_lo
	s_and_b32 s40, vcc_lo, exec_lo
	s_or_b32 s13, s13, s40
	s_or_b32 exec_lo, exec_lo, s29
	s_and_saveexec_b32 s29, s13
	s_cbranch_execnz .LBB6_1524
	s_branch .LBB6_1525
.LBB6_2744:                             ;   in Loop: Header=BB6_130 Depth=2
	s_or_saveexec_b32 s29, s29
	v_mov_b32_e32 v119, 0x7f800001
	s_xor_b32 exec_lo, exec_lo, s29
	s_cbranch_execz .LBB6_1539
.LBB6_2745:                             ;   in Loop: Header=BB6_130 Depth=2
	v_cmp_ne_u16_sdwa s40, v23, v84 src0_sel:BYTE_3 src1_sel:DWORD
	v_mov_b32_e32 v119, 0
	s_andn2_b32 s13, s13, exec_lo
	s_and_b32 s40, s40, exec_lo
	s_or_b32 s13, s13, s40
	s_or_b32 exec_lo, exec_lo, s29
	s_and_saveexec_b32 s29, s13
	s_cbranch_execnz .LBB6_1540
	s_branch .LBB6_1541
.LBB6_2746:                             ;   in Loop: Header=BB6_130 Depth=2
	s_or_saveexec_b32 s29, s29
	v_mov_b32_e32 v2, 0x7f800001
	s_xor_b32 exec_lo, exec_lo, s29
	s_cbranch_execz .LBB6_1545
.LBB6_2747:                             ;   in Loop: Header=BB6_130 Depth=2
	v_cmp_ne_u16_sdwa s40, v19, v84 src0_sel:BYTE_3 src1_sel:DWORD
	v_mov_b32_e32 v2, 0
	s_andn2_b32 s13, s13, exec_lo
	s_and_b32 s40, s40, exec_lo
	s_or_b32 s13, s13, s40
	s_or_b32 exec_lo, exec_lo, s29
	s_and_saveexec_b32 s29, s13
	s_cbranch_execnz .LBB6_1546
	s_branch .LBB6_1547
.LBB6_2748:                             ;   in Loop: Header=BB6_130 Depth=2
	s_or_saveexec_b32 s29, s29
	v_mov_b32_e32 v119, 0x7f800001
	s_xor_b32 exec_lo, exec_lo, s29
	s_cbranch_execz .LBB6_1553
.LBB6_2749:                             ;   in Loop: Header=BB6_130 Depth=2
	v_cmp_ne_u16_sdwa s40, v23, v84 src0_sel:BYTE_3 src1_sel:DWORD
	v_mov_b32_e32 v119, 0
	s_andn2_b32 s13, s13, exec_lo
	s_and_b32 s40, s40, exec_lo
	s_or_b32 s13, s13, s40
	s_or_b32 exec_lo, exec_lo, s29
	s_and_saveexec_b32 s29, s13
	s_cbranch_execnz .LBB6_1554
	s_branch .LBB6_1555
.LBB6_2750:                             ;   in Loop: Header=BB6_130 Depth=2
	s_or_saveexec_b32 s29, s29
	v_mov_b32_e32 v2, 0x7f800001
	s_xor_b32 exec_lo, exec_lo, s29
	s_cbranch_execz .LBB6_1559
.LBB6_2751:                             ;   in Loop: Header=BB6_130 Depth=2
	v_cmp_ne_u16_sdwa s40, v19, v84 src0_sel:BYTE_3 src1_sel:DWORD
	v_mov_b32_e32 v2, 0
	s_andn2_b32 s13, s13, exec_lo
	s_and_b32 s40, s40, exec_lo
	s_or_b32 s13, s13, s40
	s_or_b32 exec_lo, exec_lo, s29
	s_and_saveexec_b32 s29, s13
	s_cbranch_execnz .LBB6_1560
	s_branch .LBB6_1561
.LBB6_2752:                             ;   in Loop: Header=BB6_130 Depth=2
	s_or_saveexec_b32 s29, s29
	v_mov_b32_e32 v23, 0x7f800001
	s_xor_b32 exec_lo, exec_lo, s29
	s_cbranch_execz .LBB6_1575
.LBB6_2753:                             ;   in Loop: Header=BB6_130 Depth=2
	v_cmp_ne_u16_sdwa s40, v24, v84 src0_sel:BYTE_0 src1_sel:DWORD
	v_mov_b32_e32 v23, 0
	s_andn2_b32 s13, s13, exec_lo
	s_and_b32 s40, s40, exec_lo
	s_or_b32 s13, s13, s40
	s_or_b32 exec_lo, exec_lo, s29
	s_and_saveexec_b32 s29, s13
	s_cbranch_execnz .LBB6_1576
	s_branch .LBB6_1577
.LBB6_2754:                             ;   in Loop: Header=BB6_130 Depth=2
	s_or_saveexec_b32 s29, s29
	v_mov_b32_e32 v2, 0x7f800001
	s_xor_b32 exec_lo, exec_lo, s29
	s_cbranch_execz .LBB6_1581
.LBB6_2755:                             ;   in Loop: Header=BB6_130 Depth=2
	v_cmp_ne_u16_sdwa s40, v20, v84 src0_sel:BYTE_0 src1_sel:DWORD
	v_mov_b32_e32 v2, 0
	s_andn2_b32 s13, s13, exec_lo
	s_and_b32 s40, s40, exec_lo
	s_or_b32 s13, s13, s40
	s_or_b32 exec_lo, exec_lo, s29
	s_and_saveexec_b32 s29, s13
	s_cbranch_execnz .LBB6_1582
	s_branch .LBB6_1583
.LBB6_2756:                             ;   in Loop: Header=BB6_130 Depth=2
	s_or_saveexec_b32 s29, s29
	v_mov_b32_e32 v23, 0x7f800001
	s_xor_b32 exec_lo, exec_lo, s29
	s_cbranch_execz .LBB6_1589
.LBB6_2757:                             ;   in Loop: Header=BB6_130 Depth=2
	v_cmp_ne_u16_sdwa s40, v24, v84 src0_sel:BYTE_0 src1_sel:DWORD
	v_mov_b32_e32 v23, 0
	s_andn2_b32 s13, s13, exec_lo
	s_and_b32 s40, s40, exec_lo
	s_or_b32 s13, s13, s40
	s_or_b32 exec_lo, exec_lo, s29
	s_and_saveexec_b32 s29, s13
	s_cbranch_execnz .LBB6_1590
	s_branch .LBB6_1591
.LBB6_2758:                             ;   in Loop: Header=BB6_130 Depth=2
	s_or_saveexec_b32 s29, s29
	v_mov_b32_e32 v2, 0x7f800001
	s_xor_b32 exec_lo, exec_lo, s29
	s_cbranch_execz .LBB6_1595
.LBB6_2759:                             ;   in Loop: Header=BB6_130 Depth=2
	v_cmp_ne_u16_sdwa s40, v20, v84 src0_sel:BYTE_0 src1_sel:DWORD
	v_mov_b32_e32 v2, 0
	s_andn2_b32 s13, s13, exec_lo
	s_and_b32 s40, s40, exec_lo
	s_or_b32 s13, s13, s40
	s_or_b32 exec_lo, exec_lo, s29
	s_and_saveexec_b32 s29, s13
	s_cbranch_execnz .LBB6_1596
	s_branch .LBB6_1597
.LBB6_2760:                             ;   in Loop: Header=BB6_130 Depth=2
	s_or_saveexec_b32 s29, s29
	v_mov_b32_e32 v119, 0x7f800001
	s_xor_b32 exec_lo, exec_lo, s29
	s_cbranch_execz .LBB6_1611
.LBB6_2761:                             ;   in Loop: Header=BB6_130 Depth=2
	v_cmp_ne_u16_sdwa s40, v24, v84 src0_sel:BYTE_1 src1_sel:DWORD
	v_mov_b32_e32 v119, 0
	s_andn2_b32 s13, s13, exec_lo
	s_and_b32 s40, s40, exec_lo
	s_or_b32 s13, s13, s40
	s_or_b32 exec_lo, exec_lo, s29
	s_and_saveexec_b32 s29, s13
	s_cbranch_execnz .LBB6_1612
	s_branch .LBB6_1613
.LBB6_2762:                             ;   in Loop: Header=BB6_130 Depth=2
	s_or_saveexec_b32 s29, s29
	v_mov_b32_e32 v2, 0x7f800001
	s_xor_b32 exec_lo, exec_lo, s29
	s_cbranch_execz .LBB6_1617
.LBB6_2763:                             ;   in Loop: Header=BB6_130 Depth=2
	v_cmp_ne_u16_sdwa s40, v20, v84 src0_sel:BYTE_1 src1_sel:DWORD
	v_mov_b32_e32 v2, 0
	s_andn2_b32 s13, s13, exec_lo
	s_and_b32 s40, s40, exec_lo
	s_or_b32 s13, s13, s40
	s_or_b32 exec_lo, exec_lo, s29
	s_and_saveexec_b32 s29, s13
	s_cbranch_execnz .LBB6_1618
	s_branch .LBB6_1619
.LBB6_2764:                             ;   in Loop: Header=BB6_130 Depth=2
	s_or_saveexec_b32 s29, s29
	v_mov_b32_e32 v119, 0x7f800001
	s_xor_b32 exec_lo, exec_lo, s29
	s_cbranch_execz .LBB6_1625
.LBB6_2765:                             ;   in Loop: Header=BB6_130 Depth=2
	v_cmp_ne_u16_sdwa s40, v24, v84 src0_sel:BYTE_1 src1_sel:DWORD
	v_mov_b32_e32 v119, 0
	s_andn2_b32 s13, s13, exec_lo
	s_and_b32 s40, s40, exec_lo
	s_or_b32 s13, s13, s40
	s_or_b32 exec_lo, exec_lo, s29
	s_and_saveexec_b32 s29, s13
	s_cbranch_execnz .LBB6_1626
	s_branch .LBB6_1627
.LBB6_2766:                             ;   in Loop: Header=BB6_130 Depth=2
	s_or_saveexec_b32 s29, s29
	v_mov_b32_e32 v2, 0x7f800001
	s_xor_b32 exec_lo, exec_lo, s29
	s_cbranch_execz .LBB6_1631
.LBB6_2767:                             ;   in Loop: Header=BB6_130 Depth=2
	v_cmp_ne_u16_sdwa s40, v20, v84 src0_sel:BYTE_1 src1_sel:DWORD
	v_mov_b32_e32 v2, 0
	s_andn2_b32 s13, s13, exec_lo
	s_and_b32 s40, s40, exec_lo
	s_or_b32 s13, s13, s40
	s_or_b32 exec_lo, exec_lo, s29
	s_and_saveexec_b32 s29, s13
	s_cbranch_execnz .LBB6_1632
	s_branch .LBB6_1633
.LBB6_2768:                             ;   in Loop: Header=BB6_130 Depth=2
	s_or_saveexec_b32 s13, s13
	v_mov_b32_e32 v40, 0x7f800001
	s_xor_b32 exec_lo, exec_lo, s13
	s_cbranch_execz .LBB6_1647
.LBB6_2769:                             ;   in Loop: Header=BB6_130 Depth=2
	v_cmp_ne_u16_e32 vcc_lo, 0, v119
	v_mov_b32_e32 v40, 0
	s_andn2_b32 s29, s29, exec_lo
	s_and_b32 s40, vcc_lo, exec_lo
	s_or_b32 s29, s29, s40
	s_or_b32 exec_lo, exec_lo, s13
	s_and_saveexec_b32 s13, s29
	s_cbranch_execnz .LBB6_1648
	s_branch .LBB6_1649
.LBB6_2770:                             ;   in Loop: Header=BB6_130 Depth=2
	s_or_saveexec_b32 s29, s29
	v_mov_b32_e32 v2, 0x7f800001
	s_xor_b32 exec_lo, exec_lo, s29
	s_cbranch_execz .LBB6_1653
.LBB6_2771:                             ;   in Loop: Header=BB6_130 Depth=2
	v_cmp_ne_u16_e32 vcc_lo, 0, v3
	v_mov_b32_e32 v2, 0
	s_andn2_b32 s13, s13, exec_lo
	s_and_b32 s40, vcc_lo, exec_lo
	s_or_b32 s13, s13, s40
	s_or_b32 exec_lo, exec_lo, s29
	s_and_saveexec_b32 s29, s13
	s_cbranch_execnz .LBB6_1654
	s_branch .LBB6_1655
.LBB6_2772:                             ;   in Loop: Header=BB6_130 Depth=2
	s_or_saveexec_b32 s29, s29
	v_mov_b32_e32 v40, 0x7f800001
	s_xor_b32 exec_lo, exec_lo, s29
	s_cbranch_execz .LBB6_1661
.LBB6_2773:                             ;   in Loop: Header=BB6_130 Depth=2
	v_cmp_ne_u16_e32 vcc_lo, 0, v119
	v_mov_b32_e32 v40, 0
	s_andn2_b32 s13, s13, exec_lo
	s_and_b32 s40, vcc_lo, exec_lo
	s_or_b32 s13, s13, s40
	s_or_b32 exec_lo, exec_lo, s29
	s_and_saveexec_b32 s29, s13
	s_cbranch_execnz .LBB6_1662
	s_branch .LBB6_1663
.LBB6_2774:                             ;   in Loop: Header=BB6_130 Depth=2
	s_or_saveexec_b32 s29, s29
	v_mov_b32_e32 v2, 0x7f800001
	s_xor_b32 exec_lo, exec_lo, s29
	s_cbranch_execz .LBB6_1667
.LBB6_2775:                             ;   in Loop: Header=BB6_130 Depth=2
	v_cmp_ne_u16_e32 vcc_lo, 0, v3
	v_mov_b32_e32 v2, 0
	s_andn2_b32 s13, s13, exec_lo
	s_and_b32 s40, vcc_lo, exec_lo
	s_or_b32 s13, s13, s40
	s_or_b32 exec_lo, exec_lo, s29
	s_and_saveexec_b32 s29, s13
	s_cbranch_execnz .LBB6_1668
	s_branch .LBB6_1669
.LBB6_2776:                             ;   in Loop: Header=BB6_130 Depth=2
	s_or_saveexec_b32 s29, s29
	v_mov_b32_e32 v119, 0x7f800001
	s_xor_b32 exec_lo, exec_lo, s29
	s_cbranch_execz .LBB6_1683
.LBB6_2777:                             ;   in Loop: Header=BB6_130 Depth=2
	v_cmp_ne_u16_sdwa s40, v24, v84 src0_sel:BYTE_3 src1_sel:DWORD
	v_mov_b32_e32 v119, 0
	s_andn2_b32 s13, s13, exec_lo
	s_and_b32 s40, s40, exec_lo
	s_or_b32 s13, s13, s40
	s_or_b32 exec_lo, exec_lo, s29
	s_and_saveexec_b32 s29, s13
	s_cbranch_execnz .LBB6_1684
	s_branch .LBB6_1685
.LBB6_2778:                             ;   in Loop: Header=BB6_130 Depth=2
	s_or_saveexec_b32 s29, s29
	v_mov_b32_e32 v2, 0x7f800001
	s_xor_b32 exec_lo, exec_lo, s29
	s_cbranch_execz .LBB6_1689
.LBB6_2779:                             ;   in Loop: Header=BB6_130 Depth=2
	v_cmp_ne_u16_sdwa s40, v20, v84 src0_sel:BYTE_3 src1_sel:DWORD
	v_mov_b32_e32 v2, 0
	s_andn2_b32 s13, s13, exec_lo
	s_and_b32 s40, s40, exec_lo
	s_or_b32 s13, s13, s40
	s_or_b32 exec_lo, exec_lo, s29
	s_and_saveexec_b32 s29, s13
	s_cbranch_execnz .LBB6_1690
	s_branch .LBB6_1691
.LBB6_2780:                             ;   in Loop: Header=BB6_130 Depth=2
	s_or_saveexec_b32 s29, s29
	v_mov_b32_e32 v119, 0x7f800001
	s_xor_b32 exec_lo, exec_lo, s29
	s_cbranch_execz .LBB6_1697
.LBB6_2781:                             ;   in Loop: Header=BB6_130 Depth=2
	v_cmp_ne_u16_sdwa s40, v24, v84 src0_sel:BYTE_3 src1_sel:DWORD
	v_mov_b32_e32 v119, 0
	s_andn2_b32 s13, s13, exec_lo
	s_and_b32 s40, s40, exec_lo
	s_or_b32 s13, s13, s40
	s_or_b32 exec_lo, exec_lo, s29
	s_and_saveexec_b32 s29, s13
	s_cbranch_execnz .LBB6_1698
	s_branch .LBB6_1699
.LBB6_2782:                             ;   in Loop: Header=BB6_130 Depth=2
	s_or_saveexec_b32 s29, s29
	v_mov_b32_e32 v2, 0x7f800001
	s_xor_b32 exec_lo, exec_lo, s29
	s_cbranch_execz .LBB6_1703
.LBB6_2783:                             ;   in Loop: Header=BB6_130 Depth=2
	v_cmp_ne_u16_sdwa s40, v20, v84 src0_sel:BYTE_3 src1_sel:DWORD
	v_mov_b32_e32 v2, 0
	s_andn2_b32 s13, s13, exec_lo
	s_and_b32 s40, s40, exec_lo
	s_or_b32 s13, s13, s40
	s_or_b32 exec_lo, exec_lo, s29
	s_and_saveexec_b32 s29, s13
	s_cbranch_execnz .LBB6_1704
	s_branch .LBB6_1705
.LBB6_2784:                             ;   in Loop: Header=BB6_130 Depth=2
	s_or_saveexec_b32 s29, s29
	v_mov_b32_e32 v24, 0x7f800001
	s_xor_b32 exec_lo, exec_lo, s29
	s_cbranch_execz .LBB6_1719
.LBB6_2785:                             ;   in Loop: Header=BB6_130 Depth=2
	v_cmp_ne_u16_sdwa s40, v25, v84 src0_sel:BYTE_0 src1_sel:DWORD
	v_mov_b32_e32 v24, 0
	s_andn2_b32 s13, s13, exec_lo
	s_and_b32 s40, s40, exec_lo
	s_or_b32 s13, s13, s40
	s_or_b32 exec_lo, exec_lo, s29
	s_and_saveexec_b32 s29, s13
	s_cbranch_execnz .LBB6_1720
	s_branch .LBB6_1721
.LBB6_2786:                             ;   in Loop: Header=BB6_130 Depth=2
	s_or_saveexec_b32 s29, s29
	v_mov_b32_e32 v2, 0x7f800001
	s_xor_b32 exec_lo, exec_lo, s29
	s_cbranch_execz .LBB6_1725
.LBB6_2787:                             ;   in Loop: Header=BB6_130 Depth=2
	v_cmp_ne_u16_sdwa s40, v21, v84 src0_sel:BYTE_0 src1_sel:DWORD
	v_mov_b32_e32 v2, 0
	s_andn2_b32 s13, s13, exec_lo
	s_and_b32 s40, s40, exec_lo
	s_or_b32 s13, s13, s40
	s_or_b32 exec_lo, exec_lo, s29
	s_and_saveexec_b32 s29, s13
	s_cbranch_execnz .LBB6_1726
	s_branch .LBB6_1727
.LBB6_2788:                             ;   in Loop: Header=BB6_130 Depth=2
	s_or_saveexec_b32 s29, s29
	v_mov_b32_e32 v24, 0x7f800001
	s_xor_b32 exec_lo, exec_lo, s29
	s_cbranch_execz .LBB6_1733
.LBB6_2789:                             ;   in Loop: Header=BB6_130 Depth=2
	v_cmp_ne_u16_sdwa s40, v25, v84 src0_sel:BYTE_0 src1_sel:DWORD
	v_mov_b32_e32 v24, 0
	s_andn2_b32 s13, s13, exec_lo
	s_and_b32 s40, s40, exec_lo
	s_or_b32 s13, s13, s40
	s_or_b32 exec_lo, exec_lo, s29
	s_and_saveexec_b32 s29, s13
	s_cbranch_execnz .LBB6_1734
	s_branch .LBB6_1735
.LBB6_2790:                             ;   in Loop: Header=BB6_130 Depth=2
	s_or_saveexec_b32 s29, s29
	v_mov_b32_e32 v2, 0x7f800001
	s_xor_b32 exec_lo, exec_lo, s29
	s_cbranch_execz .LBB6_1739
.LBB6_2791:                             ;   in Loop: Header=BB6_130 Depth=2
	v_cmp_ne_u16_sdwa s40, v21, v84 src0_sel:BYTE_0 src1_sel:DWORD
	v_mov_b32_e32 v2, 0
	s_andn2_b32 s13, s13, exec_lo
	s_and_b32 s40, s40, exec_lo
	s_or_b32 s13, s13, s40
	s_or_b32 exec_lo, exec_lo, s29
	s_and_saveexec_b32 s29, s13
	s_cbranch_execnz .LBB6_1740
	s_branch .LBB6_1741
.LBB6_2792:                             ;   in Loop: Header=BB6_130 Depth=2
	s_or_saveexec_b32 s29, s29
	v_mov_b32_e32 v119, 0x7f800001
	s_xor_b32 exec_lo, exec_lo, s29
	s_cbranch_execz .LBB6_1755
.LBB6_2793:                             ;   in Loop: Header=BB6_130 Depth=2
	v_cmp_ne_u16_sdwa s40, v25, v84 src0_sel:BYTE_1 src1_sel:DWORD
	v_mov_b32_e32 v119, 0
	s_andn2_b32 s13, s13, exec_lo
	s_and_b32 s40, s40, exec_lo
	s_or_b32 s13, s13, s40
	s_or_b32 exec_lo, exec_lo, s29
	s_and_saveexec_b32 s29, s13
	s_cbranch_execnz .LBB6_1756
	s_branch .LBB6_1757
.LBB6_2794:                             ;   in Loop: Header=BB6_130 Depth=2
	s_or_saveexec_b32 s29, s29
	v_mov_b32_e32 v2, 0x7f800001
	s_xor_b32 exec_lo, exec_lo, s29
	s_cbranch_execz .LBB6_1761
.LBB6_2795:                             ;   in Loop: Header=BB6_130 Depth=2
	v_cmp_ne_u16_sdwa s40, v21, v84 src0_sel:BYTE_1 src1_sel:DWORD
	v_mov_b32_e32 v2, 0
	s_andn2_b32 s13, s13, exec_lo
	s_and_b32 s40, s40, exec_lo
	s_or_b32 s13, s13, s40
	s_or_b32 exec_lo, exec_lo, s29
	s_and_saveexec_b32 s29, s13
	s_cbranch_execnz .LBB6_1762
	s_branch .LBB6_1763
.LBB6_2796:                             ;   in Loop: Header=BB6_130 Depth=2
	s_or_saveexec_b32 s29, s29
	v_mov_b32_e32 v119, 0x7f800001
	s_xor_b32 exec_lo, exec_lo, s29
	s_cbranch_execz .LBB6_1769
.LBB6_2797:                             ;   in Loop: Header=BB6_130 Depth=2
	v_cmp_ne_u16_sdwa s40, v25, v84 src0_sel:BYTE_1 src1_sel:DWORD
	v_mov_b32_e32 v119, 0
	s_andn2_b32 s13, s13, exec_lo
	s_and_b32 s40, s40, exec_lo
	s_or_b32 s13, s13, s40
	s_or_b32 exec_lo, exec_lo, s29
	s_and_saveexec_b32 s29, s13
	s_cbranch_execnz .LBB6_1770
	s_branch .LBB6_1771
.LBB6_2798:                             ;   in Loop: Header=BB6_130 Depth=2
	s_or_saveexec_b32 s29, s29
	v_mov_b32_e32 v2, 0x7f800001
	s_xor_b32 exec_lo, exec_lo, s29
	s_cbranch_execz .LBB6_1775
.LBB6_2799:                             ;   in Loop: Header=BB6_130 Depth=2
	v_cmp_ne_u16_sdwa s40, v21, v84 src0_sel:BYTE_1 src1_sel:DWORD
	v_mov_b32_e32 v2, 0
	s_andn2_b32 s13, s13, exec_lo
	s_and_b32 s40, s40, exec_lo
	s_or_b32 s13, s13, s40
	s_or_b32 exec_lo, exec_lo, s29
	s_and_saveexec_b32 s29, s13
	s_cbranch_execnz .LBB6_1776
	s_branch .LBB6_1777
.LBB6_2800:                             ;   in Loop: Header=BB6_130 Depth=2
	s_or_saveexec_b32 s13, s13
	v_mov_b32_e32 v40, 0x7f800001
	s_xor_b32 exec_lo, exec_lo, s13
	s_cbranch_execz .LBB6_1791
.LBB6_2801:                             ;   in Loop: Header=BB6_130 Depth=2
	v_cmp_ne_u16_e32 vcc_lo, 0, v119
	v_mov_b32_e32 v40, 0
	s_andn2_b32 s29, s29, exec_lo
	s_and_b32 s40, vcc_lo, exec_lo
	s_or_b32 s29, s29, s40
	s_or_b32 exec_lo, exec_lo, s13
	s_and_saveexec_b32 s13, s29
	s_cbranch_execnz .LBB6_1792
	s_branch .LBB6_1793
.LBB6_2802:                             ;   in Loop: Header=BB6_130 Depth=2
	s_or_saveexec_b32 s29, s29
	v_mov_b32_e32 v2, 0x7f800001
	s_xor_b32 exec_lo, exec_lo, s29
	s_cbranch_execz .LBB6_1797
.LBB6_2803:                             ;   in Loop: Header=BB6_130 Depth=2
	v_cmp_ne_u16_e32 vcc_lo, 0, v3
	v_mov_b32_e32 v2, 0
	s_andn2_b32 s13, s13, exec_lo
	s_and_b32 s40, vcc_lo, exec_lo
	s_or_b32 s13, s13, s40
	s_or_b32 exec_lo, exec_lo, s29
	s_and_saveexec_b32 s29, s13
	s_cbranch_execnz .LBB6_1798
	s_branch .LBB6_1799
.LBB6_2804:                             ;   in Loop: Header=BB6_130 Depth=2
	s_or_saveexec_b32 s29, s29
	v_mov_b32_e32 v40, 0x7f800001
	s_xor_b32 exec_lo, exec_lo, s29
	s_cbranch_execz .LBB6_1805
.LBB6_2805:                             ;   in Loop: Header=BB6_130 Depth=2
	v_cmp_ne_u16_e32 vcc_lo, 0, v119
	v_mov_b32_e32 v40, 0
	s_andn2_b32 s13, s13, exec_lo
	s_and_b32 s40, vcc_lo, exec_lo
	s_or_b32 s13, s13, s40
	s_or_b32 exec_lo, exec_lo, s29
	s_and_saveexec_b32 s29, s13
	s_cbranch_execnz .LBB6_1806
	s_branch .LBB6_1807
.LBB6_2806:                             ;   in Loop: Header=BB6_130 Depth=2
	s_or_saveexec_b32 s29, s29
	v_mov_b32_e32 v2, 0x7f800001
	s_xor_b32 exec_lo, exec_lo, s29
	s_cbranch_execz .LBB6_1811
.LBB6_2807:                             ;   in Loop: Header=BB6_130 Depth=2
	v_cmp_ne_u16_e32 vcc_lo, 0, v3
	v_mov_b32_e32 v2, 0
	s_andn2_b32 s13, s13, exec_lo
	s_and_b32 s40, vcc_lo, exec_lo
	s_or_b32 s13, s13, s40
	s_or_b32 exec_lo, exec_lo, s29
	s_and_saveexec_b32 s29, s13
	s_cbranch_execnz .LBB6_1812
	s_branch .LBB6_1813
.LBB6_2808:                             ;   in Loop: Header=BB6_130 Depth=2
	s_or_saveexec_b32 s29, s29
	v_mov_b32_e32 v119, 0x7f800001
	s_xor_b32 exec_lo, exec_lo, s29
	s_cbranch_execz .LBB6_1827
.LBB6_2809:                             ;   in Loop: Header=BB6_130 Depth=2
	v_cmp_ne_u16_sdwa s40, v25, v84 src0_sel:BYTE_3 src1_sel:DWORD
	v_mov_b32_e32 v119, 0
	s_andn2_b32 s13, s13, exec_lo
	s_and_b32 s40, s40, exec_lo
	s_or_b32 s13, s13, s40
	s_or_b32 exec_lo, exec_lo, s29
	s_and_saveexec_b32 s29, s13
	s_cbranch_execnz .LBB6_1828
	s_branch .LBB6_1829
.LBB6_2810:                             ;   in Loop: Header=BB6_130 Depth=2
	s_or_saveexec_b32 s29, s29
	v_mov_b32_e32 v2, 0x7f800001
	s_xor_b32 exec_lo, exec_lo, s29
	s_cbranch_execz .LBB6_1833
.LBB6_2811:                             ;   in Loop: Header=BB6_130 Depth=2
	v_cmp_ne_u16_sdwa s40, v21, v84 src0_sel:BYTE_3 src1_sel:DWORD
	v_mov_b32_e32 v2, 0
	s_andn2_b32 s13, s13, exec_lo
	s_and_b32 s40, s40, exec_lo
	s_or_b32 s13, s13, s40
	s_or_b32 exec_lo, exec_lo, s29
	s_and_saveexec_b32 s29, s13
	s_cbranch_execnz .LBB6_1834
	s_branch .LBB6_1835
.LBB6_2812:                             ;   in Loop: Header=BB6_130 Depth=2
	s_or_saveexec_b32 s29, s29
	v_mov_b32_e32 v119, 0x7f800001
	s_xor_b32 exec_lo, exec_lo, s29
	s_cbranch_execz .LBB6_1841
.LBB6_2813:                             ;   in Loop: Header=BB6_130 Depth=2
	v_cmp_ne_u16_sdwa s40, v25, v84 src0_sel:BYTE_3 src1_sel:DWORD
	v_mov_b32_e32 v119, 0
	s_andn2_b32 s13, s13, exec_lo
	s_and_b32 s40, s40, exec_lo
	s_or_b32 s13, s13, s40
	s_or_b32 exec_lo, exec_lo, s29
	s_and_saveexec_b32 s29, s13
	s_cbranch_execnz .LBB6_1842
	s_branch .LBB6_1843
.LBB6_2814:                             ;   in Loop: Header=BB6_130 Depth=2
	s_or_saveexec_b32 s29, s29
	v_mov_b32_e32 v2, 0x7f800001
	s_xor_b32 exec_lo, exec_lo, s29
	s_cbranch_execz .LBB6_1847
.LBB6_2815:                             ;   in Loop: Header=BB6_130 Depth=2
	v_cmp_ne_u16_sdwa s40, v21, v84 src0_sel:BYTE_3 src1_sel:DWORD
	v_mov_b32_e32 v2, 0
	s_andn2_b32 s13, s13, exec_lo
	s_and_b32 s40, s40, exec_lo
	s_or_b32 s13, s13, s40
	s_or_b32 exec_lo, exec_lo, s29
	s_and_saveexec_b32 s29, s13
	s_cbranch_execnz .LBB6_1848
	s_branch .LBB6_1849
.LBB6_2816:                             ;   in Loop: Header=BB6_130 Depth=2
	s_or_saveexec_b32 s29, s29
	v_mov_b32_e32 v25, 0x7f800001
	s_xor_b32 exec_lo, exec_lo, s29
	s_cbranch_execz .LBB6_1863
.LBB6_2817:                             ;   in Loop: Header=BB6_130 Depth=2
	v_cmp_ne_u16_sdwa s40, v14, v84 src0_sel:BYTE_0 src1_sel:DWORD
	v_mov_b32_e32 v25, 0
	s_andn2_b32 s13, s13, exec_lo
	s_and_b32 s40, s40, exec_lo
	s_or_b32 s13, s13, s40
	s_or_b32 exec_lo, exec_lo, s29
	s_and_saveexec_b32 s29, s13
	s_cbranch_execnz .LBB6_1864
	s_branch .LBB6_1865
.LBB6_2818:                             ;   in Loop: Header=BB6_130 Depth=2
	s_or_saveexec_b32 s29, s29
	v_mov_b32_e32 v2, 0x7f800001
	s_xor_b32 exec_lo, exec_lo, s29
	s_cbranch_execz .LBB6_1869
.LBB6_2819:                             ;   in Loop: Header=BB6_130 Depth=2
	v_cmp_ne_u16_sdwa s40, v10, v84 src0_sel:BYTE_0 src1_sel:DWORD
	v_mov_b32_e32 v2, 0
	s_andn2_b32 s13, s13, exec_lo
	s_and_b32 s40, s40, exec_lo
	s_or_b32 s13, s13, s40
	s_or_b32 exec_lo, exec_lo, s29
	s_and_saveexec_b32 s29, s13
	s_cbranch_execnz .LBB6_1870
	s_branch .LBB6_1871
.LBB6_2820:                             ;   in Loop: Header=BB6_130 Depth=2
	s_or_saveexec_b32 s29, s29
	v_mov_b32_e32 v25, 0x7f800001
	s_xor_b32 exec_lo, exec_lo, s29
	s_cbranch_execz .LBB6_1877
.LBB6_2821:                             ;   in Loop: Header=BB6_130 Depth=2
	v_cmp_ne_u16_sdwa s40, v14, v84 src0_sel:BYTE_0 src1_sel:DWORD
	v_mov_b32_e32 v25, 0
	s_andn2_b32 s13, s13, exec_lo
	s_and_b32 s40, s40, exec_lo
	s_or_b32 s13, s13, s40
	s_or_b32 exec_lo, exec_lo, s29
	s_and_saveexec_b32 s29, s13
	s_cbranch_execnz .LBB6_1878
	s_branch .LBB6_1879
.LBB6_2822:                             ;   in Loop: Header=BB6_130 Depth=2
	s_or_saveexec_b32 s29, s29
	v_mov_b32_e32 v2, 0x7f800001
	s_xor_b32 exec_lo, exec_lo, s29
	s_cbranch_execz .LBB6_1883
.LBB6_2823:                             ;   in Loop: Header=BB6_130 Depth=2
	v_cmp_ne_u16_sdwa s40, v10, v84 src0_sel:BYTE_0 src1_sel:DWORD
	v_mov_b32_e32 v2, 0
	s_andn2_b32 s13, s13, exec_lo
	s_and_b32 s40, s40, exec_lo
	s_or_b32 s13, s13, s40
	s_or_b32 exec_lo, exec_lo, s29
	s_and_saveexec_b32 s29, s13
	s_cbranch_execnz .LBB6_1884
	s_branch .LBB6_1885
.LBB6_2824:                             ;   in Loop: Header=BB6_130 Depth=2
	s_or_saveexec_b32 s29, s29
	v_mov_b32_e32 v119, 0x7f800001
	s_xor_b32 exec_lo, exec_lo, s29
	s_cbranch_execz .LBB6_1899
.LBB6_2825:                             ;   in Loop: Header=BB6_130 Depth=2
	v_cmp_ne_u16_sdwa s40, v14, v84 src0_sel:BYTE_1 src1_sel:DWORD
	v_mov_b32_e32 v119, 0
	s_andn2_b32 s13, s13, exec_lo
	s_and_b32 s40, s40, exec_lo
	s_or_b32 s13, s13, s40
	s_or_b32 exec_lo, exec_lo, s29
	s_and_saveexec_b32 s29, s13
	s_cbranch_execnz .LBB6_1900
	s_branch .LBB6_1901
.LBB6_2826:                             ;   in Loop: Header=BB6_130 Depth=2
	s_or_saveexec_b32 s29, s29
	v_mov_b32_e32 v2, 0x7f800001
	s_xor_b32 exec_lo, exec_lo, s29
	s_cbranch_execz .LBB6_1905
.LBB6_2827:                             ;   in Loop: Header=BB6_130 Depth=2
	v_cmp_ne_u16_sdwa s40, v10, v84 src0_sel:BYTE_1 src1_sel:DWORD
	v_mov_b32_e32 v2, 0
	s_andn2_b32 s13, s13, exec_lo
	s_and_b32 s40, s40, exec_lo
	s_or_b32 s13, s13, s40
	s_or_b32 exec_lo, exec_lo, s29
	s_and_saveexec_b32 s29, s13
	s_cbranch_execnz .LBB6_1906
	s_branch .LBB6_1907
.LBB6_2828:                             ;   in Loop: Header=BB6_130 Depth=2
	s_or_saveexec_b32 s29, s29
	v_mov_b32_e32 v119, 0x7f800001
	s_xor_b32 exec_lo, exec_lo, s29
	s_cbranch_execz .LBB6_1913
.LBB6_2829:                             ;   in Loop: Header=BB6_130 Depth=2
	v_cmp_ne_u16_sdwa s40, v14, v84 src0_sel:BYTE_1 src1_sel:DWORD
	v_mov_b32_e32 v119, 0
	s_andn2_b32 s13, s13, exec_lo
	s_and_b32 s40, s40, exec_lo
	s_or_b32 s13, s13, s40
	s_or_b32 exec_lo, exec_lo, s29
	s_and_saveexec_b32 s29, s13
	s_cbranch_execnz .LBB6_1914
	s_branch .LBB6_1915
.LBB6_2830:                             ;   in Loop: Header=BB6_130 Depth=2
	s_or_saveexec_b32 s29, s29
	v_mov_b32_e32 v2, 0x7f800001
	s_xor_b32 exec_lo, exec_lo, s29
	s_cbranch_execz .LBB6_1919
.LBB6_2831:                             ;   in Loop: Header=BB6_130 Depth=2
	v_cmp_ne_u16_sdwa s40, v10, v84 src0_sel:BYTE_1 src1_sel:DWORD
	v_mov_b32_e32 v2, 0
	s_andn2_b32 s13, s13, exec_lo
	s_and_b32 s40, s40, exec_lo
	s_or_b32 s13, s13, s40
	s_or_b32 exec_lo, exec_lo, s29
	s_and_saveexec_b32 s29, s13
	s_cbranch_execnz .LBB6_1920
	s_branch .LBB6_1921
.LBB6_2832:                             ;   in Loop: Header=BB6_130 Depth=2
	s_or_saveexec_b32 s13, s13
	v_mov_b32_e32 v40, 0x7f800001
	s_xor_b32 exec_lo, exec_lo, s13
	s_cbranch_execz .LBB6_1935
.LBB6_2833:                             ;   in Loop: Header=BB6_130 Depth=2
	v_cmp_ne_u16_e32 vcc_lo, 0, v119
	v_mov_b32_e32 v40, 0
	s_andn2_b32 s29, s29, exec_lo
	s_and_b32 s40, vcc_lo, exec_lo
	s_or_b32 s29, s29, s40
	s_or_b32 exec_lo, exec_lo, s13
	s_and_saveexec_b32 s13, s29
	s_cbranch_execnz .LBB6_1936
	s_branch .LBB6_1937
.LBB6_2834:                             ;   in Loop: Header=BB6_130 Depth=2
	s_or_saveexec_b32 s13, s13
	v_mov_b32_e32 v2, 0x7f800001
	s_xor_b32 exec_lo, exec_lo, s13
	s_cbranch_execz .LBB6_1941
.LBB6_2835:                             ;   in Loop: Header=BB6_130 Depth=2
	v_cmp_ne_u16_e32 vcc_lo, 0, v3
	v_mov_b32_e32 v2, 0
	s_andn2_b32 s29, s29, exec_lo
	s_and_b32 s40, vcc_lo, exec_lo
	s_or_b32 s29, s29, s40
	s_or_b32 exec_lo, exec_lo, s13
	s_and_saveexec_b32 s13, s29
	s_cbranch_execnz .LBB6_1942
	s_branch .LBB6_1943
.LBB6_2836:                             ;   in Loop: Header=BB6_130 Depth=2
	s_or_saveexec_b32 s29, s29
	v_mov_b32_e32 v40, 0x7f800001
	s_xor_b32 exec_lo, exec_lo, s29
	s_cbranch_execz .LBB6_1949
.LBB6_2837:                             ;   in Loop: Header=BB6_130 Depth=2
	v_cmp_ne_u16_e32 vcc_lo, 0, v119
	v_mov_b32_e32 v40, 0
	s_andn2_b32 s13, s13, exec_lo
	s_and_b32 s40, vcc_lo, exec_lo
	s_or_b32 s13, s13, s40
	s_or_b32 exec_lo, exec_lo, s29
	s_and_saveexec_b32 s29, s13
	s_cbranch_execnz .LBB6_1950
	s_branch .LBB6_1951
.LBB6_2838:                             ;   in Loop: Header=BB6_130 Depth=2
	s_or_saveexec_b32 s13, s13
	v_mov_b32_e32 v2, 0x7f800001
	s_xor_b32 exec_lo, exec_lo, s13
	s_cbranch_execz .LBB6_1955
.LBB6_2839:                             ;   in Loop: Header=BB6_130 Depth=2
	v_cmp_ne_u16_e32 vcc_lo, 0, v3
	v_mov_b32_e32 v2, 0
	s_andn2_b32 s29, s29, exec_lo
	s_and_b32 s40, vcc_lo, exec_lo
	s_or_b32 s29, s29, s40
	s_or_b32 exec_lo, exec_lo, s13
	s_and_saveexec_b32 s13, s29
	s_cbranch_execnz .LBB6_1956
	s_branch .LBB6_1957
.LBB6_2840:                             ;   in Loop: Header=BB6_130 Depth=2
	s_or_saveexec_b32 s29, s29
	v_mov_b32_e32 v119, 0x7f800001
	s_xor_b32 exec_lo, exec_lo, s29
	s_cbranch_execz .LBB6_1971
.LBB6_2841:                             ;   in Loop: Header=BB6_130 Depth=2
	v_cmp_ne_u16_sdwa s40, v14, v84 src0_sel:BYTE_3 src1_sel:DWORD
	v_mov_b32_e32 v119, 0
	s_andn2_b32 s13, s13, exec_lo
	s_and_b32 s40, s40, exec_lo
	s_or_b32 s13, s13, s40
	s_or_b32 exec_lo, exec_lo, s29
	s_and_saveexec_b32 s29, s13
	s_cbranch_execnz .LBB6_1972
	s_branch .LBB6_1973
.LBB6_2842:                             ;   in Loop: Header=BB6_130 Depth=2
	s_or_saveexec_b32 s29, s29
	v_mov_b32_e32 v2, 0x7f800001
	s_xor_b32 exec_lo, exec_lo, s29
	s_cbranch_execz .LBB6_1977
.LBB6_2843:                             ;   in Loop: Header=BB6_130 Depth=2
	v_cmp_ne_u16_sdwa s40, v10, v84 src0_sel:BYTE_3 src1_sel:DWORD
	v_mov_b32_e32 v2, 0
	s_andn2_b32 s13, s13, exec_lo
	s_and_b32 s40, s40, exec_lo
	s_or_b32 s13, s13, s40
	s_or_b32 exec_lo, exec_lo, s29
	s_and_saveexec_b32 s29, s13
	s_cbranch_execnz .LBB6_1978
	s_branch .LBB6_1979
.LBB6_2844:                             ;   in Loop: Header=BB6_130 Depth=2
	s_or_saveexec_b32 s29, s29
	v_mov_b32_e32 v119, 0x7f800001
	s_xor_b32 exec_lo, exec_lo, s29
	s_cbranch_execz .LBB6_1985
.LBB6_2845:                             ;   in Loop: Header=BB6_130 Depth=2
	v_cmp_ne_u16_sdwa s40, v14, v84 src0_sel:BYTE_3 src1_sel:DWORD
	v_mov_b32_e32 v119, 0
	s_andn2_b32 s13, s13, exec_lo
	s_and_b32 s40, s40, exec_lo
	s_or_b32 s13, s13, s40
	s_or_b32 exec_lo, exec_lo, s29
	s_and_saveexec_b32 s29, s13
	s_cbranch_execnz .LBB6_1986
	s_branch .LBB6_1987
.LBB6_2846:                             ;   in Loop: Header=BB6_130 Depth=2
	s_or_saveexec_b32 s29, s29
	v_mov_b32_e32 v2, 0x7f800001
	s_xor_b32 exec_lo, exec_lo, s29
	s_cbranch_execz .LBB6_1991
.LBB6_2847:                             ;   in Loop: Header=BB6_130 Depth=2
	v_cmp_ne_u16_sdwa s40, v10, v84 src0_sel:BYTE_3 src1_sel:DWORD
	v_mov_b32_e32 v2, 0
	s_andn2_b32 s13, s13, exec_lo
	s_and_b32 s40, s40, exec_lo
	s_or_b32 s13, s13, s40
	s_or_b32 exec_lo, exec_lo, s29
	s_and_saveexec_b32 s29, s13
	s_cbranch_execnz .LBB6_1992
	s_branch .LBB6_1993
.LBB6_2848:                             ;   in Loop: Header=BB6_130 Depth=2
	s_or_saveexec_b32 s29, s29
	v_mov_b32_e32 v14, 0x7f800001
	s_xor_b32 exec_lo, exec_lo, s29
	s_cbranch_execz .LBB6_2007
.LBB6_2849:                             ;   in Loop: Header=BB6_130 Depth=2
	v_cmp_ne_u16_sdwa s40, v15, v84 src0_sel:BYTE_0 src1_sel:DWORD
	v_mov_b32_e32 v14, 0
	s_andn2_b32 s13, s13, exec_lo
	s_and_b32 s40, s40, exec_lo
	s_or_b32 s13, s13, s40
	s_or_b32 exec_lo, exec_lo, s29
	s_and_saveexec_b32 s29, s13
	s_cbranch_execnz .LBB6_2008
	s_branch .LBB6_2009
.LBB6_2850:                             ;   in Loop: Header=BB6_130 Depth=2
	s_or_saveexec_b32 s13, s13
	v_mov_b32_e32 v2, 0x7f800001
	s_xor_b32 exec_lo, exec_lo, s13
	s_cbranch_execz .LBB6_2013
.LBB6_2851:                             ;   in Loop: Header=BB6_130 Depth=2
	v_cmp_ne_u16_sdwa s40, v11, v84 src0_sel:BYTE_0 src1_sel:DWORD
	v_mov_b32_e32 v2, 0
	s_andn2_b32 s29, s29, exec_lo
	s_and_b32 s40, s40, exec_lo
	s_or_b32 s29, s29, s40
	s_or_b32 exec_lo, exec_lo, s13
	s_and_saveexec_b32 s13, s29
	s_cbranch_execnz .LBB6_2014
	s_branch .LBB6_2015
.LBB6_2852:                             ;   in Loop: Header=BB6_130 Depth=2
	s_or_saveexec_b32 s29, s29
	v_mov_b32_e32 v14, 0x7f800001
	s_xor_b32 exec_lo, exec_lo, s29
	s_cbranch_execz .LBB6_2021
.LBB6_2853:                             ;   in Loop: Header=BB6_130 Depth=2
	v_cmp_ne_u16_sdwa s40, v15, v84 src0_sel:BYTE_0 src1_sel:DWORD
	v_mov_b32_e32 v14, 0
	s_andn2_b32 s13, s13, exec_lo
	s_and_b32 s40, s40, exec_lo
	s_or_b32 s13, s13, s40
	s_or_b32 exec_lo, exec_lo, s29
	s_and_saveexec_b32 s29, s13
	s_cbranch_execnz .LBB6_2022
	s_branch .LBB6_2023
.LBB6_2854:                             ;   in Loop: Header=BB6_130 Depth=2
	s_or_saveexec_b32 s13, s13
	v_mov_b32_e32 v2, 0x7f800001
	s_xor_b32 exec_lo, exec_lo, s13
	s_cbranch_execz .LBB6_2027
.LBB6_2855:                             ;   in Loop: Header=BB6_130 Depth=2
	v_cmp_ne_u16_sdwa s40, v11, v84 src0_sel:BYTE_0 src1_sel:DWORD
	v_mov_b32_e32 v2, 0
	s_andn2_b32 s29, s29, exec_lo
	s_and_b32 s40, s40, exec_lo
	s_or_b32 s29, s29, s40
	s_or_b32 exec_lo, exec_lo, s13
	s_and_saveexec_b32 s13, s29
	s_cbranch_execnz .LBB6_2028
	s_branch .LBB6_2029
.LBB6_2856:                             ;   in Loop: Header=BB6_130 Depth=2
	s_or_saveexec_b32 s29, s29
	v_mov_b32_e32 v119, 0x7f800001
	s_xor_b32 exec_lo, exec_lo, s29
	s_cbranch_execz .LBB6_2043
.LBB6_2857:                             ;   in Loop: Header=BB6_130 Depth=2
	v_cmp_ne_u16_sdwa s40, v15, v84 src0_sel:BYTE_1 src1_sel:DWORD
	v_mov_b32_e32 v119, 0
	s_andn2_b32 s13, s13, exec_lo
	s_and_b32 s40, s40, exec_lo
	s_or_b32 s13, s13, s40
	s_or_b32 exec_lo, exec_lo, s29
	s_and_saveexec_b32 s29, s13
	s_cbranch_execnz .LBB6_2044
	s_branch .LBB6_2045
.LBB6_2858:                             ;   in Loop: Header=BB6_130 Depth=2
	s_or_saveexec_b32 s29, s29
	v_mov_b32_e32 v2, 0x7f800001
	s_xor_b32 exec_lo, exec_lo, s29
	s_cbranch_execz .LBB6_2049
.LBB6_2859:                             ;   in Loop: Header=BB6_130 Depth=2
	v_cmp_ne_u16_sdwa s40, v11, v84 src0_sel:BYTE_1 src1_sel:DWORD
	v_mov_b32_e32 v2, 0
	s_andn2_b32 s13, s13, exec_lo
	s_and_b32 s40, s40, exec_lo
	s_or_b32 s13, s13, s40
	s_or_b32 exec_lo, exec_lo, s29
	s_and_saveexec_b32 s29, s13
	s_cbranch_execnz .LBB6_2050
	s_branch .LBB6_2051
.LBB6_2860:                             ;   in Loop: Header=BB6_130 Depth=2
	s_or_saveexec_b32 s29, s29
	v_mov_b32_e32 v119, 0x7f800001
	s_xor_b32 exec_lo, exec_lo, s29
	s_cbranch_execz .LBB6_2057
.LBB6_2861:                             ;   in Loop: Header=BB6_130 Depth=2
	v_cmp_ne_u16_sdwa s40, v15, v84 src0_sel:BYTE_1 src1_sel:DWORD
	v_mov_b32_e32 v119, 0
	s_andn2_b32 s13, s13, exec_lo
	s_and_b32 s40, s40, exec_lo
	s_or_b32 s13, s13, s40
	s_or_b32 exec_lo, exec_lo, s29
	s_and_saveexec_b32 s29, s13
	s_cbranch_execnz .LBB6_2058
	s_branch .LBB6_2059
.LBB6_2862:                             ;   in Loop: Header=BB6_130 Depth=2
	s_or_saveexec_b32 s29, s29
	v_mov_b32_e32 v2, 0x7f800001
	s_xor_b32 exec_lo, exec_lo, s29
	s_cbranch_execz .LBB6_2063
.LBB6_2863:                             ;   in Loop: Header=BB6_130 Depth=2
	v_cmp_ne_u16_sdwa s40, v11, v84 src0_sel:BYTE_1 src1_sel:DWORD
	v_mov_b32_e32 v2, 0
	s_andn2_b32 s13, s13, exec_lo
	s_and_b32 s40, s40, exec_lo
	s_or_b32 s13, s13, s40
	s_or_b32 exec_lo, exec_lo, s29
	s_and_saveexec_b32 s29, s13
	s_cbranch_execnz .LBB6_2064
	s_branch .LBB6_2065
.LBB6_2864:                             ;   in Loop: Header=BB6_130 Depth=2
	s_or_saveexec_b32 s13, s13
	v_mov_b32_e32 v40, 0x7f800001
	s_xor_b32 exec_lo, exec_lo, s13
	s_cbranch_execz .LBB6_2079
.LBB6_2865:                             ;   in Loop: Header=BB6_130 Depth=2
	v_cmp_ne_u16_e32 vcc_lo, 0, v119
	v_mov_b32_e32 v40, 0
	s_andn2_b32 s29, s29, exec_lo
	s_and_b32 s40, vcc_lo, exec_lo
	s_or_b32 s29, s29, s40
	s_or_b32 exec_lo, exec_lo, s13
	s_and_saveexec_b32 s13, s29
	s_cbranch_execnz .LBB6_2080
	s_branch .LBB6_2081
.LBB6_2866:                             ;   in Loop: Header=BB6_130 Depth=2
	s_or_saveexec_b32 s13, s13
	v_mov_b32_e32 v2, 0x7f800001
	s_xor_b32 exec_lo, exec_lo, s13
	s_cbranch_execz .LBB6_2085
.LBB6_2867:                             ;   in Loop: Header=BB6_130 Depth=2
	v_cmp_ne_u16_e32 vcc_lo, 0, v3
	v_mov_b32_e32 v2, 0
	s_andn2_b32 s29, s29, exec_lo
	s_and_b32 s40, vcc_lo, exec_lo
	s_or_b32 s29, s29, s40
	s_or_b32 exec_lo, exec_lo, s13
	s_and_saveexec_b32 s13, s29
	s_cbranch_execnz .LBB6_2086
	s_branch .LBB6_2087
.LBB6_2868:                             ;   in Loop: Header=BB6_130 Depth=2
	s_or_saveexec_b32 s13, s13
	v_mov_b32_e32 v40, 0x7f800001
	s_xor_b32 exec_lo, exec_lo, s13
	s_cbranch_execz .LBB6_2093
.LBB6_2869:                             ;   in Loop: Header=BB6_130 Depth=2
	v_cmp_ne_u16_e32 vcc_lo, 0, v119
	v_mov_b32_e32 v40, 0
	s_andn2_b32 s29, s29, exec_lo
	s_and_b32 s40, vcc_lo, exec_lo
	s_or_b32 s29, s29, s40
	s_or_b32 exec_lo, exec_lo, s13
	s_and_saveexec_b32 s13, s29
	s_cbranch_execnz .LBB6_2094
	s_branch .LBB6_2095
.LBB6_2870:                             ;   in Loop: Header=BB6_130 Depth=2
	s_or_saveexec_b32 s13, s13
	v_mov_b32_e32 v2, 0x7f800001
	s_xor_b32 exec_lo, exec_lo, s13
	s_cbranch_execz .LBB6_2099
.LBB6_2871:                             ;   in Loop: Header=BB6_130 Depth=2
	v_cmp_ne_u16_e32 vcc_lo, 0, v3
	v_mov_b32_e32 v2, 0
	s_andn2_b32 s29, s29, exec_lo
	s_and_b32 s40, vcc_lo, exec_lo
	s_or_b32 s29, s29, s40
	s_or_b32 exec_lo, exec_lo, s13
	s_and_saveexec_b32 s13, s29
	s_cbranch_execnz .LBB6_2100
	s_branch .LBB6_2101
.LBB6_2872:                             ;   in Loop: Header=BB6_130 Depth=2
	s_or_saveexec_b32 s29, s29
	v_mov_b32_e32 v119, 0x7f800001
	s_xor_b32 exec_lo, exec_lo, s29
	s_cbranch_execz .LBB6_2115
.LBB6_2873:                             ;   in Loop: Header=BB6_130 Depth=2
	v_cmp_ne_u16_sdwa s40, v15, v84 src0_sel:BYTE_3 src1_sel:DWORD
	v_mov_b32_e32 v119, 0
	s_andn2_b32 s13, s13, exec_lo
	s_and_b32 s40, s40, exec_lo
	s_or_b32 s13, s13, s40
	s_or_b32 exec_lo, exec_lo, s29
	s_and_saveexec_b32 s29, s13
	s_cbranch_execnz .LBB6_2116
	s_branch .LBB6_2117
.LBB6_2874:                             ;   in Loop: Header=BB6_130 Depth=2
	s_or_saveexec_b32 s29, s29
	v_mov_b32_e32 v2, 0x7f800001
	s_xor_b32 exec_lo, exec_lo, s29
	s_cbranch_execz .LBB6_2121
.LBB6_2875:                             ;   in Loop: Header=BB6_130 Depth=2
	v_cmp_ne_u16_sdwa s40, v11, v84 src0_sel:BYTE_3 src1_sel:DWORD
	v_mov_b32_e32 v2, 0
	s_andn2_b32 s13, s13, exec_lo
	s_and_b32 s40, s40, exec_lo
	s_or_b32 s13, s13, s40
	s_or_b32 exec_lo, exec_lo, s29
	s_and_saveexec_b32 s29, s13
	s_cbranch_execnz .LBB6_2122
	s_branch .LBB6_2123
.LBB6_2876:                             ;   in Loop: Header=BB6_130 Depth=2
	s_or_saveexec_b32 s29, s29
	v_mov_b32_e32 v119, 0x7f800001
	s_xor_b32 exec_lo, exec_lo, s29
	s_cbranch_execz .LBB6_2129
.LBB6_2877:                             ;   in Loop: Header=BB6_130 Depth=2
	v_cmp_ne_u16_sdwa s40, v15, v84 src0_sel:BYTE_3 src1_sel:DWORD
	v_mov_b32_e32 v119, 0
	s_andn2_b32 s13, s13, exec_lo
	s_and_b32 s40, s40, exec_lo
	s_or_b32 s13, s13, s40
	s_or_b32 exec_lo, exec_lo, s29
	s_and_saveexec_b32 s29, s13
	s_cbranch_execnz .LBB6_2130
	s_branch .LBB6_2131
.LBB6_2878:                             ;   in Loop: Header=BB6_130 Depth=2
	s_or_saveexec_b32 s29, s29
	v_mov_b32_e32 v2, 0x7f800001
	s_xor_b32 exec_lo, exec_lo, s29
	s_cbranch_execz .LBB6_2135
.LBB6_2879:                             ;   in Loop: Header=BB6_130 Depth=2
	v_cmp_ne_u16_sdwa s40, v11, v84 src0_sel:BYTE_3 src1_sel:DWORD
	v_mov_b32_e32 v2, 0
	s_andn2_b32 s13, s13, exec_lo
	s_and_b32 s40, s40, exec_lo
	s_or_b32 s13, s13, s40
	s_or_b32 exec_lo, exec_lo, s29
	s_and_saveexec_b32 s29, s13
	s_cbranch_execnz .LBB6_2136
	s_branch .LBB6_2137
.LBB6_2880:                             ;   in Loop: Header=BB6_130 Depth=2
	s_or_saveexec_b32 s13, s13
	v_mov_b32_e32 v15, 0x7f800001
	s_xor_b32 exec_lo, exec_lo, s13
	s_cbranch_execz .LBB6_2151
.LBB6_2881:                             ;   in Loop: Header=BB6_130 Depth=2
	v_cmp_ne_u16_sdwa s40, v16, v84 src0_sel:BYTE_0 src1_sel:DWORD
	v_mov_b32_e32 v15, 0
	s_andn2_b32 s29, s29, exec_lo
	s_and_b32 s40, s40, exec_lo
	s_or_b32 s29, s29, s40
	s_or_b32 exec_lo, exec_lo, s13
	s_and_saveexec_b32 s13, s29
	s_cbranch_execnz .LBB6_2152
	s_branch .LBB6_2153
.LBB6_2882:                             ;   in Loop: Header=BB6_130 Depth=2
	s_or_saveexec_b32 s13, s13
	v_mov_b32_e32 v2, 0x7f800001
	s_xor_b32 exec_lo, exec_lo, s13
	s_cbranch_execz .LBB6_2157
.LBB6_2883:                             ;   in Loop: Header=BB6_130 Depth=2
	v_cmp_ne_u16_sdwa s40, v12, v84 src0_sel:BYTE_0 src1_sel:DWORD
	v_mov_b32_e32 v2, 0
	s_andn2_b32 s29, s29, exec_lo
	s_and_b32 s40, s40, exec_lo
	s_or_b32 s29, s29, s40
	s_or_b32 exec_lo, exec_lo, s13
	s_and_saveexec_b32 s13, s29
	s_cbranch_execnz .LBB6_2158
	s_branch .LBB6_2159
.LBB6_2884:                             ;   in Loop: Header=BB6_130 Depth=2
	s_or_saveexec_b32 s13, s13
	v_mov_b32_e32 v15, 0x7f800001
	s_xor_b32 exec_lo, exec_lo, s13
	s_cbranch_execz .LBB6_2165
.LBB6_2885:                             ;   in Loop: Header=BB6_130 Depth=2
	v_cmp_ne_u16_sdwa s40, v16, v84 src0_sel:BYTE_0 src1_sel:DWORD
	v_mov_b32_e32 v15, 0
	s_andn2_b32 s29, s29, exec_lo
	s_and_b32 s40, s40, exec_lo
	s_or_b32 s29, s29, s40
	s_or_b32 exec_lo, exec_lo, s13
	s_and_saveexec_b32 s13, s29
	s_cbranch_execnz .LBB6_2166
	s_branch .LBB6_2167
.LBB6_2886:                             ;   in Loop: Header=BB6_130 Depth=2
	s_or_saveexec_b32 s13, s13
	v_mov_b32_e32 v2, 0x7f800001
	s_xor_b32 exec_lo, exec_lo, s13
	s_cbranch_execz .LBB6_2171
.LBB6_2887:                             ;   in Loop: Header=BB6_130 Depth=2
	v_cmp_ne_u16_sdwa s40, v12, v84 src0_sel:BYTE_0 src1_sel:DWORD
	v_mov_b32_e32 v2, 0
	s_andn2_b32 s29, s29, exec_lo
	s_and_b32 s40, s40, exec_lo
	s_or_b32 s29, s29, s40
	s_or_b32 exec_lo, exec_lo, s13
	s_and_saveexec_b32 s13, s29
	s_cbranch_execnz .LBB6_2172
	s_branch .LBB6_2173
.LBB6_2888:                             ;   in Loop: Header=BB6_130 Depth=2
	s_or_saveexec_b32 s29, s29
	v_mov_b32_e32 v119, 0x7f800001
	s_xor_b32 exec_lo, exec_lo, s29
	s_cbranch_execz .LBB6_2187
.LBB6_2889:                             ;   in Loop: Header=BB6_130 Depth=2
	v_cmp_ne_u16_sdwa s40, v16, v84 src0_sel:BYTE_1 src1_sel:DWORD
	v_mov_b32_e32 v119, 0
	s_andn2_b32 s13, s13, exec_lo
	s_and_b32 s40, s40, exec_lo
	s_or_b32 s13, s13, s40
	s_or_b32 exec_lo, exec_lo, s29
	s_and_saveexec_b32 s29, s13
	s_cbranch_execnz .LBB6_2188
	s_branch .LBB6_2189
.LBB6_2890:                             ;   in Loop: Header=BB6_130 Depth=2
	s_or_saveexec_b32 s29, s29
	v_mov_b32_e32 v2, 0x7f800001
	s_xor_b32 exec_lo, exec_lo, s29
	s_cbranch_execz .LBB6_2193
.LBB6_2891:                             ;   in Loop: Header=BB6_130 Depth=2
	v_cmp_ne_u16_sdwa s40, v12, v84 src0_sel:BYTE_1 src1_sel:DWORD
	v_mov_b32_e32 v2, 0
	s_andn2_b32 s13, s13, exec_lo
	s_and_b32 s40, s40, exec_lo
	s_or_b32 s13, s13, s40
	s_or_b32 exec_lo, exec_lo, s29
	s_and_saveexec_b32 s29, s13
	s_cbranch_execnz .LBB6_2194
	s_branch .LBB6_2195
.LBB6_2892:                             ;   in Loop: Header=BB6_130 Depth=2
	s_or_saveexec_b32 s29, s29
	v_mov_b32_e32 v119, 0x7f800001
	s_xor_b32 exec_lo, exec_lo, s29
	s_cbranch_execz .LBB6_2201
.LBB6_2893:                             ;   in Loop: Header=BB6_130 Depth=2
	v_cmp_ne_u16_sdwa s40, v16, v84 src0_sel:BYTE_1 src1_sel:DWORD
	v_mov_b32_e32 v119, 0
	s_andn2_b32 s13, s13, exec_lo
	s_and_b32 s40, s40, exec_lo
	s_or_b32 s13, s13, s40
	s_or_b32 exec_lo, exec_lo, s29
	s_and_saveexec_b32 s29, s13
	s_cbranch_execnz .LBB6_2202
	s_branch .LBB6_2203
.LBB6_2894:                             ;   in Loop: Header=BB6_130 Depth=2
	s_or_saveexec_b32 s29, s29
	v_mov_b32_e32 v2, 0x7f800001
	s_xor_b32 exec_lo, exec_lo, s29
	s_cbranch_execz .LBB6_2207
.LBB6_2895:                             ;   in Loop: Header=BB6_130 Depth=2
	v_cmp_ne_u16_sdwa s40, v12, v84 src0_sel:BYTE_1 src1_sel:DWORD
	v_mov_b32_e32 v2, 0
	s_andn2_b32 s13, s13, exec_lo
	s_and_b32 s40, s40, exec_lo
	s_or_b32 s13, s13, s40
	s_or_b32 exec_lo, exec_lo, s29
	s_and_saveexec_b32 s29, s13
	s_cbranch_execnz .LBB6_2208
	s_branch .LBB6_2209
.LBB6_2896:                             ;   in Loop: Header=BB6_130 Depth=2
	s_or_saveexec_b32 s13, s13
	v_mov_b32_e32 v40, 0x7f800001
	s_xor_b32 exec_lo, exec_lo, s13
	s_cbranch_execz .LBB6_2223
.LBB6_2897:                             ;   in Loop: Header=BB6_130 Depth=2
	v_cmp_ne_u16_e32 vcc_lo, 0, v119
	v_mov_b32_e32 v40, 0
	s_andn2_b32 s29, s29, exec_lo
	s_and_b32 s40, vcc_lo, exec_lo
	s_or_b32 s29, s29, s40
	s_or_b32 exec_lo, exec_lo, s13
	s_and_saveexec_b32 s13, s29
	s_cbranch_execnz .LBB6_2224
	s_branch .LBB6_2225
.LBB6_2898:                             ;   in Loop: Header=BB6_130 Depth=2
	s_or_saveexec_b32 s13, s13
	v_mov_b32_e32 v2, 0x7f800001
	s_xor_b32 exec_lo, exec_lo, s13
	s_cbranch_execz .LBB6_2229
.LBB6_2899:                             ;   in Loop: Header=BB6_130 Depth=2
	v_cmp_ne_u16_e32 vcc_lo, 0, v3
	v_mov_b32_e32 v2, 0
	s_andn2_b32 s29, s29, exec_lo
	s_and_b32 s40, vcc_lo, exec_lo
	s_or_b32 s29, s29, s40
	s_or_b32 exec_lo, exec_lo, s13
	s_and_saveexec_b32 s13, s29
	s_cbranch_execnz .LBB6_2230
	s_branch .LBB6_2231
.LBB6_2900:                             ;   in Loop: Header=BB6_130 Depth=2
	s_or_saveexec_b32 s13, s13
	v_mov_b32_e32 v40, 0x7f800001
	s_xor_b32 exec_lo, exec_lo, s13
	s_cbranch_execz .LBB6_2237
.LBB6_2901:                             ;   in Loop: Header=BB6_130 Depth=2
	v_cmp_ne_u16_e32 vcc_lo, 0, v119
	v_mov_b32_e32 v40, 0
	s_andn2_b32 s29, s29, exec_lo
	s_and_b32 s40, vcc_lo, exec_lo
	s_or_b32 s29, s29, s40
	s_or_b32 exec_lo, exec_lo, s13
	s_and_saveexec_b32 s13, s29
	s_cbranch_execnz .LBB6_2238
	s_branch .LBB6_2239
.LBB6_2902:                             ;   in Loop: Header=BB6_130 Depth=2
	s_or_saveexec_b32 s13, s13
	v_mov_b32_e32 v2, 0x7f800001
	s_xor_b32 exec_lo, exec_lo, s13
	s_cbranch_execz .LBB6_2243
.LBB6_2903:                             ;   in Loop: Header=BB6_130 Depth=2
	v_cmp_ne_u16_e32 vcc_lo, 0, v3
	v_mov_b32_e32 v2, 0
	s_andn2_b32 s29, s29, exec_lo
	s_and_b32 s40, vcc_lo, exec_lo
	s_or_b32 s29, s29, s40
	s_or_b32 exec_lo, exec_lo, s13
	s_and_saveexec_b32 s13, s29
	s_cbranch_execnz .LBB6_2244
	s_branch .LBB6_2245
.LBB6_2904:                             ;   in Loop: Header=BB6_130 Depth=2
	s_or_saveexec_b32 s29, s29
	v_mov_b32_e32 v119, 0x7f800001
	s_xor_b32 exec_lo, exec_lo, s29
	s_cbranch_execz .LBB6_2259
.LBB6_2905:                             ;   in Loop: Header=BB6_130 Depth=2
	v_cmp_ne_u16_sdwa s40, v16, v84 src0_sel:BYTE_3 src1_sel:DWORD
	v_mov_b32_e32 v119, 0
	s_andn2_b32 s13, s13, exec_lo
	s_and_b32 s40, s40, exec_lo
	s_or_b32 s13, s13, s40
	s_or_b32 exec_lo, exec_lo, s29
	s_and_saveexec_b32 s29, s13
	s_cbranch_execnz .LBB6_2260
	s_branch .LBB6_2261
.LBB6_2906:                             ;   in Loop: Header=BB6_130 Depth=2
	s_or_saveexec_b32 s29, s29
	v_mov_b32_e32 v2, 0x7f800001
	s_xor_b32 exec_lo, exec_lo, s29
	s_cbranch_execz .LBB6_2265
.LBB6_2907:                             ;   in Loop: Header=BB6_130 Depth=2
	v_cmp_ne_u16_sdwa s40, v12, v84 src0_sel:BYTE_3 src1_sel:DWORD
	v_mov_b32_e32 v2, 0
	s_andn2_b32 s13, s13, exec_lo
	s_and_b32 s40, s40, exec_lo
	s_or_b32 s13, s13, s40
	s_or_b32 exec_lo, exec_lo, s29
	s_and_saveexec_b32 s29, s13
	s_cbranch_execnz .LBB6_2266
	s_branch .LBB6_2267
.LBB6_2908:                             ;   in Loop: Header=BB6_130 Depth=2
	s_or_saveexec_b32 s29, s29
	v_mov_b32_e32 v119, 0x7f800001
	s_xor_b32 exec_lo, exec_lo, s29
	s_cbranch_execz .LBB6_2273
.LBB6_2909:                             ;   in Loop: Header=BB6_130 Depth=2
	v_cmp_ne_u16_sdwa s40, v16, v84 src0_sel:BYTE_3 src1_sel:DWORD
	v_mov_b32_e32 v119, 0
	s_andn2_b32 s13, s13, exec_lo
	s_and_b32 s40, s40, exec_lo
	s_or_b32 s13, s13, s40
	s_or_b32 exec_lo, exec_lo, s29
	s_and_saveexec_b32 s29, s13
	s_cbranch_execnz .LBB6_2274
	s_branch .LBB6_2275
.LBB6_2910:                             ;   in Loop: Header=BB6_130 Depth=2
	s_or_saveexec_b32 s29, s29
	v_mov_b32_e32 v2, 0x7f800001
	s_xor_b32 exec_lo, exec_lo, s29
	s_cbranch_execz .LBB6_2279
.LBB6_2911:                             ;   in Loop: Header=BB6_130 Depth=2
	v_cmp_ne_u16_sdwa s40, v12, v84 src0_sel:BYTE_3 src1_sel:DWORD
	v_mov_b32_e32 v2, 0
	s_andn2_b32 s13, s13, exec_lo
	s_and_b32 s40, s40, exec_lo
	s_or_b32 s13, s13, s40
	s_or_b32 exec_lo, exec_lo, s29
	s_and_saveexec_b32 s29, s13
	s_cbranch_execnz .LBB6_2280
	s_branch .LBB6_2281
.LBB6_2912:                             ;   in Loop: Header=BB6_130 Depth=2
	s_or_saveexec_b32 s13, s13
	v_mov_b32_e32 v16, 0x7f800001
	s_xor_b32 exec_lo, exec_lo, s13
	s_cbranch_execz .LBB6_2295
.LBB6_2913:                             ;   in Loop: Header=BB6_130 Depth=2
	v_cmp_ne_u16_sdwa s40, v17, v84 src0_sel:BYTE_0 src1_sel:DWORD
	v_mov_b32_e32 v16, 0
	s_andn2_b32 s29, s29, exec_lo
	s_and_b32 s40, s40, exec_lo
	s_or_b32 s29, s29, s40
	s_or_b32 exec_lo, exec_lo, s13
	s_and_saveexec_b32 s13, s29
	s_cbranch_execnz .LBB6_2296
	s_branch .LBB6_2297
.LBB6_2914:                             ;   in Loop: Header=BB6_130 Depth=2
	s_or_saveexec_b32 s13, s13
	v_mov_b32_e32 v2, 0x7f800001
	s_xor_b32 exec_lo, exec_lo, s13
	s_cbranch_execz .LBB6_2301
.LBB6_2915:                             ;   in Loop: Header=BB6_130 Depth=2
	v_cmp_ne_u16_sdwa s40, v13, v84 src0_sel:BYTE_0 src1_sel:DWORD
	v_mov_b32_e32 v2, 0
	s_andn2_b32 s29, s29, exec_lo
	s_and_b32 s40, s40, exec_lo
	s_or_b32 s29, s29, s40
	s_or_b32 exec_lo, exec_lo, s13
	s_and_saveexec_b32 s13, s29
	s_cbranch_execnz .LBB6_2302
	s_branch .LBB6_2303
.LBB6_2916:                             ;   in Loop: Header=BB6_130 Depth=2
	s_or_saveexec_b32 s13, s13
	v_mov_b32_e32 v16, 0x7f800001
	s_xor_b32 exec_lo, exec_lo, s13
	s_cbranch_execz .LBB6_2309
.LBB6_2917:                             ;   in Loop: Header=BB6_130 Depth=2
	v_cmp_ne_u16_sdwa s40, v17, v84 src0_sel:BYTE_0 src1_sel:DWORD
	v_mov_b32_e32 v16, 0
	s_andn2_b32 s29, s29, exec_lo
	s_and_b32 s40, s40, exec_lo
	s_or_b32 s29, s29, s40
	s_or_b32 exec_lo, exec_lo, s13
	s_and_saveexec_b32 s13, s29
	s_cbranch_execnz .LBB6_2310
	s_branch .LBB6_2311
.LBB6_2918:                             ;   in Loop: Header=BB6_130 Depth=2
	s_or_saveexec_b32 s13, s13
	v_mov_b32_e32 v2, 0x7f800001
	s_xor_b32 exec_lo, exec_lo, s13
	s_cbranch_execz .LBB6_2315
.LBB6_2919:                             ;   in Loop: Header=BB6_130 Depth=2
	v_cmp_ne_u16_sdwa s40, v13, v84 src0_sel:BYTE_0 src1_sel:DWORD
	v_mov_b32_e32 v2, 0
	s_andn2_b32 s29, s29, exec_lo
	s_and_b32 s40, s40, exec_lo
	s_or_b32 s29, s29, s40
	s_or_b32 exec_lo, exec_lo, s13
	s_and_saveexec_b32 s13, s29
	s_cbranch_execnz .LBB6_2316
	s_branch .LBB6_2317
.LBB6_2920:                             ;   in Loop: Header=BB6_130 Depth=2
	s_or_saveexec_b32 s29, s29
	v_mov_b32_e32 v119, 0x7f800001
	s_xor_b32 exec_lo, exec_lo, s29
	s_cbranch_execz .LBB6_2331
.LBB6_2921:                             ;   in Loop: Header=BB6_130 Depth=2
	v_cmp_ne_u16_sdwa s40, v17, v84 src0_sel:BYTE_1 src1_sel:DWORD
	v_mov_b32_e32 v119, 0
	s_andn2_b32 s13, s13, exec_lo
	s_and_b32 s40, s40, exec_lo
	s_or_b32 s13, s13, s40
	s_or_b32 exec_lo, exec_lo, s29
	s_and_saveexec_b32 s29, s13
	s_cbranch_execnz .LBB6_2332
	s_branch .LBB6_2333
.LBB6_2922:                             ;   in Loop: Header=BB6_130 Depth=2
	s_or_saveexec_b32 s29, s29
	v_mov_b32_e32 v2, 0x7f800001
	s_xor_b32 exec_lo, exec_lo, s29
	s_cbranch_execz .LBB6_2337
.LBB6_2923:                             ;   in Loop: Header=BB6_130 Depth=2
	v_cmp_ne_u16_sdwa s40, v13, v84 src0_sel:BYTE_1 src1_sel:DWORD
	v_mov_b32_e32 v2, 0
	s_andn2_b32 s13, s13, exec_lo
	s_and_b32 s40, s40, exec_lo
	s_or_b32 s13, s13, s40
	s_or_b32 exec_lo, exec_lo, s29
	s_and_saveexec_b32 s29, s13
	s_cbranch_execnz .LBB6_2338
	s_branch .LBB6_2339
.LBB6_2924:                             ;   in Loop: Header=BB6_130 Depth=2
	s_or_saveexec_b32 s29, s29
	v_mov_b32_e32 v119, 0x7f800001
	s_xor_b32 exec_lo, exec_lo, s29
	s_cbranch_execz .LBB6_2345
.LBB6_2925:                             ;   in Loop: Header=BB6_130 Depth=2
	v_cmp_ne_u16_sdwa s40, v17, v84 src0_sel:BYTE_1 src1_sel:DWORD
	v_mov_b32_e32 v119, 0
	s_andn2_b32 s13, s13, exec_lo
	s_and_b32 s40, s40, exec_lo
	s_or_b32 s13, s13, s40
	s_or_b32 exec_lo, exec_lo, s29
	s_and_saveexec_b32 s29, s13
	s_cbranch_execnz .LBB6_2346
	s_branch .LBB6_2347
.LBB6_2926:                             ;   in Loop: Header=BB6_130 Depth=2
	s_or_saveexec_b32 s29, s29
	v_mov_b32_e32 v2, 0x7f800001
	s_xor_b32 exec_lo, exec_lo, s29
	s_cbranch_execz .LBB6_2351
.LBB6_2927:                             ;   in Loop: Header=BB6_130 Depth=2
	v_cmp_ne_u16_sdwa s40, v13, v84 src0_sel:BYTE_1 src1_sel:DWORD
	v_mov_b32_e32 v2, 0
	s_andn2_b32 s13, s13, exec_lo
	s_and_b32 s40, s40, exec_lo
	s_or_b32 s13, s13, s40
	s_or_b32 exec_lo, exec_lo, s29
	s_and_saveexec_b32 s29, s13
	s_cbranch_execnz .LBB6_2352
	s_branch .LBB6_2353
.LBB6_2928:                             ;   in Loop: Header=BB6_130 Depth=2
	s_or_saveexec_b32 s13, s13
	v_mov_b32_e32 v40, 0x7f800001
	s_xor_b32 exec_lo, exec_lo, s13
	s_cbranch_execz .LBB6_2367
.LBB6_2929:                             ;   in Loop: Header=BB6_130 Depth=2
	v_cmp_ne_u16_e32 vcc_lo, 0, v119
	v_mov_b32_e32 v40, 0
	s_andn2_b32 s29, s29, exec_lo
	s_and_b32 s40, vcc_lo, exec_lo
	s_or_b32 s29, s29, s40
	s_or_b32 exec_lo, exec_lo, s13
	s_and_saveexec_b32 s13, s29
	s_cbranch_execnz .LBB6_2368
	s_branch .LBB6_2369
.LBB6_2930:                             ;   in Loop: Header=BB6_130 Depth=2
	s_or_saveexec_b32 s13, s13
	v_mov_b32_e32 v2, 0x7f800001
	s_xor_b32 exec_lo, exec_lo, s13
	s_cbranch_execz .LBB6_2373
.LBB6_2931:                             ;   in Loop: Header=BB6_130 Depth=2
	v_cmp_ne_u16_e32 vcc_lo, 0, v3
	v_mov_b32_e32 v2, 0
	s_andn2_b32 s29, s29, exec_lo
	s_and_b32 s40, vcc_lo, exec_lo
	s_or_b32 s29, s29, s40
	s_or_b32 exec_lo, exec_lo, s13
	s_and_saveexec_b32 s13, s29
	s_cbranch_execnz .LBB6_2374
	s_branch .LBB6_2375
.LBB6_2932:                             ;   in Loop: Header=BB6_130 Depth=2
	s_or_saveexec_b32 s13, s13
	v_mov_b32_e32 v40, 0x7f800001
	s_xor_b32 exec_lo, exec_lo, s13
	s_cbranch_execz .LBB6_2381
.LBB6_2933:                             ;   in Loop: Header=BB6_130 Depth=2
	v_cmp_ne_u16_e32 vcc_lo, 0, v119
	v_mov_b32_e32 v40, 0
	s_andn2_b32 s29, s29, exec_lo
	s_and_b32 s40, vcc_lo, exec_lo
	s_or_b32 s29, s29, s40
	s_or_b32 exec_lo, exec_lo, s13
	s_and_saveexec_b32 s13, s29
	s_cbranch_execnz .LBB6_2382
	s_branch .LBB6_2383
.LBB6_2934:                             ;   in Loop: Header=BB6_130 Depth=2
	s_or_saveexec_b32 s13, s13
	v_mov_b32_e32 v2, 0x7f800001
	s_xor_b32 exec_lo, exec_lo, s13
	s_cbranch_execz .LBB6_2387
.LBB6_2935:                             ;   in Loop: Header=BB6_130 Depth=2
	v_cmp_ne_u16_e32 vcc_lo, 0, v3
	v_mov_b32_e32 v2, 0
	s_andn2_b32 s29, s29, exec_lo
	s_and_b32 s40, vcc_lo, exec_lo
	s_or_b32 s29, s29, s40
	s_or_b32 exec_lo, exec_lo, s13
	s_and_saveexec_b32 s13, s29
	s_cbranch_execnz .LBB6_2388
	s_branch .LBB6_2389
.LBB6_2936:                             ;   in Loop: Header=BB6_130 Depth=2
	s_or_saveexec_b32 s29, s29
	v_mov_b32_e32 v40, 0x7f800001
	s_xor_b32 exec_lo, exec_lo, s29
	s_cbranch_execz .LBB6_2403
.LBB6_2937:                             ;   in Loop: Header=BB6_130 Depth=2
	v_cmp_ne_u16_sdwa s40, v17, v84 src0_sel:BYTE_3 src1_sel:DWORD
	v_mov_b32_e32 v40, 0
	s_andn2_b32 s13, s13, exec_lo
	s_and_b32 s40, s40, exec_lo
	s_or_b32 s13, s13, s40
	s_or_b32 exec_lo, exec_lo, s29
	s_and_saveexec_b32 s29, s13
	s_cbranch_execnz .LBB6_2404
	s_branch .LBB6_2405
.LBB6_2938:                             ;   in Loop: Header=BB6_130 Depth=2
	s_or_saveexec_b32 s29, s29
	v_mov_b32_e32 v2, 0x7f800001
	s_xor_b32 exec_lo, exec_lo, s29
	s_cbranch_execz .LBB6_2409
.LBB6_2939:                             ;   in Loop: Header=BB6_130 Depth=2
	v_cmp_ne_u16_sdwa s40, v13, v84 src0_sel:BYTE_3 src1_sel:DWORD
	v_mov_b32_e32 v2, 0
	s_andn2_b32 s13, s13, exec_lo
	s_and_b32 s40, s40, exec_lo
	s_or_b32 s13, s13, s40
	s_or_b32 exec_lo, exec_lo, s29
	s_and_saveexec_b32 s29, s13
	s_cbranch_execnz .LBB6_2410
	s_branch .LBB6_2411
.LBB6_2940:                             ;   in Loop: Header=BB6_130 Depth=2
	s_or_saveexec_b32 s29, s29
	v_mov_b32_e32 v40, 0x7f800001
	s_xor_b32 exec_lo, exec_lo, s29
	s_cbranch_execz .LBB6_2417
.LBB6_2941:                             ;   in Loop: Header=BB6_130 Depth=2
	v_cmp_ne_u16_sdwa s40, v17, v84 src0_sel:BYTE_3 src1_sel:DWORD
	v_mov_b32_e32 v40, 0
	s_andn2_b32 s13, s13, exec_lo
	s_and_b32 s40, s40, exec_lo
	s_or_b32 s13, s13, s40
	s_or_b32 exec_lo, exec_lo, s29
	s_and_saveexec_b32 s29, s13
	s_cbranch_execnz .LBB6_2418
	s_branch .LBB6_2419
.LBB6_2942:                             ;   in Loop: Header=BB6_130 Depth=2
	s_or_saveexec_b32 s29, s29
	v_mov_b32_e32 v2, 0x7f800001
	s_xor_b32 exec_lo, exec_lo, s29
	s_cbranch_execz .LBB6_2423
.LBB6_2943:                             ;   in Loop: Header=BB6_130 Depth=2
	v_cmp_ne_u16_sdwa s40, v13, v84 src0_sel:BYTE_3 src1_sel:DWORD
	v_mov_b32_e32 v2, 0
	s_andn2_b32 s13, s13, exec_lo
	s_and_b32 s40, s40, exec_lo
	s_or_b32 s13, s13, s40
	s_or_b32 exec_lo, exec_lo, s29
	s_and_saveexec_b32 s29, s13
	s_cbranch_execnz .LBB6_2424
	s_branch .LBB6_2425
.LBB6_2944:                             ;   in Loop: Header=BB6_49 Depth=1
	s_or_b32 exec_lo, exec_lo, s27
	v_ashrrev_i32_e32 v102, 31, v118
.LBB6_2945:                             ;   in Loop: Header=BB6_49 Depth=1
	s_or_b32 exec_lo, exec_lo, s14
	v_and_b32_e32 v10, 0x3ffff800, v85
	v_mov_b32_e32 v16, 0
	s_mov_b32 s13, 0
	s_mov_b32 s27, exec_lo
                                        ; implicit-def: $vgpr17
                                        ; implicit-def: $vgpr18
	v_cmpx_ne_u32_e64 v85, v10
	s_cbranch_execz .LBB6_3655
; %bb.2946:                             ;   in Loop: Header=BB6_49 Depth=1
	v_lshlrev_b32_e32 v2, 5, v62
	v_and_b32_e32 v3, 31, v0
	v_and_b32_e32 v25, 0x1ff, v85
	v_bfe_u32 v12, v85, 9, 2
	s_mov_b32 s28, exec_lo
	v_sub_nc_u32_e32 v2, v3, v2
	v_cmp_lt_u32_e64 s13, 15, v25
	v_ashrrev_i32_e32 v3, 31, v2
	v_add_co_ci_u32_e64 v12, null, 0, v12, s13
	v_lshrrev_b32_e32 v3, 27, v3
	v_add_nc_u32_e32 v3, v2, v3
	v_and_b32_e32 v11, 0xffffffe0, v3
	v_ashrrev_i32_e32 v3, 5, v3
	v_sub_nc_u32_e32 v24, v2, v11
	v_and_b32_e32 v11, 0x7ff, v85
	v_sub_nc_u32_e32 v26, v12, v3
	v_lshlrev_b32_e32 v2, 4, v24
	v_lshl_add_u32 v2, v3, 9, v2
	v_sub_nc_u32_e32 v27, v11, v2
	v_cmpx_lt_i32_e32 15, v27
	s_cbranch_execz .LBB6_3654
; %bb.2947:                             ;   in Loop: Header=BB6_49 Depth=1
	s_trap 2
	ds_read_b64 v[11:12], v0
	v_add_nc_u32_e32 v2, v2, v10
	s_bitcmp1_b32 s26, 0
	s_mov_b32 s29, 0
	s_cselect_b32 s40, -1, 0
	v_ashrrev_i32_e32 v3, 31, v2
	v_add_co_u32 v18, vcc_lo, v2, v98
	v_add_co_ci_u32_e64 v19, null, v3, v99, vcc_lo
	s_waitcnt lgkmcnt(0)
	v_add_co_u32 v20, vcc_lo, v11, v2
	v_add_co_ci_u32_e64 v21, null, v12, v3, vcc_lo
	v_add_co_u32 v22, vcc_lo, v2, v100
	v_add_co_ci_u32_e64 v23, null, v3, v101, vcc_lo
	s_branch .LBB6_2951
.LBB6_2948:                             ;   in Loop: Header=BB6_2951 Depth=2
	s_or_b32 exec_lo, exec_lo, s14
	v_lshrrev_b32_e32 v2, 21, v12
	v_min_i32_e32 v3, 31, v11
	v_cmp_gt_i32_e32 vcc_lo, 32, v11
	v_and_b32_sdwa v10, v10, v58 dst_sel:DWORD dst_unused:UNUSED_PAD src0_sel:BYTE_3 src1_sel:DWORD
	v_lshlrev_b32_e32 v3, 2, v3
	v_cndmask_b32_e32 v2, 3, v2, vcc_lo
	v_and_b32_e32 v3, 0xfc, v3
	v_and_b32_e32 v12, 3, v2
	v_or_b32_e32 v2, v11, v2
	v_or3_b32 v3, v10, v3, v12
	v_cmp_ne_u32_e32 vcc_lo, 0, v2
	v_lshlrev_b32_e32 v3, 8, v3
	v_cndmask_b32_e32 v2, 0, v3, vcc_lo
.LBB6_2949:                             ;   in Loop: Header=BB6_2951 Depth=2
	s_or_b32 exec_lo, exec_lo, s42
.LBB6_2950:                             ;   in Loop: Header=BB6_2951 Depth=2
	s_or_b32 exec_lo, exec_lo, s41
	v_or_b32_sdwa v3, v15, v35 dst_sel:WORD_1 dst_unused:UNUSED_PAD src0_sel:DWORD src1_sel:DWORD
	v_or_b32_sdwa v10, v14, v32 dst_sel:WORD_1 dst_unused:UNUSED_PAD src0_sel:DWORD src1_sel:DWORD
	;; [unrolled: 1-line block ×4, first 2 shown]
	v_sub_nc_u32_e32 v27, v27, v44
	v_or3_b32 v11, v34, v33, v3
	v_or3_b32 v10, v29, v28, v10
	v_or3_b32 v12, v37, v36, v12
	v_or3_b32 v13, v48, v39, v2
	v_add_co_u32 v18, vcc_lo, v18, v44
	v_add_co_ci_u32_e64 v19, null, 0, v19, vcc_lo
	v_add_co_u32 v20, vcc_lo, v20, v44
	global_store_dwordx4 v[22:23], v[10:13], off glc slc
	v_add_co_ci_u32_e64 v21, null, 0, v21, vcc_lo
	v_cmp_gt_i32_e32 vcc_lo, 16, v27
	v_add_co_u32 v22, s14, v22, v44
	v_add_co_ci_u32_e64 v23, null, 0, v23, s14
	v_sub_nc_u32_e32 v26, v26, v41
	s_or_b32 s29, vcc_lo, s29
	s_andn2_b32 exec_lo, exec_lo, s29
	s_cbranch_execz .LBB6_3653
.LBB6_2951:                             ;   Parent Loop BB6_49 Depth=1
                                        ; =>  This Inner Loop Header: Depth=2
	global_load_dwordx4 v[10:13], v[20:21], off slc
	global_load_dwordx4 v[14:17], v[18:19], off slc
	s_mov_b32 s14, -1
	s_waitcnt vmcnt(1)
	v_and_b32_e32 v2, 3, v10
	v_bfe_u32 v29, v10, 2, 5
	v_lshlrev_b32_e32 v30, 24, v10
	s_waitcnt vmcnt(0)
	v_cmp_gt_i16_sdwa s41, v14, v57 src0_sel:BYTE_0 src1_sel:DWORD
	v_ffbh_u32_e32 v3, v2
	v_cmp_eq_u32_e32 vcc_lo, 0, v29
	v_min_u32_e32 v3, 32, v3
	v_subrev_nc_u32_e32 v28, 29, v3
	v_sub_nc_u32_e32 v3, 30, v3
	v_lshlrev_b32_e32 v28, v28, v10
	v_cndmask_b32_e32 v3, v29, v3, vcc_lo
                                        ; implicit-def: $vgpr29
	v_and_b32_e32 v28, 3, v28
	v_lshl_add_u32 v3, v3, 23, 0x37800000
	v_cndmask_b32_e32 v2, v2, v28, vcc_lo
	v_and_b32_e32 v28, 0x80000000, v30
	s_and_b32 vcc_lo, exec_lo, s40
	v_lshlrev_b32_e32 v2, 21, v2
	v_or3_b32 v28, v28, v3, v2
	s_cbranch_vccz .LBB6_2965
; %bb.2952:                             ;   in Loop: Header=BB6_2951 Depth=2
	s_mov_b32 s14, 0
	s_and_saveexec_b32 s42, s41
	s_xor_b32 s41, exec_lo, s42
	s_cbranch_execz .LBB6_3525
; %bb.2953:                             ;   in Loop: Header=BB6_2951 Depth=2
	v_cmp_eq_u16_sdwa s43, v14, v58 src0_sel:BYTE_0 src1_sel:DWORD
	s_mov_b32 s14, -1
	s_and_saveexec_b32 s42, s43
; %bb.2954:                             ;   in Loop: Header=BB6_2951 Depth=2
	s_xor_b32 s14, exec_lo, -1
; %bb.2955:                             ;   in Loop: Header=BB6_2951 Depth=2
	s_or_b32 exec_lo, exec_lo, s42
	s_and_b32 s14, s14, exec_lo
	s_or_saveexec_b32 s41, s41
	v_mov_b32_e32 v29, 0x7f800001
	s_xor_b32 exec_lo, exec_lo, s41
	s_cbranch_execnz .LBB6_3526
.LBB6_2956:                             ;   in Loop: Header=BB6_2951 Depth=2
	s_or_b32 exec_lo, exec_lo, s41
	s_and_saveexec_b32 s41, s14
	s_cbranch_execz .LBB6_2958
.LBB6_2957:                             ;   in Loop: Header=BB6_2951 Depth=2
	v_and_b32_e32 v2, 3, v14
	v_bfe_u32 v30, v14, 2, 5
	v_lshlrev_b32_e32 v32, 24, v14
	v_ffbh_u32_e32 v3, v2
	v_cmp_eq_u32_e32 vcc_lo, 0, v30
	v_min_u32_e32 v3, 32, v3
	v_subrev_nc_u32_e32 v29, 29, v3
	v_sub_nc_u32_e32 v3, 30, v3
	v_lshlrev_b32_e32 v29, v29, v14
	v_cndmask_b32_e32 v3, v30, v3, vcc_lo
	v_and_b32_e32 v29, 3, v29
	v_lshl_add_u32 v3, v3, 23, 0x37800000
	v_cndmask_b32_e32 v2, v2, v29, vcc_lo
	v_and_b32_e32 v29, 0x80000000, v32
	v_lshlrev_b32_e32 v2, 21, v2
	v_or3_b32 v29, v29, v3, v2
.LBB6_2958:                             ;   in Loop: Header=BB6_2951 Depth=2
	s_or_b32 exec_lo, exec_lo, s41
	v_cmp_gt_i16_sdwa s41, v10, v57 src0_sel:BYTE_0 src1_sel:DWORD
	s_mov_b32 s14, 0
	s_and_saveexec_b32 s42, s41
	s_xor_b32 s41, exec_lo, s42
	s_cbranch_execz .LBB6_3527
; %bb.2959:                             ;   in Loop: Header=BB6_2951 Depth=2
	v_cmp_eq_u16_sdwa s43, v10, v58 src0_sel:BYTE_0 src1_sel:DWORD
	s_mov_b32 s14, -1
	s_and_saveexec_b32 s42, s43
; %bb.2960:                             ;   in Loop: Header=BB6_2951 Depth=2
	s_xor_b32 s14, exec_lo, -1
; %bb.2961:                             ;   in Loop: Header=BB6_2951 Depth=2
	s_or_b32 exec_lo, exec_lo, s42
	s_and_b32 s14, s14, exec_lo
	s_or_saveexec_b32 s41, s41
	v_mov_b32_e32 v2, 0x7f800001
	s_xor_b32 exec_lo, exec_lo, s41
	s_cbranch_execnz .LBB6_3528
.LBB6_2962:                             ;   in Loop: Header=BB6_2951 Depth=2
	s_or_b32 exec_lo, exec_lo, s41
	s_and_saveexec_b32 s41, s14
.LBB6_2963:                             ;   in Loop: Header=BB6_2951 Depth=2
	v_mov_b32_e32 v2, v28
.LBB6_2964:                             ;   in Loop: Header=BB6_2951 Depth=2
	s_or_b32 exec_lo, exec_lo, s41
	v_max_f32_e32 v2, v2, v2
	v_max_f32_e32 v3, v29, v29
	s_mov_b32 s14, 0
	v_max_f32_e32 v29, v3, v2
.LBB6_2965:                             ;   in Loop: Header=BB6_2951 Depth=2
	s_and_b32 vcc_lo, exec_lo, s14
	s_cbranch_vccz .LBB6_2979
; %bb.2966:                             ;   in Loop: Header=BB6_2951 Depth=2
	v_cmp_gt_i16_sdwa s41, v14, v57 src0_sel:BYTE_0 src1_sel:DWORD
	s_mov_b32 s14, 0
	s_and_saveexec_b32 s42, s41
	s_xor_b32 s41, exec_lo, s42
	s_cbranch_execz .LBB6_3529
; %bb.2967:                             ;   in Loop: Header=BB6_2951 Depth=2
	v_cmp_eq_u16_sdwa s43, v14, v58 src0_sel:BYTE_0 src1_sel:DWORD
	s_mov_b32 s14, -1
	s_and_saveexec_b32 s42, s43
; %bb.2968:                             ;   in Loop: Header=BB6_2951 Depth=2
	s_xor_b32 s14, exec_lo, -1
; %bb.2969:                             ;   in Loop: Header=BB6_2951 Depth=2
	s_or_b32 exec_lo, exec_lo, s42
	s_and_b32 s14, s14, exec_lo
	s_or_saveexec_b32 s41, s41
	v_mov_b32_e32 v29, 0x7f800001
	s_xor_b32 exec_lo, exec_lo, s41
	s_cbranch_execnz .LBB6_3530
.LBB6_2970:                             ;   in Loop: Header=BB6_2951 Depth=2
	s_or_b32 exec_lo, exec_lo, s41
	s_and_saveexec_b32 s41, s14
	s_cbranch_execz .LBB6_2972
.LBB6_2971:                             ;   in Loop: Header=BB6_2951 Depth=2
	v_and_b32_e32 v2, 3, v14
	v_bfe_u32 v30, v14, 2, 5
	v_lshlrev_b32_e32 v32, 24, v14
	v_ffbh_u32_e32 v3, v2
	v_cmp_eq_u32_e32 vcc_lo, 0, v30
	v_min_u32_e32 v3, 32, v3
	v_subrev_nc_u32_e32 v29, 29, v3
	v_sub_nc_u32_e32 v3, 30, v3
	v_lshlrev_b32_e32 v29, v29, v14
	v_cndmask_b32_e32 v3, v30, v3, vcc_lo
	v_and_b32_e32 v29, 3, v29
	v_lshl_add_u32 v3, v3, 23, 0x37800000
	v_cndmask_b32_e32 v2, v2, v29, vcc_lo
	v_and_b32_e32 v29, 0x80000000, v32
	v_lshlrev_b32_e32 v2, 21, v2
	v_or3_b32 v29, v29, v3, v2
.LBB6_2972:                             ;   in Loop: Header=BB6_2951 Depth=2
	s_or_b32 exec_lo, exec_lo, s41
	v_cmp_gt_i16_sdwa s41, v10, v57 src0_sel:BYTE_0 src1_sel:DWORD
	s_mov_b32 s14, 0
	s_and_saveexec_b32 s42, s41
	s_xor_b32 s41, exec_lo, s42
	s_cbranch_execz .LBB6_3531
; %bb.2973:                             ;   in Loop: Header=BB6_2951 Depth=2
	v_cmp_eq_u16_sdwa s43, v10, v58 src0_sel:BYTE_0 src1_sel:DWORD
	s_mov_b32 s14, -1
	s_and_saveexec_b32 s42, s43
; %bb.2974:                             ;   in Loop: Header=BB6_2951 Depth=2
	s_xor_b32 s14, exec_lo, -1
; %bb.2975:                             ;   in Loop: Header=BB6_2951 Depth=2
	s_or_b32 exec_lo, exec_lo, s42
	s_and_b32 s14, s14, exec_lo
	s_or_saveexec_b32 s41, s41
	v_mov_b32_e32 v2, 0x7f800001
	s_xor_b32 exec_lo, exec_lo, s41
	s_cbranch_execnz .LBB6_3532
.LBB6_2976:                             ;   in Loop: Header=BB6_2951 Depth=2
	s_or_b32 exec_lo, exec_lo, s41
	s_and_saveexec_b32 s41, s14
.LBB6_2977:                             ;   in Loop: Header=BB6_2951 Depth=2
	v_mov_b32_e32 v2, v28
.LBB6_2978:                             ;   in Loop: Header=BB6_2951 Depth=2
	s_or_b32 exec_lo, exec_lo, s41
	v_max_f32_e32 v2, v2, v2
	v_max_f32_e32 v3, v29, v29
	v_min_f32_e32 v29, v3, v2
.LBB6_2979:                             ;   in Loop: Header=BB6_2951 Depth=2
	v_and_b32_e32 v2, 0x7f800000, v29
	v_mov_b32_e32 v28, 0x80
	s_mov_b32 s41, exec_lo
	v_cmpx_ne_u32_e32 0x7f800000, v2
	s_cbranch_execz .LBB6_2987
; %bb.2980:                             ;   in Loop: Header=BB6_2951 Depth=2
	v_mov_b32_e32 v28, 0
	s_mov_b32 s42, exec_lo
	v_cmpx_ne_u32_e32 0, v29
	s_cbranch_execz .LBB6_2986
; %bb.2981:                             ;   in Loop: Header=BB6_2951 Depth=2
	v_bfe_u32 v2, v29, 23, 8
	v_and_b32_e32 v3, 0x7fffff, v29
	v_sub_nc_u32_e32 v28, 0x70, v2
	v_cmp_gt_u32_e32 vcc_lo, 0x71, v2
	v_or_b32_e32 v30, 0x800000, v3
	v_cndmask_b32_e32 v28, 0, v28, vcc_lo
	v_cmp_eq_u32_e32 vcc_lo, 0, v2
	v_add_nc_u32_e32 v2, 0xffffff91, v2
	v_cndmask_b32_e64 v28, v28, 0x6f, vcc_lo
	v_cndmask_b32_e32 v3, v30, v3, vcc_lo
	v_cndmask_b32_e64 v2, v2, 0xffffff92, vcc_lo
	v_lshl_add_u32 v32, 0x200000, v28, -1
	v_lshrrev_b32_e32 v30, v28, v3
	v_lshlrev_b32_e64 v34, v28, 0x100000
	v_add_nc_u32_e32 v2, v28, v2
	v_and_b32_e32 v3, v32, v3
	v_bfe_u32 v33, v30, 21, 1
	v_cmp_eq_u32_e64 s14, v3, v34
	v_add_nc_u32_e32 v32, -1, v33
	v_cndmask_b32_e64 v3, 0, v32, s14
	v_lshrrev_b32_e32 v32, 23, v30
	s_mov_b32 s14, exec_lo
	v_add_nc_u32_e32 v3, v3, v30
	v_and_b32_e32 v28, 0x1fffff, v3
	v_xor_b32_e32 v3, 1, v32
	v_add_nc_u32_e32 v30, v28, v30
                                        ; implicit-def: $vgpr28
	v_cmpx_ne_u32_e64 v2, v3
	s_xor_b32 s14, exec_lo, s14
; %bb.2982:                             ;   in Loop: Header=BB6_2951 Depth=2
	v_cmp_lt_u32_e32 vcc_lo, 0xffffff, v30
	v_sub_nc_u32_e32 v2, v2, v3
	v_cndmask_b32_e64 v3, 0, 1, vcc_lo
	v_add_co_ci_u32_e64 v28, null, 0, v2, vcc_lo
	v_lshrrev_b32_e32 v30, v3, v30
; %bb.2983:                             ;   in Loop: Header=BB6_2951 Depth=2
	s_andn2_saveexec_b32 s14, s14
; %bb.2984:                             ;   in Loop: Header=BB6_2951 Depth=2
	v_bfe_u32 v28, v30, 23, 1
; %bb.2985:                             ;   in Loop: Header=BB6_2951 Depth=2
	s_or_b32 exec_lo, exec_lo, s14
	v_lshrrev_b32_e32 v2, 21, v30
	v_min_i32_e32 v3, 31, v28
	v_cmp_gt_i32_e32 vcc_lo, 32, v28
	v_and_b32_sdwa v29, v29, v58 dst_sel:DWORD dst_unused:UNUSED_PAD src0_sel:BYTE_3 src1_sel:DWORD
	v_lshlrev_b32_e32 v3, 2, v3
	v_cndmask_b32_e32 v2, 3, v2, vcc_lo
	v_and_b32_e32 v3, 0xfc, v3
	v_and_b32_e32 v30, 3, v2
	v_or_b32_e32 v2, v28, v2
	v_or3_b32 v3, v3, v29, v30
	v_cmp_ne_u32_e32 vcc_lo, 0, v2
	v_cndmask_b32_e32 v28, 0, v3, vcc_lo
.LBB6_2986:                             ;   in Loop: Header=BB6_2951 Depth=2
	s_or_b32 exec_lo, exec_lo, s42
.LBB6_2987:                             ;   in Loop: Header=BB6_2951 Depth=2
	s_or_b32 exec_lo, exec_lo, s41
	v_and_b32_sdwa v2, v59, v10 dst_sel:DWORD dst_unused:UNUSED_PAD src0_sel:DWORD src1_sel:BYTE_1
	v_cmp_gt_i16_sdwa s41, v14, v57 src0_sel:BYTE_1 src1_sel:DWORD
	s_mov_b32 s14, -1
	v_and_b32_e32 v3, 3, v2
	v_bfe_u32 v32, v2, 2, 5
	v_ffbh_u32_e32 v29, v3
	v_cmp_eq_u32_e32 vcc_lo, 0, v32
	v_min_u32_e32 v29, 32, v29
	v_subrev_nc_u32_e32 v30, 29, v29
	v_sub_nc_u32_e32 v29, 30, v29
	v_lshlrev_b32_e32 v2, v30, v2
	v_lshlrev_b32_sdwa v30, v61, v10 dst_sel:DWORD dst_unused:UNUSED_PAD src0_sel:DWORD src1_sel:BYTE_1
	v_cndmask_b32_e32 v29, v32, v29, vcc_lo
                                        ; implicit-def: $vgpr32
	v_and_b32_e32 v2, 3, v2
	v_lshl_add_u32 v29, v29, 23, 0x37800000
	v_cndmask_b32_e32 v2, v3, v2, vcc_lo
	v_and_b32_e32 v3, 0x80000000, v30
	s_and_b32 vcc_lo, exec_lo, s40
	v_lshlrev_b32_e32 v2, 21, v2
	v_or3_b32 v29, v3, v29, v2
	s_cbranch_vccz .LBB6_3001
; %bb.2988:                             ;   in Loop: Header=BB6_2951 Depth=2
	s_mov_b32 s14, 0
	s_and_saveexec_b32 s42, s41
	s_xor_b32 s41, exec_lo, s42
	s_cbranch_execz .LBB6_3533
; %bb.2989:                             ;   in Loop: Header=BB6_2951 Depth=2
	v_cmp_eq_u16_sdwa s43, v14, v58 src0_sel:BYTE_1 src1_sel:DWORD
	s_mov_b32 s14, -1
	s_and_saveexec_b32 s42, s43
; %bb.2990:                             ;   in Loop: Header=BB6_2951 Depth=2
	s_xor_b32 s14, exec_lo, -1
; %bb.2991:                             ;   in Loop: Header=BB6_2951 Depth=2
	s_or_b32 exec_lo, exec_lo, s42
	s_and_b32 s14, s14, exec_lo
	s_or_saveexec_b32 s41, s41
	v_mov_b32_e32 v32, 0x7f800001
	s_xor_b32 exec_lo, exec_lo, s41
	s_cbranch_execnz .LBB6_3534
.LBB6_2992:                             ;   in Loop: Header=BB6_2951 Depth=2
	s_or_b32 exec_lo, exec_lo, s41
	s_and_saveexec_b32 s41, s14
	s_cbranch_execz .LBB6_2994
.LBB6_2993:                             ;   in Loop: Header=BB6_2951 Depth=2
	v_and_b32_sdwa v2, v59, v14 dst_sel:DWORD dst_unused:UNUSED_PAD src0_sel:DWORD src1_sel:BYTE_1
	v_and_b32_e32 v3, 3, v2
	v_bfe_u32 v33, v2, 2, 5
	v_ffbh_u32_e32 v30, v3
	v_cmp_eq_u32_e32 vcc_lo, 0, v33
	v_min_u32_e32 v30, 32, v30
	v_subrev_nc_u32_e32 v32, 29, v30
	v_sub_nc_u32_e32 v30, 30, v30
	v_lshlrev_b32_e32 v2, v32, v2
	v_lshlrev_b32_e32 v32, 16, v14
	v_cndmask_b32_e32 v30, v33, v30, vcc_lo
	v_and_b32_e32 v2, 3, v2
	v_lshl_add_u32 v30, v30, 23, 0x37800000
	v_cndmask_b32_e32 v2, v3, v2, vcc_lo
	v_and_b32_e32 v3, 0x80000000, v32
	v_lshlrev_b32_e32 v2, 21, v2
	v_or3_b32 v32, v3, v30, v2
.LBB6_2994:                             ;   in Loop: Header=BB6_2951 Depth=2
	s_or_b32 exec_lo, exec_lo, s41
	v_cmp_gt_i16_sdwa s41, v10, v57 src0_sel:BYTE_1 src1_sel:DWORD
	s_mov_b32 s14, 0
	s_and_saveexec_b32 s42, s41
	s_xor_b32 s41, exec_lo, s42
	s_cbranch_execz .LBB6_3535
; %bb.2995:                             ;   in Loop: Header=BB6_2951 Depth=2
	v_cmp_eq_u16_sdwa s43, v10, v58 src0_sel:BYTE_1 src1_sel:DWORD
	s_mov_b32 s14, -1
	s_and_saveexec_b32 s42, s43
; %bb.2996:                             ;   in Loop: Header=BB6_2951 Depth=2
	s_xor_b32 s14, exec_lo, -1
; %bb.2997:                             ;   in Loop: Header=BB6_2951 Depth=2
	s_or_b32 exec_lo, exec_lo, s42
	s_and_b32 s14, s14, exec_lo
	s_or_saveexec_b32 s41, s41
	v_mov_b32_e32 v2, 0x7f800001
	s_xor_b32 exec_lo, exec_lo, s41
	s_cbranch_execnz .LBB6_3536
.LBB6_2998:                             ;   in Loop: Header=BB6_2951 Depth=2
	s_or_b32 exec_lo, exec_lo, s41
	s_and_saveexec_b32 s41, s14
.LBB6_2999:                             ;   in Loop: Header=BB6_2951 Depth=2
	v_mov_b32_e32 v2, v29
.LBB6_3000:                             ;   in Loop: Header=BB6_2951 Depth=2
	s_or_b32 exec_lo, exec_lo, s41
	v_max_f32_e32 v2, v2, v2
	v_max_f32_e32 v3, v32, v32
	s_mov_b32 s14, 0
	v_max_f32_e32 v32, v3, v2
.LBB6_3001:                             ;   in Loop: Header=BB6_2951 Depth=2
	s_and_b32 vcc_lo, exec_lo, s14
	s_cbranch_vccz .LBB6_3015
; %bb.3002:                             ;   in Loop: Header=BB6_2951 Depth=2
	v_cmp_gt_i16_sdwa s41, v14, v57 src0_sel:BYTE_1 src1_sel:DWORD
	s_mov_b32 s14, 0
	s_and_saveexec_b32 s42, s41
	s_xor_b32 s41, exec_lo, s42
	s_cbranch_execz .LBB6_3537
; %bb.3003:                             ;   in Loop: Header=BB6_2951 Depth=2
	v_cmp_eq_u16_sdwa s43, v14, v58 src0_sel:BYTE_1 src1_sel:DWORD
	s_mov_b32 s14, -1
	s_and_saveexec_b32 s42, s43
; %bb.3004:                             ;   in Loop: Header=BB6_2951 Depth=2
	s_xor_b32 s14, exec_lo, -1
; %bb.3005:                             ;   in Loop: Header=BB6_2951 Depth=2
	s_or_b32 exec_lo, exec_lo, s42
	s_and_b32 s14, s14, exec_lo
	s_or_saveexec_b32 s41, s41
	v_mov_b32_e32 v32, 0x7f800001
	s_xor_b32 exec_lo, exec_lo, s41
	s_cbranch_execnz .LBB6_3538
.LBB6_3006:                             ;   in Loop: Header=BB6_2951 Depth=2
	s_or_b32 exec_lo, exec_lo, s41
	s_and_saveexec_b32 s41, s14
	s_cbranch_execz .LBB6_3008
.LBB6_3007:                             ;   in Loop: Header=BB6_2951 Depth=2
	v_and_b32_sdwa v2, v59, v14 dst_sel:DWORD dst_unused:UNUSED_PAD src0_sel:DWORD src1_sel:BYTE_1
	v_and_b32_e32 v3, 3, v2
	v_bfe_u32 v33, v2, 2, 5
	v_ffbh_u32_e32 v30, v3
	v_cmp_eq_u32_e32 vcc_lo, 0, v33
	v_min_u32_e32 v30, 32, v30
	v_subrev_nc_u32_e32 v32, 29, v30
	v_sub_nc_u32_e32 v30, 30, v30
	v_lshlrev_b32_e32 v2, v32, v2
	v_lshlrev_b32_e32 v32, 16, v14
	v_cndmask_b32_e32 v30, v33, v30, vcc_lo
	v_and_b32_e32 v2, 3, v2
	v_lshl_add_u32 v30, v30, 23, 0x37800000
	v_cndmask_b32_e32 v2, v3, v2, vcc_lo
	v_and_b32_e32 v3, 0x80000000, v32
	v_lshlrev_b32_e32 v2, 21, v2
	v_or3_b32 v32, v3, v30, v2
.LBB6_3008:                             ;   in Loop: Header=BB6_2951 Depth=2
	s_or_b32 exec_lo, exec_lo, s41
	v_cmp_gt_i16_sdwa s41, v10, v57 src0_sel:BYTE_1 src1_sel:DWORD
	s_mov_b32 s14, 0
	s_and_saveexec_b32 s42, s41
	s_xor_b32 s41, exec_lo, s42
	s_cbranch_execz .LBB6_3539
; %bb.3009:                             ;   in Loop: Header=BB6_2951 Depth=2
	v_cmp_eq_u16_sdwa s43, v10, v58 src0_sel:BYTE_1 src1_sel:DWORD
	s_mov_b32 s14, -1
	s_and_saveexec_b32 s42, s43
; %bb.3010:                             ;   in Loop: Header=BB6_2951 Depth=2
	s_xor_b32 s14, exec_lo, -1
; %bb.3011:                             ;   in Loop: Header=BB6_2951 Depth=2
	s_or_b32 exec_lo, exec_lo, s42
	s_and_b32 s14, s14, exec_lo
	s_or_saveexec_b32 s41, s41
	v_mov_b32_e32 v2, 0x7f800001
	s_xor_b32 exec_lo, exec_lo, s41
	s_cbranch_execnz .LBB6_3540
.LBB6_3012:                             ;   in Loop: Header=BB6_2951 Depth=2
	s_or_b32 exec_lo, exec_lo, s41
	s_and_saveexec_b32 s41, s14
.LBB6_3013:                             ;   in Loop: Header=BB6_2951 Depth=2
	v_mov_b32_e32 v2, v29
.LBB6_3014:                             ;   in Loop: Header=BB6_2951 Depth=2
	s_or_b32 exec_lo, exec_lo, s41
	v_max_f32_e32 v2, v2, v2
	v_max_f32_e32 v3, v32, v32
	v_min_f32_e32 v32, v3, v2
.LBB6_3015:                             ;   in Loop: Header=BB6_2951 Depth=2
	v_and_b32_e32 v2, 0x7f800000, v32
	v_mov_b32_e32 v29, 0x8000
	s_mov_b32 s41, exec_lo
	v_cmpx_ne_u32_e32 0x7f800000, v2
	s_cbranch_execz .LBB6_3023
; %bb.3016:                             ;   in Loop: Header=BB6_2951 Depth=2
	v_mov_b32_e32 v29, 0
	s_mov_b32 s42, exec_lo
	v_cmpx_ne_u32_e32 0, v32
	s_cbranch_execz .LBB6_3022
; %bb.3017:                             ;   in Loop: Header=BB6_2951 Depth=2
	v_bfe_u32 v2, v32, 23, 8
	v_and_b32_e32 v3, 0x7fffff, v32
	v_sub_nc_u32_e32 v29, 0x70, v2
	v_cmp_gt_u32_e32 vcc_lo, 0x71, v2
	v_or_b32_e32 v30, 0x800000, v3
	v_cndmask_b32_e32 v29, 0, v29, vcc_lo
	v_cmp_eq_u32_e32 vcc_lo, 0, v2
	v_add_nc_u32_e32 v2, 0xffffff91, v2
	v_cndmask_b32_e64 v29, v29, 0x6f, vcc_lo
	v_cndmask_b32_e32 v3, v30, v3, vcc_lo
	v_cndmask_b32_e64 v2, v2, 0xffffff92, vcc_lo
	v_lshl_add_u32 v33, 0x200000, v29, -1
	v_lshrrev_b32_e32 v30, v29, v3
	v_lshlrev_b32_e64 v35, v29, 0x100000
	v_add_nc_u32_e32 v2, v29, v2
	v_and_b32_e32 v3, v33, v3
	v_bfe_u32 v34, v30, 21, 1
	v_cmp_eq_u32_e64 s14, v3, v35
	v_add_nc_u32_e32 v33, -1, v34
	v_cndmask_b32_e64 v3, 0, v33, s14
	v_lshrrev_b32_e32 v33, 23, v30
	s_mov_b32 s14, exec_lo
	v_add_nc_u32_e32 v3, v3, v30
	v_and_b32_e32 v29, 0x1fffff, v3
	v_xor_b32_e32 v3, 1, v33
	v_add_nc_u32_e32 v30, v29, v30
                                        ; implicit-def: $vgpr29
	v_cmpx_ne_u32_e64 v2, v3
	s_xor_b32 s14, exec_lo, s14
; %bb.3018:                             ;   in Loop: Header=BB6_2951 Depth=2
	v_cmp_lt_u32_e32 vcc_lo, 0xffffff, v30
	v_sub_nc_u32_e32 v2, v2, v3
	v_cndmask_b32_e64 v3, 0, 1, vcc_lo
	v_add_co_ci_u32_e64 v29, null, 0, v2, vcc_lo
	v_lshrrev_b32_e32 v30, v3, v30
; %bb.3019:                             ;   in Loop: Header=BB6_2951 Depth=2
	s_andn2_saveexec_b32 s14, s14
; %bb.3020:                             ;   in Loop: Header=BB6_2951 Depth=2
	v_bfe_u32 v29, v30, 23, 1
; %bb.3021:                             ;   in Loop: Header=BB6_2951 Depth=2
	s_or_b32 exec_lo, exec_lo, s14
	v_lshrrev_b32_e32 v2, 21, v30
	v_min_i32_e32 v3, 31, v29
	v_cmp_gt_i32_e32 vcc_lo, 32, v29
	v_and_b32_sdwa v30, v32, v58 dst_sel:DWORD dst_unused:UNUSED_PAD src0_sel:BYTE_3 src1_sel:DWORD
	v_lshlrev_b32_e32 v3, 2, v3
	v_cndmask_b32_e32 v2, 3, v2, vcc_lo
	v_and_b32_e32 v3, 0xfc, v3
	v_and_b32_e32 v32, 3, v2
	v_or_b32_e32 v2, v29, v2
	v_or3_b32 v3, v30, v3, v32
	v_cmp_ne_u32_e32 vcc_lo, 0, v2
	v_lshlrev_b32_e32 v3, 8, v3
	v_cndmask_b32_e32 v29, 0, v3, vcc_lo
.LBB6_3022:                             ;   in Loop: Header=BB6_2951 Depth=2
	s_or_b32 exec_lo, exec_lo, s42
.LBB6_3023:                             ;   in Loop: Header=BB6_2951 Depth=2
	s_or_b32 exec_lo, exec_lo, s41
	v_bfe_u32 v2, v10, 16, 2
	v_bfe_u32 v32, v10, 18, 5
	v_lshlrev_b32_e32 v33, 8, v10
	s_mov_b32 s41, -1
                                        ; implicit-def: $vgpr34
	v_ffbh_u32_e32 v3, v2
	v_cmp_eq_u32_e32 vcc_lo, 0, v32
	v_min_u32_e32 v3, 32, v3
	v_subrev_nc_u32_e32 v30, 29, v3
	v_sub_nc_u32_e32 v3, 30, v3
	v_lshlrev_b32_sdwa v30, v30, v10 dst_sel:DWORD dst_unused:UNUSED_PAD src0_sel:DWORD src1_sel:WORD_1
	v_cndmask_b32_e32 v3, v32, v3, vcc_lo
	v_and_b32_e32 v30, 3, v30
	v_lshl_add_u32 v3, v3, 23, 0x37800000
	v_cndmask_b32_e32 v2, v2, v30, vcc_lo
	v_and_b32_e32 v30, 0x80000000, v33
	v_and_b32_sdwa v33, v14, v60 dst_sel:DWORD dst_unused:UNUSED_PAD src0_sel:WORD_1 src1_sel:DWORD
	s_and_b32 vcc_lo, exec_lo, s40
	v_lshlrev_b32_e32 v2, 21, v2
	v_cmp_lt_i16_e64 s14, 0x7f, v33
	v_or3_b32 v32, v30, v3, v2
	s_cbranch_vccz .LBB6_3037
; %bb.3024:                             ;   in Loop: Header=BB6_2951 Depth=2
	s_mov_b32 s41, 0
	s_and_saveexec_b32 s42, s14
	s_xor_b32 s14, exec_lo, s42
	s_cbranch_execz .LBB6_3541
; %bb.3025:                             ;   in Loop: Header=BB6_2951 Depth=2
	s_mov_b32 s41, -1
	s_mov_b32 s42, exec_lo
	v_cmpx_eq_u16_e32 0x80, v33
; %bb.3026:                             ;   in Loop: Header=BB6_2951 Depth=2
	s_xor_b32 s41, exec_lo, -1
; %bb.3027:                             ;   in Loop: Header=BB6_2951 Depth=2
	s_or_b32 exec_lo, exec_lo, s42
	s_and_b32 s41, s41, exec_lo
	s_or_saveexec_b32 s14, s14
	v_mov_b32_e32 v34, 0x7f800001
	s_xor_b32 exec_lo, exec_lo, s14
	s_cbranch_execnz .LBB6_3542
.LBB6_3028:                             ;   in Loop: Header=BB6_2951 Depth=2
	s_or_b32 exec_lo, exec_lo, s14
	s_and_saveexec_b32 s14, s41
	s_cbranch_execz .LBB6_3030
.LBB6_3029:                             ;   in Loop: Header=BB6_2951 Depth=2
	v_bfe_u32 v2, v14, 16, 2
	v_bfe_u32 v34, v14, 18, 5
	v_lshlrev_b32_sdwa v35, v61, v14 dst_sel:DWORD dst_unused:UNUSED_PAD src0_sel:DWORD src1_sel:WORD_1
	v_ffbh_u32_e32 v3, v2
	v_cmp_eq_u32_e32 vcc_lo, 0, v34
	v_min_u32_e32 v3, 32, v3
	v_subrev_nc_u32_e32 v30, 29, v3
	v_sub_nc_u32_e32 v3, 30, v3
	v_lshlrev_b32_sdwa v30, v30, v14 dst_sel:DWORD dst_unused:UNUSED_PAD src0_sel:DWORD src1_sel:WORD_1
	v_cndmask_b32_e32 v3, v34, v3, vcc_lo
	v_and_b32_e32 v30, 3, v30
	v_lshl_add_u32 v3, v3, 23, 0x37800000
	v_cndmask_b32_e32 v2, v2, v30, vcc_lo
	v_and_b32_e32 v30, 0x80000000, v35
	v_lshlrev_b32_e32 v2, 21, v2
	v_or3_b32 v34, v30, v3, v2
.LBB6_3030:                             ;   in Loop: Header=BB6_2951 Depth=2
	s_or_b32 exec_lo, exec_lo, s14
	v_and_b32_sdwa v3, v10, v60 dst_sel:DWORD dst_unused:UNUSED_PAD src0_sel:WORD_1 src1_sel:DWORD
	s_mov_b32 s14, 0
	s_mov_b32 s41, exec_lo
	v_cmpx_lt_i16_e32 0x7f, v3
	s_xor_b32 s41, exec_lo, s41
	s_cbranch_execz .LBB6_3543
; %bb.3031:                             ;   in Loop: Header=BB6_2951 Depth=2
	s_mov_b32 s14, -1
	s_mov_b32 s42, exec_lo
	v_cmpx_eq_u16_e32 0x80, v3
; %bb.3032:                             ;   in Loop: Header=BB6_2951 Depth=2
	s_xor_b32 s14, exec_lo, -1
; %bb.3033:                             ;   in Loop: Header=BB6_2951 Depth=2
	s_or_b32 exec_lo, exec_lo, s42
	s_and_b32 s14, s14, exec_lo
                                        ; implicit-def: $vgpr3
	s_or_saveexec_b32 s41, s41
	v_mov_b32_e32 v2, 0x7f800001
	s_xor_b32 exec_lo, exec_lo, s41
	s_cbranch_execnz .LBB6_3544
.LBB6_3034:                             ;   in Loop: Header=BB6_2951 Depth=2
	s_or_b32 exec_lo, exec_lo, s41
	s_and_saveexec_b32 s41, s14
.LBB6_3035:                             ;   in Loop: Header=BB6_2951 Depth=2
	v_mov_b32_e32 v2, v32
.LBB6_3036:                             ;   in Loop: Header=BB6_2951 Depth=2
	s_or_b32 exec_lo, exec_lo, s41
	v_max_f32_e32 v2, v2, v2
	v_max_f32_e32 v3, v34, v34
	s_mov_b32 s41, 0
	v_max_f32_e32 v34, v3, v2
.LBB6_3037:                             ;   in Loop: Header=BB6_2951 Depth=2
	s_and_b32 vcc_lo, exec_lo, s41
	s_cbranch_vccz .LBB6_3051
; %bb.3038:                             ;   in Loop: Header=BB6_2951 Depth=2
	s_mov_b32 s14, 0
	s_mov_b32 s41, exec_lo
	v_cmpx_lt_i16_e32 0x7f, v33
	s_xor_b32 s41, exec_lo, s41
	s_cbranch_execz .LBB6_3545
; %bb.3039:                             ;   in Loop: Header=BB6_2951 Depth=2
	s_mov_b32 s14, -1
	s_mov_b32 s42, exec_lo
	v_cmpx_eq_u16_e32 0x80, v33
; %bb.3040:                             ;   in Loop: Header=BB6_2951 Depth=2
	s_xor_b32 s14, exec_lo, -1
; %bb.3041:                             ;   in Loop: Header=BB6_2951 Depth=2
	s_or_b32 exec_lo, exec_lo, s42
	s_and_b32 s14, s14, exec_lo
                                        ; implicit-def: $vgpr33
	s_or_saveexec_b32 s41, s41
	v_mov_b32_e32 v34, 0x7f800001
	s_xor_b32 exec_lo, exec_lo, s41
	s_cbranch_execnz .LBB6_3546
.LBB6_3042:                             ;   in Loop: Header=BB6_2951 Depth=2
	s_or_b32 exec_lo, exec_lo, s41
	s_and_saveexec_b32 s41, s14
	s_cbranch_execz .LBB6_3044
.LBB6_3043:                             ;   in Loop: Header=BB6_2951 Depth=2
	v_bfe_u32 v2, v14, 16, 2
	v_bfe_u32 v33, v14, 18, 5
	v_lshlrev_b32_sdwa v34, v61, v14 dst_sel:DWORD dst_unused:UNUSED_PAD src0_sel:DWORD src1_sel:WORD_1
	v_ffbh_u32_e32 v3, v2
	v_cmp_eq_u32_e32 vcc_lo, 0, v33
	v_min_u32_e32 v3, 32, v3
	v_subrev_nc_u32_e32 v30, 29, v3
	v_sub_nc_u32_e32 v3, 30, v3
	v_lshlrev_b32_sdwa v30, v30, v14 dst_sel:DWORD dst_unused:UNUSED_PAD src0_sel:DWORD src1_sel:WORD_1
	v_cndmask_b32_e32 v3, v33, v3, vcc_lo
	v_and_b32_e32 v30, 3, v30
	v_lshl_add_u32 v3, v3, 23, 0x37800000
	v_cndmask_b32_e32 v2, v2, v30, vcc_lo
	v_and_b32_e32 v30, 0x80000000, v34
	v_lshlrev_b32_e32 v2, 21, v2
	v_or3_b32 v34, v30, v3, v2
.LBB6_3044:                             ;   in Loop: Header=BB6_2951 Depth=2
	s_or_b32 exec_lo, exec_lo, s41
	v_and_b32_sdwa v3, v10, v60 dst_sel:DWORD dst_unused:UNUSED_PAD src0_sel:WORD_1 src1_sel:DWORD
	s_mov_b32 s14, 0
	s_mov_b32 s41, exec_lo
	v_cmpx_lt_i16_e32 0x7f, v3
	s_xor_b32 s41, exec_lo, s41
	s_cbranch_execz .LBB6_3547
; %bb.3045:                             ;   in Loop: Header=BB6_2951 Depth=2
	s_mov_b32 s14, -1
	s_mov_b32 s42, exec_lo
	v_cmpx_eq_u16_e32 0x80, v3
; %bb.3046:                             ;   in Loop: Header=BB6_2951 Depth=2
	s_xor_b32 s14, exec_lo, -1
; %bb.3047:                             ;   in Loop: Header=BB6_2951 Depth=2
	s_or_b32 exec_lo, exec_lo, s42
	s_and_b32 s14, s14, exec_lo
                                        ; implicit-def: $vgpr3
	s_or_saveexec_b32 s41, s41
	v_mov_b32_e32 v2, 0x7f800001
	s_xor_b32 exec_lo, exec_lo, s41
	s_cbranch_execnz .LBB6_3548
.LBB6_3048:                             ;   in Loop: Header=BB6_2951 Depth=2
	s_or_b32 exec_lo, exec_lo, s41
	s_and_saveexec_b32 s41, s14
.LBB6_3049:                             ;   in Loop: Header=BB6_2951 Depth=2
	v_mov_b32_e32 v2, v32
.LBB6_3050:                             ;   in Loop: Header=BB6_2951 Depth=2
	s_or_b32 exec_lo, exec_lo, s41
	v_max_f32_e32 v2, v2, v2
	v_max_f32_e32 v3, v34, v34
	v_min_f32_e32 v34, v3, v2
.LBB6_3051:                             ;   in Loop: Header=BB6_2951 Depth=2
	v_and_b32_e32 v2, 0x7f800000, v34
	v_mov_b32_e32 v32, 0x80
	s_mov_b32 s41, exec_lo
	v_cmpx_ne_u32_e32 0x7f800000, v2
	s_cbranch_execz .LBB6_3059
; %bb.3052:                             ;   in Loop: Header=BB6_2951 Depth=2
	v_mov_b32_e32 v32, 0
	s_mov_b32 s42, exec_lo
	v_cmpx_ne_u32_e32 0, v34
	s_cbranch_execz .LBB6_3058
; %bb.3053:                             ;   in Loop: Header=BB6_2951 Depth=2
	v_bfe_u32 v2, v34, 23, 8
	v_and_b32_e32 v3, 0x7fffff, v34
	v_sub_nc_u32_e32 v30, 0x70, v2
	v_cmp_gt_u32_e32 vcc_lo, 0x71, v2
	v_or_b32_e32 v32, 0x800000, v3
	v_cndmask_b32_e32 v30, 0, v30, vcc_lo
	v_cmp_eq_u32_e32 vcc_lo, 0, v2
	v_add_nc_u32_e32 v2, 0xffffff91, v2
	v_cndmask_b32_e64 v30, v30, 0x6f, vcc_lo
	v_cndmask_b32_e32 v3, v32, v3, vcc_lo
	v_cndmask_b32_e64 v2, v2, 0xffffff92, vcc_lo
	v_lshl_add_u32 v33, 0x200000, v30, -1
	v_lshrrev_b32_e32 v32, v30, v3
	v_lshlrev_b32_e64 v36, v30, 0x100000
	v_add_nc_u32_e32 v2, v30, v2
	v_and_b32_e32 v3, v33, v3
	v_bfe_u32 v35, v32, 21, 1
	v_cmp_eq_u32_e64 s14, v3, v36
	v_add_nc_u32_e32 v33, -1, v35
	v_cndmask_b32_e64 v3, 0, v33, s14
	v_lshrrev_b32_e32 v33, 23, v32
	s_mov_b32 s14, exec_lo
	v_add_nc_u32_e32 v3, v3, v32
	v_and_b32_e32 v30, 0x1fffff, v3
	v_xor_b32_e32 v3, 1, v33
	v_add_nc_u32_e32 v32, v30, v32
                                        ; implicit-def: $vgpr30
	v_cmpx_ne_u32_e64 v2, v3
	s_xor_b32 s14, exec_lo, s14
; %bb.3054:                             ;   in Loop: Header=BB6_2951 Depth=2
	v_cmp_lt_u32_e32 vcc_lo, 0xffffff, v32
	v_sub_nc_u32_e32 v2, v2, v3
	v_cndmask_b32_e64 v3, 0, 1, vcc_lo
	v_add_co_ci_u32_e64 v30, null, 0, v2, vcc_lo
	v_lshrrev_b32_e32 v32, v3, v32
; %bb.3055:                             ;   in Loop: Header=BB6_2951 Depth=2
	s_andn2_saveexec_b32 s14, s14
; %bb.3056:                             ;   in Loop: Header=BB6_2951 Depth=2
	v_bfe_u32 v30, v32, 23, 1
; %bb.3057:                             ;   in Loop: Header=BB6_2951 Depth=2
	s_or_b32 exec_lo, exec_lo, s14
	v_lshrrev_b32_e32 v2, 21, v32
	v_min_i32_e32 v3, 31, v30
	v_cmp_gt_i32_e32 vcc_lo, 32, v30
	v_and_b32_sdwa v32, v34, v58 dst_sel:DWORD dst_unused:UNUSED_PAD src0_sel:BYTE_3 src1_sel:DWORD
	v_lshlrev_b32_e32 v3, 2, v3
	v_cndmask_b32_e32 v2, 3, v2, vcc_lo
	v_and_b32_e32 v3, 0xfc, v3
	v_and_b32_e32 v33, 3, v2
	v_or_b32_e32 v2, v30, v2
	v_or3_b32 v3, v3, v32, v33
	v_cmp_ne_u32_e32 vcc_lo, 0, v2
	v_cndmask_b32_e32 v32, 0, v3, vcc_lo
.LBB6_3058:                             ;   in Loop: Header=BB6_2951 Depth=2
	s_or_b32 exec_lo, exec_lo, s42
.LBB6_3059:                             ;   in Loop: Header=BB6_2951 Depth=2
	s_or_b32 exec_lo, exec_lo, s41
	v_bfe_u32 v2, v10, 24, 2
	v_bfe_u32 v33, v10, 26, 5
	v_cmp_gt_i16_sdwa s41, v14, v57 src0_sel:BYTE_3 src1_sel:DWORD
	s_mov_b32 s14, -1
                                        ; implicit-def: $vgpr34
	v_ffbh_u32_e32 v3, v2
	v_cmp_eq_u32_e32 vcc_lo, 0, v33
	v_min_u32_e32 v3, 32, v3
	v_subrev_nc_u32_e32 v30, 29, v3
	v_sub_nc_u32_e32 v3, 30, v3
	v_lshlrev_b32_sdwa v30, v30, v10 dst_sel:DWORD dst_unused:UNUSED_PAD src0_sel:DWORD src1_sel:BYTE_3
	v_cndmask_b32_e32 v3, v33, v3, vcc_lo
	v_and_b32_e32 v30, 3, v30
	v_lshl_add_u32 v3, v3, 23, 0x37800000
	v_cndmask_b32_e32 v2, v2, v30, vcc_lo
	v_and_b32_e32 v30, 0x80000000, v10
	s_and_b32 vcc_lo, exec_lo, s40
	v_lshlrev_b32_e32 v2, 21, v2
	v_or3_b32 v33, v30, v3, v2
	s_cbranch_vccz .LBB6_3073
; %bb.3060:                             ;   in Loop: Header=BB6_2951 Depth=2
	s_mov_b32 s14, 0
	s_and_saveexec_b32 s42, s41
	s_xor_b32 s41, exec_lo, s42
	s_cbranch_execz .LBB6_3549
; %bb.3061:                             ;   in Loop: Header=BB6_2951 Depth=2
	v_cmp_eq_u16_sdwa s43, v14, v58 src0_sel:BYTE_3 src1_sel:DWORD
	s_mov_b32 s14, -1
	s_and_saveexec_b32 s42, s43
; %bb.3062:                             ;   in Loop: Header=BB6_2951 Depth=2
	s_xor_b32 s14, exec_lo, -1
; %bb.3063:                             ;   in Loop: Header=BB6_2951 Depth=2
	s_or_b32 exec_lo, exec_lo, s42
	s_and_b32 s14, s14, exec_lo
	s_or_saveexec_b32 s41, s41
	v_mov_b32_e32 v34, 0x7f800001
	s_xor_b32 exec_lo, exec_lo, s41
	s_cbranch_execnz .LBB6_3550
.LBB6_3064:                             ;   in Loop: Header=BB6_2951 Depth=2
	s_or_b32 exec_lo, exec_lo, s41
	s_and_saveexec_b32 s41, s14
	s_cbranch_execz .LBB6_3066
.LBB6_3065:                             ;   in Loop: Header=BB6_2951 Depth=2
	v_bfe_u32 v2, v14, 24, 2
	v_bfe_u32 v34, v14, 26, 5
	v_ffbh_u32_e32 v3, v2
	v_cmp_eq_u32_e32 vcc_lo, 0, v34
	v_min_u32_e32 v3, 32, v3
	v_subrev_nc_u32_e32 v30, 29, v3
	v_sub_nc_u32_e32 v3, 30, v3
	v_lshlrev_b32_sdwa v30, v30, v14 dst_sel:DWORD dst_unused:UNUSED_PAD src0_sel:DWORD src1_sel:BYTE_3
	v_cndmask_b32_e32 v3, v34, v3, vcc_lo
	v_and_b32_e32 v30, 3, v30
	v_lshl_add_u32 v3, v3, 23, 0x37800000
	v_cndmask_b32_e32 v2, v2, v30, vcc_lo
	v_and_b32_e32 v30, 0x80000000, v14
	v_lshlrev_b32_e32 v2, 21, v2
	v_or3_b32 v34, v30, v3, v2
.LBB6_3066:                             ;   in Loop: Header=BB6_2951 Depth=2
	s_or_b32 exec_lo, exec_lo, s41
	v_cmp_gt_i16_sdwa s41, v10, v57 src0_sel:BYTE_3 src1_sel:DWORD
	s_mov_b32 s14, 0
	s_and_saveexec_b32 s42, s41
	s_xor_b32 s41, exec_lo, s42
	s_cbranch_execz .LBB6_3551
; %bb.3067:                             ;   in Loop: Header=BB6_2951 Depth=2
	v_cmp_eq_u16_sdwa s43, v10, v58 src0_sel:BYTE_3 src1_sel:DWORD
	s_mov_b32 s14, -1
	s_and_saveexec_b32 s42, s43
; %bb.3068:                             ;   in Loop: Header=BB6_2951 Depth=2
	s_xor_b32 s14, exec_lo, -1
; %bb.3069:                             ;   in Loop: Header=BB6_2951 Depth=2
	s_or_b32 exec_lo, exec_lo, s42
	s_and_b32 s14, s14, exec_lo
	s_or_saveexec_b32 s41, s41
	v_mov_b32_e32 v2, 0x7f800001
	s_xor_b32 exec_lo, exec_lo, s41
	s_cbranch_execnz .LBB6_3552
.LBB6_3070:                             ;   in Loop: Header=BB6_2951 Depth=2
	s_or_b32 exec_lo, exec_lo, s41
	s_and_saveexec_b32 s41, s14
.LBB6_3071:                             ;   in Loop: Header=BB6_2951 Depth=2
	v_mov_b32_e32 v2, v33
.LBB6_3072:                             ;   in Loop: Header=BB6_2951 Depth=2
	s_or_b32 exec_lo, exec_lo, s41
	v_max_f32_e32 v2, v2, v2
	v_max_f32_e32 v3, v34, v34
	s_mov_b32 s14, 0
	v_max_f32_e32 v34, v3, v2
.LBB6_3073:                             ;   in Loop: Header=BB6_2951 Depth=2
	s_and_b32 vcc_lo, exec_lo, s14
	s_cbranch_vccz .LBB6_3087
; %bb.3074:                             ;   in Loop: Header=BB6_2951 Depth=2
	v_cmp_gt_i16_sdwa s41, v14, v57 src0_sel:BYTE_3 src1_sel:DWORD
	s_mov_b32 s14, 0
	s_and_saveexec_b32 s42, s41
	s_xor_b32 s41, exec_lo, s42
	s_cbranch_execz .LBB6_3553
; %bb.3075:                             ;   in Loop: Header=BB6_2951 Depth=2
	v_cmp_eq_u16_sdwa s43, v14, v58 src0_sel:BYTE_3 src1_sel:DWORD
	s_mov_b32 s14, -1
	s_and_saveexec_b32 s42, s43
; %bb.3076:                             ;   in Loop: Header=BB6_2951 Depth=2
	s_xor_b32 s14, exec_lo, -1
; %bb.3077:                             ;   in Loop: Header=BB6_2951 Depth=2
	s_or_b32 exec_lo, exec_lo, s42
	s_and_b32 s14, s14, exec_lo
	s_or_saveexec_b32 s41, s41
	v_mov_b32_e32 v34, 0x7f800001
	s_xor_b32 exec_lo, exec_lo, s41
	s_cbranch_execnz .LBB6_3554
.LBB6_3078:                             ;   in Loop: Header=BB6_2951 Depth=2
	s_or_b32 exec_lo, exec_lo, s41
	s_and_saveexec_b32 s41, s14
	s_cbranch_execz .LBB6_3080
.LBB6_3079:                             ;   in Loop: Header=BB6_2951 Depth=2
	v_bfe_u32 v2, v14, 24, 2
	v_bfe_u32 v34, v14, 26, 5
	v_ffbh_u32_e32 v3, v2
	v_cmp_eq_u32_e32 vcc_lo, 0, v34
	v_min_u32_e32 v3, 32, v3
	v_subrev_nc_u32_e32 v30, 29, v3
	v_sub_nc_u32_e32 v3, 30, v3
	v_lshlrev_b32_sdwa v30, v30, v14 dst_sel:DWORD dst_unused:UNUSED_PAD src0_sel:DWORD src1_sel:BYTE_3
	v_cndmask_b32_e32 v3, v34, v3, vcc_lo
	v_and_b32_e32 v14, 0x80000000, v14
	v_and_b32_e32 v30, 3, v30
	v_lshl_add_u32 v3, v3, 23, 0x37800000
	v_cndmask_b32_e32 v2, v2, v30, vcc_lo
	v_lshlrev_b32_e32 v2, 21, v2
	v_or3_b32 v34, v14, v3, v2
.LBB6_3080:                             ;   in Loop: Header=BB6_2951 Depth=2
	s_or_b32 exec_lo, exec_lo, s41
	v_cmp_gt_i16_sdwa s41, v10, v57 src0_sel:BYTE_3 src1_sel:DWORD
	s_mov_b32 s14, 0
	s_and_saveexec_b32 s42, s41
	s_xor_b32 s41, exec_lo, s42
	s_cbranch_execz .LBB6_3555
; %bb.3081:                             ;   in Loop: Header=BB6_2951 Depth=2
	v_cmp_eq_u16_sdwa s43, v10, v58 src0_sel:BYTE_3 src1_sel:DWORD
	s_mov_b32 s14, -1
	s_and_saveexec_b32 s42, s43
; %bb.3082:                             ;   in Loop: Header=BB6_2951 Depth=2
	s_xor_b32 s14, exec_lo, -1
; %bb.3083:                             ;   in Loop: Header=BB6_2951 Depth=2
	s_or_b32 exec_lo, exec_lo, s42
	s_and_b32 s14, s14, exec_lo
	s_or_saveexec_b32 s41, s41
	v_mov_b32_e32 v2, 0x7f800001
	s_xor_b32 exec_lo, exec_lo, s41
	s_cbranch_execnz .LBB6_3556
.LBB6_3084:                             ;   in Loop: Header=BB6_2951 Depth=2
	s_or_b32 exec_lo, exec_lo, s41
	s_and_saveexec_b32 s41, s14
.LBB6_3085:                             ;   in Loop: Header=BB6_2951 Depth=2
	v_mov_b32_e32 v2, v33
.LBB6_3086:                             ;   in Loop: Header=BB6_2951 Depth=2
	s_or_b32 exec_lo, exec_lo, s41
	v_max_f32_e32 v2, v2, v2
	v_max_f32_e32 v3, v34, v34
	v_min_f32_e32 v34, v3, v2
.LBB6_3087:                             ;   in Loop: Header=BB6_2951 Depth=2
	v_and_b32_e32 v2, 0x7f800000, v34
	v_mov_b32_e32 v14, 0x8000
	s_mov_b32 s41, exec_lo
	v_cmpx_ne_u32_e32 0x7f800000, v2
	s_cbranch_execz .LBB6_3095
; %bb.3088:                             ;   in Loop: Header=BB6_2951 Depth=2
	v_mov_b32_e32 v14, 0
	s_mov_b32 s42, exec_lo
	v_cmpx_ne_u32_e32 0, v34
	s_cbranch_execz .LBB6_3094
; %bb.3089:                             ;   in Loop: Header=BB6_2951 Depth=2
	v_bfe_u32 v2, v34, 23, 8
	v_and_b32_e32 v3, 0x7fffff, v34
	v_sub_nc_u32_e32 v10, 0x70, v2
	v_cmp_gt_u32_e32 vcc_lo, 0x71, v2
	v_or_b32_e32 v14, 0x800000, v3
	v_cndmask_b32_e32 v10, 0, v10, vcc_lo
	v_cmp_eq_u32_e32 vcc_lo, 0, v2
	v_add_nc_u32_e32 v2, 0xffffff91, v2
	v_cndmask_b32_e64 v10, v10, 0x6f, vcc_lo
	v_cndmask_b32_e32 v3, v14, v3, vcc_lo
	v_cndmask_b32_e64 v2, v2, 0xffffff92, vcc_lo
	v_lshl_add_u32 v30, 0x200000, v10, -1
	v_lshrrev_b32_e32 v14, v10, v3
	v_lshlrev_b32_e64 v35, v10, 0x100000
	v_add_nc_u32_e32 v2, v10, v2
	v_and_b32_e32 v3, v30, v3
	v_bfe_u32 v33, v14, 21, 1
	v_cmp_eq_u32_e64 s14, v3, v35
	v_add_nc_u32_e32 v30, -1, v33
	v_cndmask_b32_e64 v3, 0, v30, s14
	v_lshrrev_b32_e32 v30, 23, v14
	s_mov_b32 s14, exec_lo
	v_add_nc_u32_e32 v3, v3, v14
	v_and_b32_e32 v10, 0x1fffff, v3
	v_xor_b32_e32 v3, 1, v30
	v_add_nc_u32_e32 v14, v10, v14
                                        ; implicit-def: $vgpr10
	v_cmpx_ne_u32_e64 v2, v3
	s_xor_b32 s14, exec_lo, s14
; %bb.3090:                             ;   in Loop: Header=BB6_2951 Depth=2
	v_cmp_lt_u32_e32 vcc_lo, 0xffffff, v14
	v_sub_nc_u32_e32 v2, v2, v3
	v_cndmask_b32_e64 v3, 0, 1, vcc_lo
	v_add_co_ci_u32_e64 v10, null, 0, v2, vcc_lo
	v_lshrrev_b32_e32 v14, v3, v14
; %bb.3091:                             ;   in Loop: Header=BB6_2951 Depth=2
	s_andn2_saveexec_b32 s14, s14
; %bb.3092:                             ;   in Loop: Header=BB6_2951 Depth=2
	v_bfe_u32 v10, v14, 23, 1
; %bb.3093:                             ;   in Loop: Header=BB6_2951 Depth=2
	s_or_b32 exec_lo, exec_lo, s14
	v_lshrrev_b32_e32 v2, 21, v14
	v_min_i32_e32 v3, 31, v10
	v_cmp_gt_i32_e32 vcc_lo, 32, v10
	v_and_b32_sdwa v14, v34, v58 dst_sel:DWORD dst_unused:UNUSED_PAD src0_sel:BYTE_3 src1_sel:DWORD
	v_lshlrev_b32_e32 v3, 2, v3
	v_cndmask_b32_e32 v2, 3, v2, vcc_lo
	v_and_b32_e32 v3, 0xfc, v3
	v_and_b32_e32 v30, 3, v2
	v_or_b32_e32 v2, v10, v2
	v_or3_b32 v3, v14, v3, v30
	v_cmp_ne_u32_e32 vcc_lo, 0, v2
	v_lshlrev_b32_e32 v3, 8, v3
	v_cndmask_b32_e32 v14, 0, v3, vcc_lo
.LBB6_3094:                             ;   in Loop: Header=BB6_2951 Depth=2
	s_or_b32 exec_lo, exec_lo, s42
.LBB6_3095:                             ;   in Loop: Header=BB6_2951 Depth=2
	s_or_b32 exec_lo, exec_lo, s41
	v_and_b32_e32 v2, 3, v11
	v_bfe_u32 v30, v11, 2, 5
	v_lshlrev_b32_e32 v33, 24, v11
	v_cmp_gt_i16_sdwa s41, v15, v57 src0_sel:BYTE_0 src1_sel:DWORD
	s_mov_b32 s14, -1
	v_ffbh_u32_e32 v3, v2
	v_cmp_eq_u32_e32 vcc_lo, 0, v30
                                        ; implicit-def: $vgpr34
	v_min_u32_e32 v3, 32, v3
	v_subrev_nc_u32_e32 v10, 29, v3
	v_sub_nc_u32_e32 v3, 30, v3
	v_lshlrev_b32_e32 v10, v10, v11
	v_cndmask_b32_e32 v3, v30, v3, vcc_lo
	v_and_b32_e32 v10, 3, v10
	v_lshl_add_u32 v3, v3, 23, 0x37800000
	v_cndmask_b32_e32 v2, v2, v10, vcc_lo
	v_and_b32_e32 v10, 0x80000000, v33
	s_and_b32 vcc_lo, exec_lo, s40
	v_lshlrev_b32_e32 v2, 21, v2
	v_or3_b32 v10, v10, v3, v2
	s_cbranch_vccz .LBB6_3109
; %bb.3096:                             ;   in Loop: Header=BB6_2951 Depth=2
	s_mov_b32 s14, 0
	s_and_saveexec_b32 s42, s41
	s_xor_b32 s41, exec_lo, s42
	s_cbranch_execz .LBB6_3557
; %bb.3097:                             ;   in Loop: Header=BB6_2951 Depth=2
	v_cmp_eq_u16_sdwa s43, v15, v58 src0_sel:BYTE_0 src1_sel:DWORD
	s_mov_b32 s14, -1
	s_and_saveexec_b32 s42, s43
; %bb.3098:                             ;   in Loop: Header=BB6_2951 Depth=2
	s_xor_b32 s14, exec_lo, -1
; %bb.3099:                             ;   in Loop: Header=BB6_2951 Depth=2
	s_or_b32 exec_lo, exec_lo, s42
	s_and_b32 s14, s14, exec_lo
	s_or_saveexec_b32 s41, s41
	v_mov_b32_e32 v33, 0x7f800001
	s_xor_b32 exec_lo, exec_lo, s41
	s_cbranch_execnz .LBB6_3558
.LBB6_3100:                             ;   in Loop: Header=BB6_2951 Depth=2
	s_or_b32 exec_lo, exec_lo, s41
	s_and_saveexec_b32 s41, s14
	s_cbranch_execz .LBB6_3102
.LBB6_3101:                             ;   in Loop: Header=BB6_2951 Depth=2
	v_and_b32_e32 v2, 3, v15
	v_bfe_u32 v33, v15, 2, 5
	v_lshlrev_b32_e32 v34, 24, v15
	v_ffbh_u32_e32 v3, v2
	v_cmp_eq_u32_e32 vcc_lo, 0, v33
	v_min_u32_e32 v3, 32, v3
	v_subrev_nc_u32_e32 v30, 29, v3
	v_sub_nc_u32_e32 v3, 30, v3
	v_lshlrev_b32_e32 v30, v30, v15
	v_cndmask_b32_e32 v3, v33, v3, vcc_lo
	v_and_b32_e32 v30, 3, v30
	v_lshl_add_u32 v3, v3, 23, 0x37800000
	v_cndmask_b32_e32 v2, v2, v30, vcc_lo
	v_and_b32_e32 v30, 0x80000000, v34
	v_lshlrev_b32_e32 v2, 21, v2
	v_or3_b32 v33, v30, v3, v2
.LBB6_3102:                             ;   in Loop: Header=BB6_2951 Depth=2
	s_or_b32 exec_lo, exec_lo, s41
	v_cmp_gt_i16_sdwa s41, v11, v57 src0_sel:BYTE_0 src1_sel:DWORD
	s_mov_b32 s14, 0
	s_and_saveexec_b32 s42, s41
	s_xor_b32 s41, exec_lo, s42
	s_cbranch_execz .LBB6_3559
; %bb.3103:                             ;   in Loop: Header=BB6_2951 Depth=2
	v_cmp_eq_u16_sdwa s43, v11, v58 src0_sel:BYTE_0 src1_sel:DWORD
	s_mov_b32 s14, -1
	s_and_saveexec_b32 s42, s43
; %bb.3104:                             ;   in Loop: Header=BB6_2951 Depth=2
	s_xor_b32 s14, exec_lo, -1
; %bb.3105:                             ;   in Loop: Header=BB6_2951 Depth=2
	s_or_b32 exec_lo, exec_lo, s42
	s_and_b32 s14, s14, exec_lo
	s_or_saveexec_b32 s41, s41
	v_mov_b32_e32 v2, 0x7f800001
	s_xor_b32 exec_lo, exec_lo, s41
	s_cbranch_execnz .LBB6_3560
.LBB6_3106:                             ;   in Loop: Header=BB6_2951 Depth=2
	s_or_b32 exec_lo, exec_lo, s41
	s_and_saveexec_b32 s41, s14
.LBB6_3107:                             ;   in Loop: Header=BB6_2951 Depth=2
	v_mov_b32_e32 v2, v10
.LBB6_3108:                             ;   in Loop: Header=BB6_2951 Depth=2
	s_or_b32 exec_lo, exec_lo, s41
	v_max_f32_e32 v2, v2, v2
	v_max_f32_e32 v3, v33, v33
	s_mov_b32 s14, 0
	v_max_f32_e32 v34, v3, v2
.LBB6_3109:                             ;   in Loop: Header=BB6_2951 Depth=2
	s_and_b32 vcc_lo, exec_lo, s14
	s_cbranch_vccz .LBB6_3123
; %bb.3110:                             ;   in Loop: Header=BB6_2951 Depth=2
	v_cmp_gt_i16_sdwa s41, v15, v57 src0_sel:BYTE_0 src1_sel:DWORD
	s_mov_b32 s14, 0
	s_and_saveexec_b32 s42, s41
	s_xor_b32 s41, exec_lo, s42
	s_cbranch_execz .LBB6_3561
; %bb.3111:                             ;   in Loop: Header=BB6_2951 Depth=2
	v_cmp_eq_u16_sdwa s43, v15, v58 src0_sel:BYTE_0 src1_sel:DWORD
	s_mov_b32 s14, -1
	s_and_saveexec_b32 s42, s43
; %bb.3112:                             ;   in Loop: Header=BB6_2951 Depth=2
	s_xor_b32 s14, exec_lo, -1
; %bb.3113:                             ;   in Loop: Header=BB6_2951 Depth=2
	s_or_b32 exec_lo, exec_lo, s42
	s_and_b32 s14, s14, exec_lo
	s_or_saveexec_b32 s41, s41
	v_mov_b32_e32 v33, 0x7f800001
	s_xor_b32 exec_lo, exec_lo, s41
	s_cbranch_execnz .LBB6_3562
.LBB6_3114:                             ;   in Loop: Header=BB6_2951 Depth=2
	s_or_b32 exec_lo, exec_lo, s41
	s_and_saveexec_b32 s41, s14
	s_cbranch_execz .LBB6_3116
.LBB6_3115:                             ;   in Loop: Header=BB6_2951 Depth=2
	v_and_b32_e32 v2, 3, v15
	v_bfe_u32 v33, v15, 2, 5
	v_lshlrev_b32_e32 v34, 24, v15
	v_ffbh_u32_e32 v3, v2
	v_cmp_eq_u32_e32 vcc_lo, 0, v33
	v_min_u32_e32 v3, 32, v3
	v_subrev_nc_u32_e32 v30, 29, v3
	v_sub_nc_u32_e32 v3, 30, v3
	v_lshlrev_b32_e32 v30, v30, v15
	v_cndmask_b32_e32 v3, v33, v3, vcc_lo
	v_and_b32_e32 v30, 3, v30
	v_lshl_add_u32 v3, v3, 23, 0x37800000
	v_cndmask_b32_e32 v2, v2, v30, vcc_lo
	v_and_b32_e32 v30, 0x80000000, v34
	v_lshlrev_b32_e32 v2, 21, v2
	v_or3_b32 v33, v30, v3, v2
.LBB6_3116:                             ;   in Loop: Header=BB6_2951 Depth=2
	s_or_b32 exec_lo, exec_lo, s41
	v_cmp_gt_i16_sdwa s41, v11, v57 src0_sel:BYTE_0 src1_sel:DWORD
	s_mov_b32 s14, 0
	s_and_saveexec_b32 s42, s41
	s_xor_b32 s41, exec_lo, s42
	s_cbranch_execz .LBB6_3563
; %bb.3117:                             ;   in Loop: Header=BB6_2951 Depth=2
	v_cmp_eq_u16_sdwa s43, v11, v58 src0_sel:BYTE_0 src1_sel:DWORD
	s_mov_b32 s14, -1
	s_and_saveexec_b32 s42, s43
; %bb.3118:                             ;   in Loop: Header=BB6_2951 Depth=2
	s_xor_b32 s14, exec_lo, -1
; %bb.3119:                             ;   in Loop: Header=BB6_2951 Depth=2
	s_or_b32 exec_lo, exec_lo, s42
	s_and_b32 s14, s14, exec_lo
	s_or_saveexec_b32 s41, s41
	v_mov_b32_e32 v2, 0x7f800001
	s_xor_b32 exec_lo, exec_lo, s41
	s_cbranch_execnz .LBB6_3564
.LBB6_3120:                             ;   in Loop: Header=BB6_2951 Depth=2
	s_or_b32 exec_lo, exec_lo, s41
	s_and_saveexec_b32 s41, s14
.LBB6_3121:                             ;   in Loop: Header=BB6_2951 Depth=2
	v_mov_b32_e32 v2, v10
.LBB6_3122:                             ;   in Loop: Header=BB6_2951 Depth=2
	s_or_b32 exec_lo, exec_lo, s41
	v_max_f32_e32 v2, v2, v2
	v_max_f32_e32 v3, v33, v33
	v_min_f32_e32 v34, v3, v2
.LBB6_3123:                             ;   in Loop: Header=BB6_2951 Depth=2
	v_and_b32_e32 v2, 0x7f800000, v34
	v_mov_b32_e32 v33, 0x80
	s_mov_b32 s41, exec_lo
	v_cmpx_ne_u32_e32 0x7f800000, v2
	s_cbranch_execz .LBB6_3131
; %bb.3124:                             ;   in Loop: Header=BB6_2951 Depth=2
	v_mov_b32_e32 v33, 0
	s_mov_b32 s42, exec_lo
	v_cmpx_ne_u32_e32 0, v34
	s_cbranch_execz .LBB6_3130
; %bb.3125:                             ;   in Loop: Header=BB6_2951 Depth=2
	v_bfe_u32 v2, v34, 23, 8
	v_and_b32_e32 v3, 0x7fffff, v34
	v_sub_nc_u32_e32 v10, 0x70, v2
	v_cmp_gt_u32_e32 vcc_lo, 0x71, v2
	v_or_b32_e32 v30, 0x800000, v3
	v_cndmask_b32_e32 v10, 0, v10, vcc_lo
	v_cmp_eq_u32_e32 vcc_lo, 0, v2
	v_add_nc_u32_e32 v2, 0xffffff91, v2
	v_cndmask_b32_e64 v10, v10, 0x6f, vcc_lo
	v_cndmask_b32_e32 v3, v30, v3, vcc_lo
	v_cndmask_b32_e64 v2, v2, 0xffffff92, vcc_lo
	v_lshl_add_u32 v33, 0x200000, v10, -1
	v_lshrrev_b32_e32 v30, v10, v3
	v_lshlrev_b32_e64 v36, v10, 0x100000
	v_add_nc_u32_e32 v2, v10, v2
	v_and_b32_e32 v3, v33, v3
	v_bfe_u32 v35, v30, 21, 1
	v_cmp_eq_u32_e64 s14, v3, v36
	v_add_nc_u32_e32 v33, -1, v35
	v_cndmask_b32_e64 v3, 0, v33, s14
	v_lshrrev_b32_e32 v33, 23, v30
	s_mov_b32 s14, exec_lo
	v_add_nc_u32_e32 v3, v3, v30
	v_and_b32_e32 v10, 0x1fffff, v3
	v_xor_b32_e32 v3, 1, v33
	v_add_nc_u32_e32 v30, v10, v30
                                        ; implicit-def: $vgpr10
	v_cmpx_ne_u32_e64 v2, v3
	s_xor_b32 s14, exec_lo, s14
; %bb.3126:                             ;   in Loop: Header=BB6_2951 Depth=2
	v_cmp_lt_u32_e32 vcc_lo, 0xffffff, v30
	v_sub_nc_u32_e32 v2, v2, v3
	v_cndmask_b32_e64 v3, 0, 1, vcc_lo
	v_add_co_ci_u32_e64 v10, null, 0, v2, vcc_lo
	v_lshrrev_b32_e32 v30, v3, v30
; %bb.3127:                             ;   in Loop: Header=BB6_2951 Depth=2
	s_andn2_saveexec_b32 s14, s14
; %bb.3128:                             ;   in Loop: Header=BB6_2951 Depth=2
	v_bfe_u32 v10, v30, 23, 1
; %bb.3129:                             ;   in Loop: Header=BB6_2951 Depth=2
	s_or_b32 exec_lo, exec_lo, s14
	v_lshrrev_b32_e32 v2, 21, v30
	v_min_i32_e32 v3, 31, v10
	v_cmp_gt_i32_e32 vcc_lo, 32, v10
	v_and_b32_sdwa v30, v34, v58 dst_sel:DWORD dst_unused:UNUSED_PAD src0_sel:BYTE_3 src1_sel:DWORD
	v_lshlrev_b32_e32 v3, 2, v3
	v_cndmask_b32_e32 v2, 3, v2, vcc_lo
	v_and_b32_e32 v3, 0xfc, v3
	v_and_b32_e32 v33, 3, v2
	v_or_b32_e32 v2, v10, v2
	v_or3_b32 v3, v3, v30, v33
	v_cmp_ne_u32_e32 vcc_lo, 0, v2
	v_cndmask_b32_e32 v33, 0, v3, vcc_lo
.LBB6_3130:                             ;   in Loop: Header=BB6_2951 Depth=2
	s_or_b32 exec_lo, exec_lo, s42
.LBB6_3131:                             ;   in Loop: Header=BB6_2951 Depth=2
	s_or_b32 exec_lo, exec_lo, s41
	v_and_b32_sdwa v2, v59, v11 dst_sel:DWORD dst_unused:UNUSED_PAD src0_sel:DWORD src1_sel:BYTE_1
	v_cmp_gt_i16_sdwa s41, v15, v57 src0_sel:BYTE_1 src1_sel:DWORD
	s_mov_b32 s14, -1
                                        ; implicit-def: $vgpr35
	v_and_b32_e32 v3, 3, v2
	v_bfe_u32 v34, v2, 2, 5
	v_ffbh_u32_e32 v10, v3
	v_cmp_eq_u32_e32 vcc_lo, 0, v34
	v_min_u32_e32 v10, 32, v10
	v_subrev_nc_u32_e32 v30, 29, v10
	v_sub_nc_u32_e32 v10, 30, v10
	v_lshlrev_b32_e32 v2, v30, v2
	v_lshlrev_b32_sdwa v30, v61, v11 dst_sel:DWORD dst_unused:UNUSED_PAD src0_sel:DWORD src1_sel:BYTE_1
	v_cndmask_b32_e32 v10, v34, v10, vcc_lo
	v_and_b32_e32 v2, 3, v2
	v_lshl_add_u32 v10, v10, 23, 0x37800000
	v_cndmask_b32_e32 v2, v3, v2, vcc_lo
	v_and_b32_e32 v3, 0x80000000, v30
	s_and_b32 vcc_lo, exec_lo, s40
	v_lshlrev_b32_e32 v2, 21, v2
	v_or3_b32 v10, v3, v10, v2
	s_cbranch_vccz .LBB6_3145
; %bb.3132:                             ;   in Loop: Header=BB6_2951 Depth=2
	s_mov_b32 s14, 0
	s_and_saveexec_b32 s42, s41
	s_xor_b32 s41, exec_lo, s42
	s_cbranch_execz .LBB6_3565
; %bb.3133:                             ;   in Loop: Header=BB6_2951 Depth=2
	v_cmp_eq_u16_sdwa s43, v15, v58 src0_sel:BYTE_1 src1_sel:DWORD
	s_mov_b32 s14, -1
	s_and_saveexec_b32 s42, s43
; %bb.3134:                             ;   in Loop: Header=BB6_2951 Depth=2
	s_xor_b32 s14, exec_lo, -1
; %bb.3135:                             ;   in Loop: Header=BB6_2951 Depth=2
	s_or_b32 exec_lo, exec_lo, s42
	s_and_b32 s14, s14, exec_lo
	s_or_saveexec_b32 s41, s41
	v_mov_b32_e32 v34, 0x7f800001
	s_xor_b32 exec_lo, exec_lo, s41
	s_cbranch_execnz .LBB6_3566
.LBB6_3136:                             ;   in Loop: Header=BB6_2951 Depth=2
	s_or_b32 exec_lo, exec_lo, s41
	s_and_saveexec_b32 s41, s14
	s_cbranch_execz .LBB6_3138
.LBB6_3137:                             ;   in Loop: Header=BB6_2951 Depth=2
	v_and_b32_sdwa v2, v59, v15 dst_sel:DWORD dst_unused:UNUSED_PAD src0_sel:DWORD src1_sel:BYTE_1
	v_and_b32_e32 v3, 3, v2
	v_bfe_u32 v35, v2, 2, 5
	v_ffbh_u32_e32 v30, v3
	v_cmp_eq_u32_e32 vcc_lo, 0, v35
	v_min_u32_e32 v30, 32, v30
	v_subrev_nc_u32_e32 v34, 29, v30
	v_sub_nc_u32_e32 v30, 30, v30
	v_lshlrev_b32_e32 v2, v34, v2
	v_lshlrev_b32_e32 v34, 16, v15
	v_cndmask_b32_e32 v30, v35, v30, vcc_lo
	v_and_b32_e32 v2, 3, v2
	v_lshl_add_u32 v30, v30, 23, 0x37800000
	v_cndmask_b32_e32 v2, v3, v2, vcc_lo
	v_and_b32_e32 v3, 0x80000000, v34
	v_lshlrev_b32_e32 v2, 21, v2
	v_or3_b32 v34, v3, v30, v2
.LBB6_3138:                             ;   in Loop: Header=BB6_2951 Depth=2
	s_or_b32 exec_lo, exec_lo, s41
	v_cmp_gt_i16_sdwa s41, v11, v57 src0_sel:BYTE_1 src1_sel:DWORD
	s_mov_b32 s14, 0
	s_and_saveexec_b32 s42, s41
	s_xor_b32 s41, exec_lo, s42
	s_cbranch_execz .LBB6_3567
; %bb.3139:                             ;   in Loop: Header=BB6_2951 Depth=2
	v_cmp_eq_u16_sdwa s43, v11, v58 src0_sel:BYTE_1 src1_sel:DWORD
	s_mov_b32 s14, -1
	s_and_saveexec_b32 s42, s43
; %bb.3140:                             ;   in Loop: Header=BB6_2951 Depth=2
	s_xor_b32 s14, exec_lo, -1
; %bb.3141:                             ;   in Loop: Header=BB6_2951 Depth=2
	s_or_b32 exec_lo, exec_lo, s42
	s_and_b32 s14, s14, exec_lo
	s_or_saveexec_b32 s41, s41
	v_mov_b32_e32 v2, 0x7f800001
	s_xor_b32 exec_lo, exec_lo, s41
	s_cbranch_execnz .LBB6_3568
.LBB6_3142:                             ;   in Loop: Header=BB6_2951 Depth=2
	s_or_b32 exec_lo, exec_lo, s41
	s_and_saveexec_b32 s41, s14
.LBB6_3143:                             ;   in Loop: Header=BB6_2951 Depth=2
	v_mov_b32_e32 v2, v10
.LBB6_3144:                             ;   in Loop: Header=BB6_2951 Depth=2
	s_or_b32 exec_lo, exec_lo, s41
	v_max_f32_e32 v2, v2, v2
	v_max_f32_e32 v3, v34, v34
	s_mov_b32 s14, 0
	v_max_f32_e32 v35, v3, v2
.LBB6_3145:                             ;   in Loop: Header=BB6_2951 Depth=2
	s_and_b32 vcc_lo, exec_lo, s14
	s_cbranch_vccz .LBB6_3159
; %bb.3146:                             ;   in Loop: Header=BB6_2951 Depth=2
	v_cmp_gt_i16_sdwa s41, v15, v57 src0_sel:BYTE_1 src1_sel:DWORD
	s_mov_b32 s14, 0
	s_and_saveexec_b32 s42, s41
	s_xor_b32 s41, exec_lo, s42
	s_cbranch_execz .LBB6_3569
; %bb.3147:                             ;   in Loop: Header=BB6_2951 Depth=2
	v_cmp_eq_u16_sdwa s43, v15, v58 src0_sel:BYTE_1 src1_sel:DWORD
	s_mov_b32 s14, -1
	s_and_saveexec_b32 s42, s43
; %bb.3148:                             ;   in Loop: Header=BB6_2951 Depth=2
	s_xor_b32 s14, exec_lo, -1
; %bb.3149:                             ;   in Loop: Header=BB6_2951 Depth=2
	s_or_b32 exec_lo, exec_lo, s42
	s_and_b32 s14, s14, exec_lo
	s_or_saveexec_b32 s41, s41
	v_mov_b32_e32 v34, 0x7f800001
	s_xor_b32 exec_lo, exec_lo, s41
	s_cbranch_execnz .LBB6_3570
.LBB6_3150:                             ;   in Loop: Header=BB6_2951 Depth=2
	s_or_b32 exec_lo, exec_lo, s41
	s_and_saveexec_b32 s41, s14
	s_cbranch_execz .LBB6_3152
.LBB6_3151:                             ;   in Loop: Header=BB6_2951 Depth=2
	v_and_b32_sdwa v2, v59, v15 dst_sel:DWORD dst_unused:UNUSED_PAD src0_sel:DWORD src1_sel:BYTE_1
	v_and_b32_e32 v3, 3, v2
	v_bfe_u32 v35, v2, 2, 5
	v_ffbh_u32_e32 v30, v3
	v_cmp_eq_u32_e32 vcc_lo, 0, v35
	v_min_u32_e32 v30, 32, v30
	v_subrev_nc_u32_e32 v34, 29, v30
	v_sub_nc_u32_e32 v30, 30, v30
	v_lshlrev_b32_e32 v2, v34, v2
	v_lshlrev_b32_e32 v34, 16, v15
	v_cndmask_b32_e32 v30, v35, v30, vcc_lo
	v_and_b32_e32 v2, 3, v2
	v_lshl_add_u32 v30, v30, 23, 0x37800000
	v_cndmask_b32_e32 v2, v3, v2, vcc_lo
	v_and_b32_e32 v3, 0x80000000, v34
	v_lshlrev_b32_e32 v2, 21, v2
	v_or3_b32 v34, v3, v30, v2
.LBB6_3152:                             ;   in Loop: Header=BB6_2951 Depth=2
	s_or_b32 exec_lo, exec_lo, s41
	v_cmp_gt_i16_sdwa s41, v11, v57 src0_sel:BYTE_1 src1_sel:DWORD
	s_mov_b32 s14, 0
	s_and_saveexec_b32 s42, s41
	s_xor_b32 s41, exec_lo, s42
	s_cbranch_execz .LBB6_3571
; %bb.3153:                             ;   in Loop: Header=BB6_2951 Depth=2
	v_cmp_eq_u16_sdwa s43, v11, v58 src0_sel:BYTE_1 src1_sel:DWORD
	s_mov_b32 s14, -1
	s_and_saveexec_b32 s42, s43
; %bb.3154:                             ;   in Loop: Header=BB6_2951 Depth=2
	s_xor_b32 s14, exec_lo, -1
; %bb.3155:                             ;   in Loop: Header=BB6_2951 Depth=2
	s_or_b32 exec_lo, exec_lo, s42
	s_and_b32 s14, s14, exec_lo
	s_or_saveexec_b32 s41, s41
	v_mov_b32_e32 v2, 0x7f800001
	s_xor_b32 exec_lo, exec_lo, s41
	s_cbranch_execnz .LBB6_3572
.LBB6_3156:                             ;   in Loop: Header=BB6_2951 Depth=2
	s_or_b32 exec_lo, exec_lo, s41
	s_and_saveexec_b32 s41, s14
.LBB6_3157:                             ;   in Loop: Header=BB6_2951 Depth=2
	v_mov_b32_e32 v2, v10
.LBB6_3158:                             ;   in Loop: Header=BB6_2951 Depth=2
	s_or_b32 exec_lo, exec_lo, s41
	v_max_f32_e32 v2, v2, v2
	v_max_f32_e32 v3, v34, v34
	v_min_f32_e32 v35, v3, v2
.LBB6_3159:                             ;   in Loop: Header=BB6_2951 Depth=2
	v_and_b32_e32 v2, 0x7f800000, v35
	v_mov_b32_e32 v34, 0x8000
	s_mov_b32 s41, exec_lo
	v_cmpx_ne_u32_e32 0x7f800000, v2
	s_cbranch_execz .LBB6_3167
; %bb.3160:                             ;   in Loop: Header=BB6_2951 Depth=2
	v_mov_b32_e32 v34, 0
	s_mov_b32 s42, exec_lo
	v_cmpx_ne_u32_e32 0, v35
	s_cbranch_execz .LBB6_3166
; %bb.3161:                             ;   in Loop: Header=BB6_2951 Depth=2
	v_bfe_u32 v2, v35, 23, 8
	v_and_b32_e32 v3, 0x7fffff, v35
	v_sub_nc_u32_e32 v10, 0x70, v2
	v_cmp_gt_u32_e32 vcc_lo, 0x71, v2
	v_or_b32_e32 v30, 0x800000, v3
	v_cndmask_b32_e32 v10, 0, v10, vcc_lo
	v_cmp_eq_u32_e32 vcc_lo, 0, v2
	v_add_nc_u32_e32 v2, 0xffffff91, v2
	v_cndmask_b32_e64 v10, v10, 0x6f, vcc_lo
	v_cndmask_b32_e32 v3, v30, v3, vcc_lo
	v_cndmask_b32_e64 v2, v2, 0xffffff92, vcc_lo
	v_lshl_add_u32 v34, 0x200000, v10, -1
	v_lshrrev_b32_e32 v30, v10, v3
	v_lshlrev_b32_e64 v37, v10, 0x100000
	v_add_nc_u32_e32 v2, v10, v2
	v_and_b32_e32 v3, v34, v3
	v_bfe_u32 v36, v30, 21, 1
	v_cmp_eq_u32_e64 s14, v3, v37
	v_add_nc_u32_e32 v34, -1, v36
	v_cndmask_b32_e64 v3, 0, v34, s14
	v_lshrrev_b32_e32 v34, 23, v30
	s_mov_b32 s14, exec_lo
	v_add_nc_u32_e32 v3, v3, v30
	v_and_b32_e32 v10, 0x1fffff, v3
	v_xor_b32_e32 v3, 1, v34
	v_add_nc_u32_e32 v30, v10, v30
                                        ; implicit-def: $vgpr10
	v_cmpx_ne_u32_e64 v2, v3
	s_xor_b32 s14, exec_lo, s14
; %bb.3162:                             ;   in Loop: Header=BB6_2951 Depth=2
	v_cmp_lt_u32_e32 vcc_lo, 0xffffff, v30
	v_sub_nc_u32_e32 v2, v2, v3
	v_cndmask_b32_e64 v3, 0, 1, vcc_lo
	v_add_co_ci_u32_e64 v10, null, 0, v2, vcc_lo
	v_lshrrev_b32_e32 v30, v3, v30
; %bb.3163:                             ;   in Loop: Header=BB6_2951 Depth=2
	s_andn2_saveexec_b32 s14, s14
; %bb.3164:                             ;   in Loop: Header=BB6_2951 Depth=2
	v_bfe_u32 v10, v30, 23, 1
; %bb.3165:                             ;   in Loop: Header=BB6_2951 Depth=2
	s_or_b32 exec_lo, exec_lo, s14
	v_lshrrev_b32_e32 v2, 21, v30
	v_min_i32_e32 v3, 31, v10
	v_cmp_gt_i32_e32 vcc_lo, 32, v10
	v_and_b32_sdwa v30, v35, v58 dst_sel:DWORD dst_unused:UNUSED_PAD src0_sel:BYTE_3 src1_sel:DWORD
	v_lshlrev_b32_e32 v3, 2, v3
	v_cndmask_b32_e32 v2, 3, v2, vcc_lo
	v_and_b32_e32 v3, 0xfc, v3
	v_and_b32_e32 v34, 3, v2
	v_or_b32_e32 v2, v10, v2
	v_or3_b32 v3, v30, v3, v34
	v_cmp_ne_u32_e32 vcc_lo, 0, v2
	v_lshlrev_b32_e32 v3, 8, v3
	v_cndmask_b32_e32 v34, 0, v3, vcc_lo
.LBB6_3166:                             ;   in Loop: Header=BB6_2951 Depth=2
	s_or_b32 exec_lo, exec_lo, s42
.LBB6_3167:                             ;   in Loop: Header=BB6_2951 Depth=2
	s_or_b32 exec_lo, exec_lo, s41
	v_bfe_u32 v2, v11, 16, 2
	v_bfe_u32 v30, v11, 18, 5
	v_lshlrev_b32_e32 v35, 8, v11
	s_mov_b32 s41, -1
                                        ; implicit-def: $vgpr36
	v_ffbh_u32_e32 v3, v2
	v_cmp_eq_u32_e32 vcc_lo, 0, v30
	v_min_u32_e32 v3, 32, v3
	v_subrev_nc_u32_e32 v10, 29, v3
	v_sub_nc_u32_e32 v3, 30, v3
	v_lshlrev_b32_sdwa v10, v10, v11 dst_sel:DWORD dst_unused:UNUSED_PAD src0_sel:DWORD src1_sel:WORD_1
	v_cndmask_b32_e32 v3, v30, v3, vcc_lo
	v_and_b32_e32 v10, 3, v10
	v_lshl_add_u32 v3, v3, 23, 0x37800000
	v_cndmask_b32_e32 v2, v2, v10, vcc_lo
	v_and_b32_e32 v10, 0x80000000, v35
	v_and_b32_sdwa v35, v15, v60 dst_sel:DWORD dst_unused:UNUSED_PAD src0_sel:WORD_1 src1_sel:DWORD
	s_and_b32 vcc_lo, exec_lo, s40
	v_lshlrev_b32_e32 v2, 21, v2
	v_cmp_lt_i16_e64 s14, 0x7f, v35
	v_or3_b32 v10, v10, v3, v2
	s_cbranch_vccz .LBB6_3181
; %bb.3168:                             ;   in Loop: Header=BB6_2951 Depth=2
	s_mov_b32 s41, 0
	s_and_saveexec_b32 s42, s14
	s_xor_b32 s14, exec_lo, s42
	s_cbranch_execz .LBB6_3573
; %bb.3169:                             ;   in Loop: Header=BB6_2951 Depth=2
	s_mov_b32 s41, -1
	s_mov_b32 s42, exec_lo
	v_cmpx_eq_u16_e32 0x80, v35
; %bb.3170:                             ;   in Loop: Header=BB6_2951 Depth=2
	s_xor_b32 s41, exec_lo, -1
; %bb.3171:                             ;   in Loop: Header=BB6_2951 Depth=2
	s_or_b32 exec_lo, exec_lo, s42
	s_and_b32 s41, s41, exec_lo
	s_or_saveexec_b32 s14, s14
	v_mov_b32_e32 v36, 0x7f800001
	s_xor_b32 exec_lo, exec_lo, s14
	s_cbranch_execnz .LBB6_3574
.LBB6_3172:                             ;   in Loop: Header=BB6_2951 Depth=2
	s_or_b32 exec_lo, exec_lo, s14
	s_and_saveexec_b32 s14, s41
	s_cbranch_execz .LBB6_3174
.LBB6_3173:                             ;   in Loop: Header=BB6_2951 Depth=2
	v_bfe_u32 v2, v15, 16, 2
	v_bfe_u32 v36, v15, 18, 5
	v_lshlrev_b32_sdwa v37, v61, v15 dst_sel:DWORD dst_unused:UNUSED_PAD src0_sel:DWORD src1_sel:WORD_1
	v_ffbh_u32_e32 v3, v2
	v_cmp_eq_u32_e32 vcc_lo, 0, v36
	v_min_u32_e32 v3, 32, v3
	v_subrev_nc_u32_e32 v30, 29, v3
	v_sub_nc_u32_e32 v3, 30, v3
	v_lshlrev_b32_sdwa v30, v30, v15 dst_sel:DWORD dst_unused:UNUSED_PAD src0_sel:DWORD src1_sel:WORD_1
	v_cndmask_b32_e32 v3, v36, v3, vcc_lo
	v_and_b32_e32 v30, 3, v30
	v_lshl_add_u32 v3, v3, 23, 0x37800000
	v_cndmask_b32_e32 v2, v2, v30, vcc_lo
	v_and_b32_e32 v30, 0x80000000, v37
	v_lshlrev_b32_e32 v2, 21, v2
	v_or3_b32 v36, v30, v3, v2
.LBB6_3174:                             ;   in Loop: Header=BB6_2951 Depth=2
	s_or_b32 exec_lo, exec_lo, s14
	v_and_b32_sdwa v3, v11, v60 dst_sel:DWORD dst_unused:UNUSED_PAD src0_sel:WORD_1 src1_sel:DWORD
	s_mov_b32 s14, 0
	s_mov_b32 s41, exec_lo
	v_cmpx_lt_i16_e32 0x7f, v3
	s_xor_b32 s41, exec_lo, s41
	s_cbranch_execz .LBB6_3575
; %bb.3175:                             ;   in Loop: Header=BB6_2951 Depth=2
	s_mov_b32 s14, -1
	s_mov_b32 s42, exec_lo
	v_cmpx_eq_u16_e32 0x80, v3
; %bb.3176:                             ;   in Loop: Header=BB6_2951 Depth=2
	s_xor_b32 s14, exec_lo, -1
; %bb.3177:                             ;   in Loop: Header=BB6_2951 Depth=2
	s_or_b32 exec_lo, exec_lo, s42
	s_and_b32 s14, s14, exec_lo
                                        ; implicit-def: $vgpr3
	s_or_saveexec_b32 s41, s41
	v_mov_b32_e32 v2, 0x7f800001
	s_xor_b32 exec_lo, exec_lo, s41
	s_cbranch_execnz .LBB6_3576
.LBB6_3178:                             ;   in Loop: Header=BB6_2951 Depth=2
	s_or_b32 exec_lo, exec_lo, s41
	s_and_saveexec_b32 s41, s14
.LBB6_3179:                             ;   in Loop: Header=BB6_2951 Depth=2
	v_mov_b32_e32 v2, v10
.LBB6_3180:                             ;   in Loop: Header=BB6_2951 Depth=2
	s_or_b32 exec_lo, exec_lo, s41
	v_max_f32_e32 v2, v2, v2
	v_max_f32_e32 v3, v36, v36
	s_mov_b32 s41, 0
	v_max_f32_e32 v36, v3, v2
.LBB6_3181:                             ;   in Loop: Header=BB6_2951 Depth=2
	s_and_b32 vcc_lo, exec_lo, s41
	s_cbranch_vccz .LBB6_3195
; %bb.3182:                             ;   in Loop: Header=BB6_2951 Depth=2
	s_mov_b32 s14, 0
	s_mov_b32 s41, exec_lo
	v_cmpx_lt_i16_e32 0x7f, v35
	s_xor_b32 s41, exec_lo, s41
	s_cbranch_execz .LBB6_3577
; %bb.3183:                             ;   in Loop: Header=BB6_2951 Depth=2
	s_mov_b32 s14, -1
	s_mov_b32 s42, exec_lo
	v_cmpx_eq_u16_e32 0x80, v35
; %bb.3184:                             ;   in Loop: Header=BB6_2951 Depth=2
	s_xor_b32 s14, exec_lo, -1
; %bb.3185:                             ;   in Loop: Header=BB6_2951 Depth=2
	s_or_b32 exec_lo, exec_lo, s42
	s_and_b32 s14, s14, exec_lo
                                        ; implicit-def: $vgpr35
	s_or_saveexec_b32 s41, s41
	v_mov_b32_e32 v36, 0x7f800001
	s_xor_b32 exec_lo, exec_lo, s41
	s_cbranch_execnz .LBB6_3578
.LBB6_3186:                             ;   in Loop: Header=BB6_2951 Depth=2
	s_or_b32 exec_lo, exec_lo, s41
	s_and_saveexec_b32 s41, s14
	s_cbranch_execz .LBB6_3188
.LBB6_3187:                             ;   in Loop: Header=BB6_2951 Depth=2
	v_bfe_u32 v2, v15, 16, 2
	v_bfe_u32 v35, v15, 18, 5
	v_lshlrev_b32_sdwa v36, v61, v15 dst_sel:DWORD dst_unused:UNUSED_PAD src0_sel:DWORD src1_sel:WORD_1
	v_ffbh_u32_e32 v3, v2
	v_cmp_eq_u32_e32 vcc_lo, 0, v35
	v_min_u32_e32 v3, 32, v3
	v_subrev_nc_u32_e32 v30, 29, v3
	v_sub_nc_u32_e32 v3, 30, v3
	v_lshlrev_b32_sdwa v30, v30, v15 dst_sel:DWORD dst_unused:UNUSED_PAD src0_sel:DWORD src1_sel:WORD_1
	v_cndmask_b32_e32 v3, v35, v3, vcc_lo
	v_and_b32_e32 v30, 3, v30
	v_lshl_add_u32 v3, v3, 23, 0x37800000
	v_cndmask_b32_e32 v2, v2, v30, vcc_lo
	v_and_b32_e32 v30, 0x80000000, v36
	v_lshlrev_b32_e32 v2, 21, v2
	v_or3_b32 v36, v30, v3, v2
.LBB6_3188:                             ;   in Loop: Header=BB6_2951 Depth=2
	s_or_b32 exec_lo, exec_lo, s41
	v_and_b32_sdwa v3, v11, v60 dst_sel:DWORD dst_unused:UNUSED_PAD src0_sel:WORD_1 src1_sel:DWORD
	s_mov_b32 s14, 0
	s_mov_b32 s41, exec_lo
	v_cmpx_lt_i16_e32 0x7f, v3
	s_xor_b32 s41, exec_lo, s41
	s_cbranch_execz .LBB6_3579
; %bb.3189:                             ;   in Loop: Header=BB6_2951 Depth=2
	s_mov_b32 s14, -1
	s_mov_b32 s42, exec_lo
	v_cmpx_eq_u16_e32 0x80, v3
; %bb.3190:                             ;   in Loop: Header=BB6_2951 Depth=2
	s_xor_b32 s14, exec_lo, -1
; %bb.3191:                             ;   in Loop: Header=BB6_2951 Depth=2
	s_or_b32 exec_lo, exec_lo, s42
	s_and_b32 s14, s14, exec_lo
                                        ; implicit-def: $vgpr3
	s_or_saveexec_b32 s41, s41
	v_mov_b32_e32 v2, 0x7f800001
	s_xor_b32 exec_lo, exec_lo, s41
	s_cbranch_execnz .LBB6_3580
.LBB6_3192:                             ;   in Loop: Header=BB6_2951 Depth=2
	s_or_b32 exec_lo, exec_lo, s41
	s_and_saveexec_b32 s41, s14
.LBB6_3193:                             ;   in Loop: Header=BB6_2951 Depth=2
	v_mov_b32_e32 v2, v10
.LBB6_3194:                             ;   in Loop: Header=BB6_2951 Depth=2
	s_or_b32 exec_lo, exec_lo, s41
	v_max_f32_e32 v2, v2, v2
	v_max_f32_e32 v3, v36, v36
	v_min_f32_e32 v36, v3, v2
.LBB6_3195:                             ;   in Loop: Header=BB6_2951 Depth=2
	v_and_b32_e32 v2, 0x7f800000, v36
	v_mov_b32_e32 v35, 0x80
	s_mov_b32 s41, exec_lo
	v_cmpx_ne_u32_e32 0x7f800000, v2
	s_cbranch_execz .LBB6_3203
; %bb.3196:                             ;   in Loop: Header=BB6_2951 Depth=2
	v_mov_b32_e32 v35, 0
	s_mov_b32 s42, exec_lo
	v_cmpx_ne_u32_e32 0, v36
	s_cbranch_execz .LBB6_3202
; %bb.3197:                             ;   in Loop: Header=BB6_2951 Depth=2
	v_bfe_u32 v2, v36, 23, 8
	v_and_b32_e32 v3, 0x7fffff, v36
	v_sub_nc_u32_e32 v10, 0x70, v2
	v_cmp_gt_u32_e32 vcc_lo, 0x71, v2
	v_or_b32_e32 v30, 0x800000, v3
	v_cndmask_b32_e32 v10, 0, v10, vcc_lo
	v_cmp_eq_u32_e32 vcc_lo, 0, v2
	v_add_nc_u32_e32 v2, 0xffffff91, v2
	v_cndmask_b32_e64 v10, v10, 0x6f, vcc_lo
	v_cndmask_b32_e32 v3, v30, v3, vcc_lo
	v_cndmask_b32_e64 v2, v2, 0xffffff92, vcc_lo
	v_lshl_add_u32 v35, 0x200000, v10, -1
	v_lshrrev_b32_e32 v30, v10, v3
	v_lshlrev_b32_e64 v38, v10, 0x100000
	v_add_nc_u32_e32 v2, v10, v2
	v_and_b32_e32 v3, v35, v3
	v_bfe_u32 v37, v30, 21, 1
	v_cmp_eq_u32_e64 s14, v3, v38
	v_add_nc_u32_e32 v35, -1, v37
	v_cndmask_b32_e64 v3, 0, v35, s14
	v_lshrrev_b32_e32 v35, 23, v30
	s_mov_b32 s14, exec_lo
	v_add_nc_u32_e32 v3, v3, v30
	v_and_b32_e32 v10, 0x1fffff, v3
	v_xor_b32_e32 v3, 1, v35
	v_add_nc_u32_e32 v30, v10, v30
                                        ; implicit-def: $vgpr10
	v_cmpx_ne_u32_e64 v2, v3
	s_xor_b32 s14, exec_lo, s14
; %bb.3198:                             ;   in Loop: Header=BB6_2951 Depth=2
	v_cmp_lt_u32_e32 vcc_lo, 0xffffff, v30
	v_sub_nc_u32_e32 v2, v2, v3
	v_cndmask_b32_e64 v3, 0, 1, vcc_lo
	v_add_co_ci_u32_e64 v10, null, 0, v2, vcc_lo
	v_lshrrev_b32_e32 v30, v3, v30
; %bb.3199:                             ;   in Loop: Header=BB6_2951 Depth=2
	s_andn2_saveexec_b32 s14, s14
; %bb.3200:                             ;   in Loop: Header=BB6_2951 Depth=2
	v_bfe_u32 v10, v30, 23, 1
; %bb.3201:                             ;   in Loop: Header=BB6_2951 Depth=2
	s_or_b32 exec_lo, exec_lo, s14
	v_lshrrev_b32_e32 v2, 21, v30
	v_min_i32_e32 v3, 31, v10
	v_cmp_gt_i32_e32 vcc_lo, 32, v10
	v_and_b32_sdwa v30, v36, v58 dst_sel:DWORD dst_unused:UNUSED_PAD src0_sel:BYTE_3 src1_sel:DWORD
	v_lshlrev_b32_e32 v3, 2, v3
	v_cndmask_b32_e32 v2, 3, v2, vcc_lo
	v_and_b32_e32 v3, 0xfc, v3
	v_and_b32_e32 v35, 3, v2
	v_or_b32_e32 v2, v10, v2
	v_or3_b32 v3, v3, v30, v35
	v_cmp_ne_u32_e32 vcc_lo, 0, v2
	v_cndmask_b32_e32 v35, 0, v3, vcc_lo
.LBB6_3202:                             ;   in Loop: Header=BB6_2951 Depth=2
	s_or_b32 exec_lo, exec_lo, s42
.LBB6_3203:                             ;   in Loop: Header=BB6_2951 Depth=2
	s_or_b32 exec_lo, exec_lo, s41
	v_bfe_u32 v2, v11, 24, 2
	v_bfe_u32 v30, v11, 26, 5
	v_cmp_gt_i16_sdwa s41, v15, v57 src0_sel:BYTE_3 src1_sel:DWORD
	s_mov_b32 s14, -1
                                        ; implicit-def: $vgpr36
	v_ffbh_u32_e32 v3, v2
	v_cmp_eq_u32_e32 vcc_lo, 0, v30
	v_min_u32_e32 v3, 32, v3
	v_subrev_nc_u32_e32 v10, 29, v3
	v_sub_nc_u32_e32 v3, 30, v3
	v_lshlrev_b32_sdwa v10, v10, v11 dst_sel:DWORD dst_unused:UNUSED_PAD src0_sel:DWORD src1_sel:BYTE_3
	v_cndmask_b32_e32 v3, v30, v3, vcc_lo
	v_and_b32_e32 v10, 3, v10
	v_lshl_add_u32 v3, v3, 23, 0x37800000
	v_cndmask_b32_e32 v2, v2, v10, vcc_lo
	v_and_b32_e32 v10, 0x80000000, v11
	s_and_b32 vcc_lo, exec_lo, s40
	v_lshlrev_b32_e32 v2, 21, v2
	v_or3_b32 v10, v10, v3, v2
	s_cbranch_vccz .LBB6_3217
; %bb.3204:                             ;   in Loop: Header=BB6_2951 Depth=2
	s_mov_b32 s14, 0
	s_and_saveexec_b32 s42, s41
	s_xor_b32 s41, exec_lo, s42
	s_cbranch_execz .LBB6_3581
; %bb.3205:                             ;   in Loop: Header=BB6_2951 Depth=2
	v_cmp_eq_u16_sdwa s43, v15, v58 src0_sel:BYTE_3 src1_sel:DWORD
	s_mov_b32 s14, -1
	s_and_saveexec_b32 s42, s43
; %bb.3206:                             ;   in Loop: Header=BB6_2951 Depth=2
	s_xor_b32 s14, exec_lo, -1
; %bb.3207:                             ;   in Loop: Header=BB6_2951 Depth=2
	s_or_b32 exec_lo, exec_lo, s42
	s_and_b32 s14, s14, exec_lo
	s_or_saveexec_b32 s41, s41
	v_mov_b32_e32 v36, 0x7f800001
	s_xor_b32 exec_lo, exec_lo, s41
	s_cbranch_execnz .LBB6_3582
.LBB6_3208:                             ;   in Loop: Header=BB6_2951 Depth=2
	s_or_b32 exec_lo, exec_lo, s41
	s_and_saveexec_b32 s41, s14
	s_cbranch_execz .LBB6_3210
.LBB6_3209:                             ;   in Loop: Header=BB6_2951 Depth=2
	v_bfe_u32 v2, v15, 24, 2
	v_bfe_u32 v36, v15, 26, 5
	v_ffbh_u32_e32 v3, v2
	v_cmp_eq_u32_e32 vcc_lo, 0, v36
	v_min_u32_e32 v3, 32, v3
	v_subrev_nc_u32_e32 v30, 29, v3
	v_sub_nc_u32_e32 v3, 30, v3
	v_lshlrev_b32_sdwa v30, v30, v15 dst_sel:DWORD dst_unused:UNUSED_PAD src0_sel:DWORD src1_sel:BYTE_3
	v_cndmask_b32_e32 v3, v36, v3, vcc_lo
	v_and_b32_e32 v30, 3, v30
	v_lshl_add_u32 v3, v3, 23, 0x37800000
	v_cndmask_b32_e32 v2, v2, v30, vcc_lo
	v_and_b32_e32 v30, 0x80000000, v15
	v_lshlrev_b32_e32 v2, 21, v2
	v_or3_b32 v36, v30, v3, v2
.LBB6_3210:                             ;   in Loop: Header=BB6_2951 Depth=2
	s_or_b32 exec_lo, exec_lo, s41
	v_cmp_gt_i16_sdwa s41, v11, v57 src0_sel:BYTE_3 src1_sel:DWORD
	s_mov_b32 s14, 0
	s_and_saveexec_b32 s42, s41
	s_xor_b32 s41, exec_lo, s42
	s_cbranch_execz .LBB6_3583
; %bb.3211:                             ;   in Loop: Header=BB6_2951 Depth=2
	v_cmp_eq_u16_sdwa s43, v11, v58 src0_sel:BYTE_3 src1_sel:DWORD
	s_mov_b32 s14, -1
	s_and_saveexec_b32 s42, s43
; %bb.3212:                             ;   in Loop: Header=BB6_2951 Depth=2
	s_xor_b32 s14, exec_lo, -1
; %bb.3213:                             ;   in Loop: Header=BB6_2951 Depth=2
	s_or_b32 exec_lo, exec_lo, s42
	s_and_b32 s14, s14, exec_lo
	s_or_saveexec_b32 s41, s41
	v_mov_b32_e32 v2, 0x7f800001
	s_xor_b32 exec_lo, exec_lo, s41
	s_cbranch_execnz .LBB6_3584
.LBB6_3214:                             ;   in Loop: Header=BB6_2951 Depth=2
	s_or_b32 exec_lo, exec_lo, s41
	s_and_saveexec_b32 s41, s14
.LBB6_3215:                             ;   in Loop: Header=BB6_2951 Depth=2
	v_mov_b32_e32 v2, v10
.LBB6_3216:                             ;   in Loop: Header=BB6_2951 Depth=2
	s_or_b32 exec_lo, exec_lo, s41
	v_max_f32_e32 v2, v2, v2
	v_max_f32_e32 v3, v36, v36
	s_mov_b32 s14, 0
	v_max_f32_e32 v36, v3, v2
.LBB6_3217:                             ;   in Loop: Header=BB6_2951 Depth=2
	s_and_b32 vcc_lo, exec_lo, s14
	s_cbranch_vccz .LBB6_3231
; %bb.3218:                             ;   in Loop: Header=BB6_2951 Depth=2
	v_cmp_gt_i16_sdwa s41, v15, v57 src0_sel:BYTE_3 src1_sel:DWORD
	s_mov_b32 s14, 0
	s_and_saveexec_b32 s42, s41
	s_xor_b32 s41, exec_lo, s42
	s_cbranch_execz .LBB6_3585
; %bb.3219:                             ;   in Loop: Header=BB6_2951 Depth=2
	v_cmp_eq_u16_sdwa s43, v15, v58 src0_sel:BYTE_3 src1_sel:DWORD
	s_mov_b32 s14, -1
	s_and_saveexec_b32 s42, s43
; %bb.3220:                             ;   in Loop: Header=BB6_2951 Depth=2
	s_xor_b32 s14, exec_lo, -1
; %bb.3221:                             ;   in Loop: Header=BB6_2951 Depth=2
	s_or_b32 exec_lo, exec_lo, s42
	s_and_b32 s14, s14, exec_lo
	s_or_saveexec_b32 s41, s41
	v_mov_b32_e32 v36, 0x7f800001
	s_xor_b32 exec_lo, exec_lo, s41
	s_cbranch_execnz .LBB6_3586
.LBB6_3222:                             ;   in Loop: Header=BB6_2951 Depth=2
	s_or_b32 exec_lo, exec_lo, s41
	s_and_saveexec_b32 s41, s14
	s_cbranch_execz .LBB6_3224
.LBB6_3223:                             ;   in Loop: Header=BB6_2951 Depth=2
	v_bfe_u32 v2, v15, 24, 2
	v_bfe_u32 v36, v15, 26, 5
	v_ffbh_u32_e32 v3, v2
	v_cmp_eq_u32_e32 vcc_lo, 0, v36
	v_min_u32_e32 v3, 32, v3
	v_subrev_nc_u32_e32 v30, 29, v3
	v_sub_nc_u32_e32 v3, 30, v3
	v_lshlrev_b32_sdwa v30, v30, v15 dst_sel:DWORD dst_unused:UNUSED_PAD src0_sel:DWORD src1_sel:BYTE_3
	v_cndmask_b32_e32 v3, v36, v3, vcc_lo
	v_and_b32_e32 v15, 0x80000000, v15
	v_and_b32_e32 v30, 3, v30
	v_lshl_add_u32 v3, v3, 23, 0x37800000
	v_cndmask_b32_e32 v2, v2, v30, vcc_lo
	v_lshlrev_b32_e32 v2, 21, v2
	v_or3_b32 v36, v15, v3, v2
.LBB6_3224:                             ;   in Loop: Header=BB6_2951 Depth=2
	s_or_b32 exec_lo, exec_lo, s41
	v_cmp_gt_i16_sdwa s41, v11, v57 src0_sel:BYTE_3 src1_sel:DWORD
	s_mov_b32 s14, 0
	s_and_saveexec_b32 s42, s41
	s_xor_b32 s41, exec_lo, s42
	s_cbranch_execz .LBB6_3587
; %bb.3225:                             ;   in Loop: Header=BB6_2951 Depth=2
	v_cmp_eq_u16_sdwa s43, v11, v58 src0_sel:BYTE_3 src1_sel:DWORD
	s_mov_b32 s14, -1
	s_and_saveexec_b32 s42, s43
; %bb.3226:                             ;   in Loop: Header=BB6_2951 Depth=2
	s_xor_b32 s14, exec_lo, -1
; %bb.3227:                             ;   in Loop: Header=BB6_2951 Depth=2
	s_or_b32 exec_lo, exec_lo, s42
	s_and_b32 s14, s14, exec_lo
	s_or_saveexec_b32 s41, s41
	v_mov_b32_e32 v2, 0x7f800001
	s_xor_b32 exec_lo, exec_lo, s41
	s_cbranch_execnz .LBB6_3588
.LBB6_3228:                             ;   in Loop: Header=BB6_2951 Depth=2
	s_or_b32 exec_lo, exec_lo, s41
	s_and_saveexec_b32 s41, s14
.LBB6_3229:                             ;   in Loop: Header=BB6_2951 Depth=2
	v_mov_b32_e32 v2, v10
.LBB6_3230:                             ;   in Loop: Header=BB6_2951 Depth=2
	s_or_b32 exec_lo, exec_lo, s41
	v_max_f32_e32 v2, v2, v2
	v_max_f32_e32 v3, v36, v36
	v_min_f32_e32 v36, v3, v2
.LBB6_3231:                             ;   in Loop: Header=BB6_2951 Depth=2
	v_and_b32_e32 v2, 0x7f800000, v36
	v_mov_b32_e32 v15, 0x8000
	s_mov_b32 s41, exec_lo
	v_cmpx_ne_u32_e32 0x7f800000, v2
	s_cbranch_execz .LBB6_3239
; %bb.3232:                             ;   in Loop: Header=BB6_2951 Depth=2
	v_mov_b32_e32 v15, 0
	s_mov_b32 s42, exec_lo
	v_cmpx_ne_u32_e32 0, v36
	s_cbranch_execz .LBB6_3238
; %bb.3233:                             ;   in Loop: Header=BB6_2951 Depth=2
	v_bfe_u32 v2, v36, 23, 8
	v_and_b32_e32 v3, 0x7fffff, v36
	v_sub_nc_u32_e32 v10, 0x70, v2
	v_cmp_gt_u32_e32 vcc_lo, 0x71, v2
	v_or_b32_e32 v11, 0x800000, v3
	v_cndmask_b32_e32 v10, 0, v10, vcc_lo
	v_cmp_eq_u32_e32 vcc_lo, 0, v2
	v_add_nc_u32_e32 v2, 0xffffff91, v2
	v_cndmask_b32_e64 v10, v10, 0x6f, vcc_lo
	v_cndmask_b32_e32 v3, v11, v3, vcc_lo
	v_cndmask_b32_e64 v2, v2, 0xffffff92, vcc_lo
	v_lshl_add_u32 v15, 0x200000, v10, -1
	v_lshrrev_b32_e32 v11, v10, v3
	v_lshlrev_b32_e64 v37, v10, 0x100000
	v_add_nc_u32_e32 v2, v10, v2
	v_and_b32_e32 v3, v15, v3
	v_bfe_u32 v30, v11, 21, 1
	v_cmp_eq_u32_e64 s14, v3, v37
	v_add_nc_u32_e32 v15, -1, v30
	v_cndmask_b32_e64 v3, 0, v15, s14
	v_lshrrev_b32_e32 v15, 23, v11
	s_mov_b32 s14, exec_lo
	v_add_nc_u32_e32 v3, v3, v11
	v_and_b32_e32 v10, 0x1fffff, v3
	v_xor_b32_e32 v3, 1, v15
	v_add_nc_u32_e32 v11, v10, v11
                                        ; implicit-def: $vgpr10
	v_cmpx_ne_u32_e64 v2, v3
	s_xor_b32 s14, exec_lo, s14
; %bb.3234:                             ;   in Loop: Header=BB6_2951 Depth=2
	v_cmp_lt_u32_e32 vcc_lo, 0xffffff, v11
	v_sub_nc_u32_e32 v2, v2, v3
	v_cndmask_b32_e64 v3, 0, 1, vcc_lo
	v_add_co_ci_u32_e64 v10, null, 0, v2, vcc_lo
	v_lshrrev_b32_e32 v11, v3, v11
; %bb.3235:                             ;   in Loop: Header=BB6_2951 Depth=2
	s_andn2_saveexec_b32 s14, s14
; %bb.3236:                             ;   in Loop: Header=BB6_2951 Depth=2
	v_bfe_u32 v10, v11, 23, 1
; %bb.3237:                             ;   in Loop: Header=BB6_2951 Depth=2
	s_or_b32 exec_lo, exec_lo, s14
	v_lshrrev_b32_e32 v2, 21, v11
	v_min_i32_e32 v3, 31, v10
	v_cmp_gt_i32_e32 vcc_lo, 32, v10
	v_and_b32_sdwa v11, v36, v58 dst_sel:DWORD dst_unused:UNUSED_PAD src0_sel:BYTE_3 src1_sel:DWORD
	v_lshlrev_b32_e32 v3, 2, v3
	v_cndmask_b32_e32 v2, 3, v2, vcc_lo
	v_and_b32_e32 v3, 0xfc, v3
	v_and_b32_e32 v15, 3, v2
	v_or_b32_e32 v2, v10, v2
	v_or3_b32 v3, v11, v3, v15
	v_cmp_ne_u32_e32 vcc_lo, 0, v2
	v_lshlrev_b32_e32 v3, 8, v3
	v_cndmask_b32_e32 v15, 0, v3, vcc_lo
.LBB6_3238:                             ;   in Loop: Header=BB6_2951 Depth=2
	s_or_b32 exec_lo, exec_lo, s42
.LBB6_3239:                             ;   in Loop: Header=BB6_2951 Depth=2
	s_or_b32 exec_lo, exec_lo, s41
	v_and_b32_e32 v2, 3, v12
	v_bfe_u32 v11, v12, 2, 5
	v_lshlrev_b32_e32 v30, 24, v12
	v_cmp_gt_i16_sdwa s41, v16, v57 src0_sel:BYTE_0 src1_sel:DWORD
	s_mov_b32 s14, -1
	v_ffbh_u32_e32 v3, v2
	v_cmp_eq_u32_e32 vcc_lo, 0, v11
	v_min_u32_e32 v3, 32, v3
	v_subrev_nc_u32_e32 v10, 29, v3
	v_sub_nc_u32_e32 v3, 30, v3
	v_lshlrev_b32_e32 v10, v10, v12
	v_cndmask_b32_e32 v3, v11, v3, vcc_lo
                                        ; implicit-def: $vgpr11
	v_and_b32_e32 v10, 3, v10
	v_lshl_add_u32 v3, v3, 23, 0x37800000
	v_cndmask_b32_e32 v2, v2, v10, vcc_lo
	v_and_b32_e32 v10, 0x80000000, v30
	s_and_b32 vcc_lo, exec_lo, s40
	v_lshlrev_b32_e32 v2, 21, v2
	v_or3_b32 v10, v10, v3, v2
	s_cbranch_vccz .LBB6_3253
; %bb.3240:                             ;   in Loop: Header=BB6_2951 Depth=2
	s_mov_b32 s14, 0
	s_and_saveexec_b32 s42, s41
	s_xor_b32 s41, exec_lo, s42
	s_cbranch_execz .LBB6_3589
; %bb.3241:                             ;   in Loop: Header=BB6_2951 Depth=2
	v_cmp_eq_u16_sdwa s43, v16, v58 src0_sel:BYTE_0 src1_sel:DWORD
	s_mov_b32 s14, -1
	s_and_saveexec_b32 s42, s43
; %bb.3242:                             ;   in Loop: Header=BB6_2951 Depth=2
	s_xor_b32 s14, exec_lo, -1
; %bb.3243:                             ;   in Loop: Header=BB6_2951 Depth=2
	s_or_b32 exec_lo, exec_lo, s42
	s_and_b32 s14, s14, exec_lo
	s_or_saveexec_b32 s41, s41
	v_mov_b32_e32 v11, 0x7f800001
	s_xor_b32 exec_lo, exec_lo, s41
	s_cbranch_execnz .LBB6_3590
.LBB6_3244:                             ;   in Loop: Header=BB6_2951 Depth=2
	s_or_b32 exec_lo, exec_lo, s41
	s_and_saveexec_b32 s41, s14
	s_cbranch_execz .LBB6_3246
.LBB6_3245:                             ;   in Loop: Header=BB6_2951 Depth=2
	v_and_b32_e32 v2, 3, v16
	v_bfe_u32 v30, v16, 2, 5
	v_lshlrev_b32_e32 v36, 24, v16
	v_ffbh_u32_e32 v3, v2
	v_cmp_eq_u32_e32 vcc_lo, 0, v30
	v_min_u32_e32 v3, 32, v3
	v_subrev_nc_u32_e32 v11, 29, v3
	v_sub_nc_u32_e32 v3, 30, v3
	v_lshlrev_b32_e32 v11, v11, v16
	v_cndmask_b32_e32 v3, v30, v3, vcc_lo
	v_and_b32_e32 v11, 3, v11
	v_lshl_add_u32 v3, v3, 23, 0x37800000
	v_cndmask_b32_e32 v2, v2, v11, vcc_lo
	v_and_b32_e32 v11, 0x80000000, v36
	v_lshlrev_b32_e32 v2, 21, v2
	v_or3_b32 v11, v11, v3, v2
.LBB6_3246:                             ;   in Loop: Header=BB6_2951 Depth=2
	s_or_b32 exec_lo, exec_lo, s41
	v_cmp_gt_i16_sdwa s41, v12, v57 src0_sel:BYTE_0 src1_sel:DWORD
	s_mov_b32 s14, 0
	s_and_saveexec_b32 s42, s41
	s_xor_b32 s41, exec_lo, s42
	s_cbranch_execz .LBB6_3591
; %bb.3247:                             ;   in Loop: Header=BB6_2951 Depth=2
	v_cmp_eq_u16_sdwa s43, v12, v58 src0_sel:BYTE_0 src1_sel:DWORD
	s_mov_b32 s14, -1
	s_and_saveexec_b32 s42, s43
; %bb.3248:                             ;   in Loop: Header=BB6_2951 Depth=2
	s_xor_b32 s14, exec_lo, -1
; %bb.3249:                             ;   in Loop: Header=BB6_2951 Depth=2
	s_or_b32 exec_lo, exec_lo, s42
	s_and_b32 s14, s14, exec_lo
	s_or_saveexec_b32 s41, s41
	v_mov_b32_e32 v2, 0x7f800001
	s_xor_b32 exec_lo, exec_lo, s41
	s_cbranch_execnz .LBB6_3592
.LBB6_3250:                             ;   in Loop: Header=BB6_2951 Depth=2
	s_or_b32 exec_lo, exec_lo, s41
	s_and_saveexec_b32 s41, s14
.LBB6_3251:                             ;   in Loop: Header=BB6_2951 Depth=2
	v_mov_b32_e32 v2, v10
.LBB6_3252:                             ;   in Loop: Header=BB6_2951 Depth=2
	s_or_b32 exec_lo, exec_lo, s41
	v_max_f32_e32 v2, v2, v2
	v_max_f32_e32 v3, v11, v11
	s_mov_b32 s14, 0
	v_max_f32_e32 v11, v3, v2
.LBB6_3253:                             ;   in Loop: Header=BB6_2951 Depth=2
	s_and_b32 vcc_lo, exec_lo, s14
	s_cbranch_vccz .LBB6_3267
; %bb.3254:                             ;   in Loop: Header=BB6_2951 Depth=2
	v_cmp_gt_i16_sdwa s41, v16, v57 src0_sel:BYTE_0 src1_sel:DWORD
	s_mov_b32 s14, 0
	s_and_saveexec_b32 s42, s41
	s_xor_b32 s41, exec_lo, s42
	s_cbranch_execz .LBB6_3593
; %bb.3255:                             ;   in Loop: Header=BB6_2951 Depth=2
	v_cmp_eq_u16_sdwa s43, v16, v58 src0_sel:BYTE_0 src1_sel:DWORD
	s_mov_b32 s14, -1
	s_and_saveexec_b32 s42, s43
; %bb.3256:                             ;   in Loop: Header=BB6_2951 Depth=2
	s_xor_b32 s14, exec_lo, -1
; %bb.3257:                             ;   in Loop: Header=BB6_2951 Depth=2
	s_or_b32 exec_lo, exec_lo, s42
	s_and_b32 s14, s14, exec_lo
	s_or_saveexec_b32 s41, s41
	v_mov_b32_e32 v11, 0x7f800001
	s_xor_b32 exec_lo, exec_lo, s41
	s_cbranch_execnz .LBB6_3594
.LBB6_3258:                             ;   in Loop: Header=BB6_2951 Depth=2
	s_or_b32 exec_lo, exec_lo, s41
	s_and_saveexec_b32 s41, s14
	s_cbranch_execz .LBB6_3260
.LBB6_3259:                             ;   in Loop: Header=BB6_2951 Depth=2
	v_and_b32_e32 v2, 3, v16
	v_bfe_u32 v30, v16, 2, 5
	v_lshlrev_b32_e32 v36, 24, v16
	v_ffbh_u32_e32 v3, v2
	v_cmp_eq_u32_e32 vcc_lo, 0, v30
	v_min_u32_e32 v3, 32, v3
	v_subrev_nc_u32_e32 v11, 29, v3
	v_sub_nc_u32_e32 v3, 30, v3
	v_lshlrev_b32_e32 v11, v11, v16
	v_cndmask_b32_e32 v3, v30, v3, vcc_lo
	v_and_b32_e32 v11, 3, v11
	v_lshl_add_u32 v3, v3, 23, 0x37800000
	v_cndmask_b32_e32 v2, v2, v11, vcc_lo
	v_and_b32_e32 v11, 0x80000000, v36
	v_lshlrev_b32_e32 v2, 21, v2
	v_or3_b32 v11, v11, v3, v2
.LBB6_3260:                             ;   in Loop: Header=BB6_2951 Depth=2
	s_or_b32 exec_lo, exec_lo, s41
	v_cmp_gt_i16_sdwa s41, v12, v57 src0_sel:BYTE_0 src1_sel:DWORD
	s_mov_b32 s14, 0
	s_and_saveexec_b32 s42, s41
	s_xor_b32 s41, exec_lo, s42
	s_cbranch_execz .LBB6_3595
; %bb.3261:                             ;   in Loop: Header=BB6_2951 Depth=2
	v_cmp_eq_u16_sdwa s43, v12, v58 src0_sel:BYTE_0 src1_sel:DWORD
	s_mov_b32 s14, -1
	s_and_saveexec_b32 s42, s43
; %bb.3262:                             ;   in Loop: Header=BB6_2951 Depth=2
	s_xor_b32 s14, exec_lo, -1
; %bb.3263:                             ;   in Loop: Header=BB6_2951 Depth=2
	s_or_b32 exec_lo, exec_lo, s42
	s_and_b32 s14, s14, exec_lo
	s_or_saveexec_b32 s41, s41
	v_mov_b32_e32 v2, 0x7f800001
	s_xor_b32 exec_lo, exec_lo, s41
	s_cbranch_execnz .LBB6_3596
.LBB6_3264:                             ;   in Loop: Header=BB6_2951 Depth=2
	s_or_b32 exec_lo, exec_lo, s41
	s_and_saveexec_b32 s41, s14
.LBB6_3265:                             ;   in Loop: Header=BB6_2951 Depth=2
	v_mov_b32_e32 v2, v10
.LBB6_3266:                             ;   in Loop: Header=BB6_2951 Depth=2
	s_or_b32 exec_lo, exec_lo, s41
	v_max_f32_e32 v2, v2, v2
	v_max_f32_e32 v3, v11, v11
	v_min_f32_e32 v11, v3, v2
.LBB6_3267:                             ;   in Loop: Header=BB6_2951 Depth=2
	v_and_b32_e32 v2, 0x7f800000, v11
	v_mov_b32_e32 v36, 0x80
	s_mov_b32 s41, exec_lo
	v_cmpx_ne_u32_e32 0x7f800000, v2
	s_cbranch_execz .LBB6_3275
; %bb.3268:                             ;   in Loop: Header=BB6_2951 Depth=2
	v_mov_b32_e32 v36, 0
	s_mov_b32 s42, exec_lo
	v_cmpx_ne_u32_e32 0, v11
	s_cbranch_execz .LBB6_3274
; %bb.3269:                             ;   in Loop: Header=BB6_2951 Depth=2
	v_bfe_u32 v2, v11, 23, 8
	v_and_b32_e32 v3, 0x7fffff, v11
	v_sub_nc_u32_e32 v10, 0x70, v2
	v_cmp_gt_u32_e32 vcc_lo, 0x71, v2
	v_or_b32_e32 v30, 0x800000, v3
	v_cndmask_b32_e32 v10, 0, v10, vcc_lo
	v_cmp_eq_u32_e32 vcc_lo, 0, v2
	v_add_nc_u32_e32 v2, 0xffffff91, v2
	v_cndmask_b32_e64 v10, v10, 0x6f, vcc_lo
	v_cndmask_b32_e32 v3, v30, v3, vcc_lo
	v_cndmask_b32_e64 v2, v2, 0xffffff92, vcc_lo
	v_lshl_add_u32 v36, 0x200000, v10, -1
	v_lshrrev_b32_e32 v30, v10, v3
	v_lshlrev_b32_e64 v38, v10, 0x100000
	v_add_nc_u32_e32 v2, v10, v2
	v_and_b32_e32 v3, v36, v3
	v_bfe_u32 v37, v30, 21, 1
	v_cmp_eq_u32_e64 s14, v3, v38
	v_add_nc_u32_e32 v36, -1, v37
	v_cndmask_b32_e64 v3, 0, v36, s14
	v_lshrrev_b32_e32 v36, 23, v30
	s_mov_b32 s14, exec_lo
	v_add_nc_u32_e32 v3, v3, v30
	v_and_b32_e32 v10, 0x1fffff, v3
	v_xor_b32_e32 v3, 1, v36
	v_add_nc_u32_e32 v30, v10, v30
                                        ; implicit-def: $vgpr10
	v_cmpx_ne_u32_e64 v2, v3
	s_xor_b32 s14, exec_lo, s14
; %bb.3270:                             ;   in Loop: Header=BB6_2951 Depth=2
	v_cmp_lt_u32_e32 vcc_lo, 0xffffff, v30
	v_sub_nc_u32_e32 v2, v2, v3
	v_cndmask_b32_e64 v3, 0, 1, vcc_lo
	v_add_co_ci_u32_e64 v10, null, 0, v2, vcc_lo
	v_lshrrev_b32_e32 v30, v3, v30
; %bb.3271:                             ;   in Loop: Header=BB6_2951 Depth=2
	s_andn2_saveexec_b32 s14, s14
; %bb.3272:                             ;   in Loop: Header=BB6_2951 Depth=2
	v_bfe_u32 v10, v30, 23, 1
; %bb.3273:                             ;   in Loop: Header=BB6_2951 Depth=2
	s_or_b32 exec_lo, exec_lo, s14
	v_lshrrev_b32_e32 v2, 21, v30
	v_min_i32_e32 v3, 31, v10
	v_cmp_gt_i32_e32 vcc_lo, 32, v10
	v_and_b32_sdwa v11, v11, v58 dst_sel:DWORD dst_unused:UNUSED_PAD src0_sel:BYTE_3 src1_sel:DWORD
	v_lshlrev_b32_e32 v3, 2, v3
	v_cndmask_b32_e32 v2, 3, v2, vcc_lo
	v_and_b32_e32 v3, 0xfc, v3
	v_and_b32_e32 v30, 3, v2
	v_or_b32_e32 v2, v10, v2
	v_or3_b32 v3, v3, v11, v30
	v_cmp_ne_u32_e32 vcc_lo, 0, v2
	v_cndmask_b32_e32 v36, 0, v3, vcc_lo
.LBB6_3274:                             ;   in Loop: Header=BB6_2951 Depth=2
	s_or_b32 exec_lo, exec_lo, s42
.LBB6_3275:                             ;   in Loop: Header=BB6_2951 Depth=2
	s_or_b32 exec_lo, exec_lo, s41
	v_and_b32_sdwa v2, v59, v12 dst_sel:DWORD dst_unused:UNUSED_PAD src0_sel:DWORD src1_sel:BYTE_1
	v_cmp_gt_i16_sdwa s41, v16, v57 src0_sel:BYTE_1 src1_sel:DWORD
	s_mov_b32 s14, -1
	v_and_b32_e32 v3, 3, v2
	v_bfe_u32 v30, v2, 2, 5
	v_ffbh_u32_e32 v10, v3
	v_cmp_eq_u32_e32 vcc_lo, 0, v30
	v_min_u32_e32 v10, 32, v10
	v_subrev_nc_u32_e32 v11, 29, v10
	v_sub_nc_u32_e32 v10, 30, v10
	v_lshlrev_b32_e32 v2, v11, v2
	v_lshlrev_b32_sdwa v11, v61, v12 dst_sel:DWORD dst_unused:UNUSED_PAD src0_sel:DWORD src1_sel:BYTE_1
	v_cndmask_b32_e32 v10, v30, v10, vcc_lo
	v_and_b32_e32 v2, 3, v2
	v_lshl_add_u32 v10, v10, 23, 0x37800000
	v_cndmask_b32_e32 v2, v3, v2, vcc_lo
	v_and_b32_e32 v3, 0x80000000, v11
	s_and_b32 vcc_lo, exec_lo, s40
                                        ; implicit-def: $vgpr11
	v_lshlrev_b32_e32 v2, 21, v2
	v_or3_b32 v10, v3, v10, v2
	s_cbranch_vccz .LBB6_3289
; %bb.3276:                             ;   in Loop: Header=BB6_2951 Depth=2
	s_mov_b32 s14, 0
	s_and_saveexec_b32 s42, s41
	s_xor_b32 s41, exec_lo, s42
	s_cbranch_execz .LBB6_3597
; %bb.3277:                             ;   in Loop: Header=BB6_2951 Depth=2
	v_cmp_eq_u16_sdwa s43, v16, v58 src0_sel:BYTE_1 src1_sel:DWORD
	s_mov_b32 s14, -1
	s_and_saveexec_b32 s42, s43
; %bb.3278:                             ;   in Loop: Header=BB6_2951 Depth=2
	s_xor_b32 s14, exec_lo, -1
; %bb.3279:                             ;   in Loop: Header=BB6_2951 Depth=2
	s_or_b32 exec_lo, exec_lo, s42
	s_and_b32 s14, s14, exec_lo
	s_or_saveexec_b32 s41, s41
	v_mov_b32_e32 v11, 0x7f800001
	s_xor_b32 exec_lo, exec_lo, s41
	s_cbranch_execnz .LBB6_3598
.LBB6_3280:                             ;   in Loop: Header=BB6_2951 Depth=2
	s_or_b32 exec_lo, exec_lo, s41
	s_and_saveexec_b32 s41, s14
	s_cbranch_execz .LBB6_3282
.LBB6_3281:                             ;   in Loop: Header=BB6_2951 Depth=2
	v_and_b32_sdwa v2, v59, v16 dst_sel:DWORD dst_unused:UNUSED_PAD src0_sel:DWORD src1_sel:BYTE_1
	v_and_b32_e32 v3, 3, v2
	v_bfe_u32 v37, v2, 2, 5
	v_ffbh_u32_e32 v11, v3
	v_cmp_eq_u32_e32 vcc_lo, 0, v37
	v_min_u32_e32 v11, 32, v11
	v_subrev_nc_u32_e32 v30, 29, v11
	v_sub_nc_u32_e32 v11, 30, v11
	v_lshlrev_b32_e32 v2, v30, v2
	v_lshlrev_b32_e32 v30, 16, v16
	v_cndmask_b32_e32 v11, v37, v11, vcc_lo
	v_and_b32_e32 v2, 3, v2
	v_lshl_add_u32 v11, v11, 23, 0x37800000
	v_cndmask_b32_e32 v2, v3, v2, vcc_lo
	v_and_b32_e32 v3, 0x80000000, v30
	v_lshlrev_b32_e32 v2, 21, v2
	v_or3_b32 v11, v3, v11, v2
.LBB6_3282:                             ;   in Loop: Header=BB6_2951 Depth=2
	s_or_b32 exec_lo, exec_lo, s41
	v_cmp_gt_i16_sdwa s41, v12, v57 src0_sel:BYTE_1 src1_sel:DWORD
	s_mov_b32 s14, 0
	s_and_saveexec_b32 s42, s41
	s_xor_b32 s41, exec_lo, s42
	s_cbranch_execz .LBB6_3599
; %bb.3283:                             ;   in Loop: Header=BB6_2951 Depth=2
	v_cmp_eq_u16_sdwa s43, v12, v58 src0_sel:BYTE_1 src1_sel:DWORD
	s_mov_b32 s14, -1
	s_and_saveexec_b32 s42, s43
; %bb.3284:                             ;   in Loop: Header=BB6_2951 Depth=2
	s_xor_b32 s14, exec_lo, -1
; %bb.3285:                             ;   in Loop: Header=BB6_2951 Depth=2
	s_or_b32 exec_lo, exec_lo, s42
	s_and_b32 s14, s14, exec_lo
	s_or_saveexec_b32 s41, s41
	v_mov_b32_e32 v2, 0x7f800001
	s_xor_b32 exec_lo, exec_lo, s41
	s_cbranch_execnz .LBB6_3600
.LBB6_3286:                             ;   in Loop: Header=BB6_2951 Depth=2
	s_or_b32 exec_lo, exec_lo, s41
	s_and_saveexec_b32 s41, s14
.LBB6_3287:                             ;   in Loop: Header=BB6_2951 Depth=2
	v_mov_b32_e32 v2, v10
.LBB6_3288:                             ;   in Loop: Header=BB6_2951 Depth=2
	s_or_b32 exec_lo, exec_lo, s41
	v_max_f32_e32 v2, v2, v2
	v_max_f32_e32 v3, v11, v11
	s_mov_b32 s14, 0
	v_max_f32_e32 v11, v3, v2
.LBB6_3289:                             ;   in Loop: Header=BB6_2951 Depth=2
	s_and_b32 vcc_lo, exec_lo, s14
	s_cbranch_vccz .LBB6_3303
; %bb.3290:                             ;   in Loop: Header=BB6_2951 Depth=2
	v_cmp_gt_i16_sdwa s41, v16, v57 src0_sel:BYTE_1 src1_sel:DWORD
	s_mov_b32 s14, 0
	s_and_saveexec_b32 s42, s41
	s_xor_b32 s41, exec_lo, s42
	s_cbranch_execz .LBB6_3601
; %bb.3291:                             ;   in Loop: Header=BB6_2951 Depth=2
	v_cmp_eq_u16_sdwa s43, v16, v58 src0_sel:BYTE_1 src1_sel:DWORD
	s_mov_b32 s14, -1
	s_and_saveexec_b32 s42, s43
; %bb.3292:                             ;   in Loop: Header=BB6_2951 Depth=2
	s_xor_b32 s14, exec_lo, -1
; %bb.3293:                             ;   in Loop: Header=BB6_2951 Depth=2
	s_or_b32 exec_lo, exec_lo, s42
	s_and_b32 s14, s14, exec_lo
	s_or_saveexec_b32 s41, s41
	v_mov_b32_e32 v11, 0x7f800001
	s_xor_b32 exec_lo, exec_lo, s41
	s_cbranch_execnz .LBB6_3602
.LBB6_3294:                             ;   in Loop: Header=BB6_2951 Depth=2
	s_or_b32 exec_lo, exec_lo, s41
	s_and_saveexec_b32 s41, s14
	s_cbranch_execz .LBB6_3296
.LBB6_3295:                             ;   in Loop: Header=BB6_2951 Depth=2
	v_and_b32_sdwa v2, v59, v16 dst_sel:DWORD dst_unused:UNUSED_PAD src0_sel:DWORD src1_sel:BYTE_1
	v_and_b32_e32 v3, 3, v2
	v_bfe_u32 v37, v2, 2, 5
	v_ffbh_u32_e32 v11, v3
	v_cmp_eq_u32_e32 vcc_lo, 0, v37
	v_min_u32_e32 v11, 32, v11
	v_subrev_nc_u32_e32 v30, 29, v11
	v_sub_nc_u32_e32 v11, 30, v11
	v_lshlrev_b32_e32 v2, v30, v2
	v_lshlrev_b32_e32 v30, 16, v16
	v_cndmask_b32_e32 v11, v37, v11, vcc_lo
	v_and_b32_e32 v2, 3, v2
	v_lshl_add_u32 v11, v11, 23, 0x37800000
	v_cndmask_b32_e32 v2, v3, v2, vcc_lo
	v_and_b32_e32 v3, 0x80000000, v30
	v_lshlrev_b32_e32 v2, 21, v2
	v_or3_b32 v11, v3, v11, v2
.LBB6_3296:                             ;   in Loop: Header=BB6_2951 Depth=2
	s_or_b32 exec_lo, exec_lo, s41
	v_cmp_gt_i16_sdwa s41, v12, v57 src0_sel:BYTE_1 src1_sel:DWORD
	s_mov_b32 s14, 0
	s_and_saveexec_b32 s42, s41
	s_xor_b32 s41, exec_lo, s42
	s_cbranch_execz .LBB6_3603
; %bb.3297:                             ;   in Loop: Header=BB6_2951 Depth=2
	v_cmp_eq_u16_sdwa s43, v12, v58 src0_sel:BYTE_1 src1_sel:DWORD
	s_mov_b32 s14, -1
	s_and_saveexec_b32 s42, s43
; %bb.3298:                             ;   in Loop: Header=BB6_2951 Depth=2
	s_xor_b32 s14, exec_lo, -1
; %bb.3299:                             ;   in Loop: Header=BB6_2951 Depth=2
	s_or_b32 exec_lo, exec_lo, s42
	s_and_b32 s14, s14, exec_lo
	s_or_saveexec_b32 s41, s41
	v_mov_b32_e32 v2, 0x7f800001
	s_xor_b32 exec_lo, exec_lo, s41
	s_cbranch_execnz .LBB6_3604
.LBB6_3300:                             ;   in Loop: Header=BB6_2951 Depth=2
	s_or_b32 exec_lo, exec_lo, s41
	s_and_saveexec_b32 s41, s14
.LBB6_3301:                             ;   in Loop: Header=BB6_2951 Depth=2
	v_mov_b32_e32 v2, v10
.LBB6_3302:                             ;   in Loop: Header=BB6_2951 Depth=2
	s_or_b32 exec_lo, exec_lo, s41
	v_max_f32_e32 v2, v2, v2
	v_max_f32_e32 v3, v11, v11
	v_min_f32_e32 v11, v3, v2
.LBB6_3303:                             ;   in Loop: Header=BB6_2951 Depth=2
	v_and_b32_e32 v2, 0x7f800000, v11
	v_mov_b32_e32 v37, 0x8000
	s_mov_b32 s41, exec_lo
	v_cmpx_ne_u32_e32 0x7f800000, v2
	s_cbranch_execz .LBB6_3311
; %bb.3304:                             ;   in Loop: Header=BB6_2951 Depth=2
	v_mov_b32_e32 v37, 0
	s_mov_b32 s42, exec_lo
	v_cmpx_ne_u32_e32 0, v11
	s_cbranch_execz .LBB6_3310
; %bb.3305:                             ;   in Loop: Header=BB6_2951 Depth=2
	v_bfe_u32 v2, v11, 23, 8
	v_and_b32_e32 v3, 0x7fffff, v11
	v_sub_nc_u32_e32 v10, 0x70, v2
	v_cmp_gt_u32_e32 vcc_lo, 0x71, v2
	v_or_b32_e32 v30, 0x800000, v3
	v_cndmask_b32_e32 v10, 0, v10, vcc_lo
	v_cmp_eq_u32_e32 vcc_lo, 0, v2
	v_add_nc_u32_e32 v2, 0xffffff91, v2
	v_cndmask_b32_e64 v10, v10, 0x6f, vcc_lo
	v_cndmask_b32_e32 v3, v30, v3, vcc_lo
	v_cndmask_b32_e64 v2, v2, 0xffffff92, vcc_lo
	v_lshl_add_u32 v37, 0x200000, v10, -1
	v_lshrrev_b32_e32 v30, v10, v3
	v_lshlrev_b32_e64 v39, v10, 0x100000
	v_add_nc_u32_e32 v2, v10, v2
	v_and_b32_e32 v3, v37, v3
	v_bfe_u32 v38, v30, 21, 1
	v_cmp_eq_u32_e64 s14, v3, v39
	v_add_nc_u32_e32 v37, -1, v38
	v_cndmask_b32_e64 v3, 0, v37, s14
	v_lshrrev_b32_e32 v37, 23, v30
	s_mov_b32 s14, exec_lo
	v_add_nc_u32_e32 v3, v3, v30
	v_and_b32_e32 v10, 0x1fffff, v3
	v_xor_b32_e32 v3, 1, v37
	v_add_nc_u32_e32 v30, v10, v30
                                        ; implicit-def: $vgpr10
	v_cmpx_ne_u32_e64 v2, v3
	s_xor_b32 s14, exec_lo, s14
; %bb.3306:                             ;   in Loop: Header=BB6_2951 Depth=2
	v_cmp_lt_u32_e32 vcc_lo, 0xffffff, v30
	v_sub_nc_u32_e32 v2, v2, v3
	v_cndmask_b32_e64 v3, 0, 1, vcc_lo
	v_add_co_ci_u32_e64 v10, null, 0, v2, vcc_lo
	v_lshrrev_b32_e32 v30, v3, v30
; %bb.3307:                             ;   in Loop: Header=BB6_2951 Depth=2
	s_andn2_saveexec_b32 s14, s14
; %bb.3308:                             ;   in Loop: Header=BB6_2951 Depth=2
	v_bfe_u32 v10, v30, 23, 1
; %bb.3309:                             ;   in Loop: Header=BB6_2951 Depth=2
	s_or_b32 exec_lo, exec_lo, s14
	v_lshrrev_b32_e32 v2, 21, v30
	v_min_i32_e32 v3, 31, v10
	v_cmp_gt_i32_e32 vcc_lo, 32, v10
	v_and_b32_sdwa v11, v11, v58 dst_sel:DWORD dst_unused:UNUSED_PAD src0_sel:BYTE_3 src1_sel:DWORD
	v_lshlrev_b32_e32 v3, 2, v3
	v_cndmask_b32_e32 v2, 3, v2, vcc_lo
	v_and_b32_e32 v3, 0xfc, v3
	v_and_b32_e32 v30, 3, v2
	v_or_b32_e32 v2, v10, v2
	v_or3_b32 v3, v11, v3, v30
	v_cmp_ne_u32_e32 vcc_lo, 0, v2
	v_lshlrev_b32_e32 v3, 8, v3
	v_cndmask_b32_e32 v37, 0, v3, vcc_lo
.LBB6_3310:                             ;   in Loop: Header=BB6_2951 Depth=2
	s_or_b32 exec_lo, exec_lo, s42
.LBB6_3311:                             ;   in Loop: Header=BB6_2951 Depth=2
	s_or_b32 exec_lo, exec_lo, s41
	v_bfe_u32 v2, v12, 16, 2
	v_bfe_u32 v11, v12, 18, 5
	v_lshlrev_b32_e32 v30, 8, v12
	s_mov_b32 s41, -1
                                        ; implicit-def: $vgpr39
	v_ffbh_u32_e32 v3, v2
	v_cmp_eq_u32_e32 vcc_lo, 0, v11
	v_min_u32_e32 v3, 32, v3
	v_subrev_nc_u32_e32 v10, 29, v3
	v_sub_nc_u32_e32 v3, 30, v3
	v_lshlrev_b32_sdwa v10, v10, v12 dst_sel:DWORD dst_unused:UNUSED_PAD src0_sel:DWORD src1_sel:WORD_1
	v_cndmask_b32_e32 v3, v11, v3, vcc_lo
	v_and_b32_sdwa v11, v16, v60 dst_sel:DWORD dst_unused:UNUSED_PAD src0_sel:WORD_1 src1_sel:DWORD
	v_and_b32_e32 v10, 3, v10
	v_lshl_add_u32 v3, v3, 23, 0x37800000
	v_cmp_lt_i16_e64 s14, 0x7f, v11
	v_cndmask_b32_e32 v2, v2, v10, vcc_lo
	v_and_b32_e32 v10, 0x80000000, v30
	s_and_b32 vcc_lo, exec_lo, s40
	v_lshlrev_b32_e32 v2, 21, v2
	v_or3_b32 v10, v10, v3, v2
	s_cbranch_vccz .LBB6_3325
; %bb.3312:                             ;   in Loop: Header=BB6_2951 Depth=2
	s_mov_b32 s41, 0
	s_and_saveexec_b32 s42, s14
	s_xor_b32 s14, exec_lo, s42
	s_cbranch_execz .LBB6_3605
; %bb.3313:                             ;   in Loop: Header=BB6_2951 Depth=2
	s_mov_b32 s41, -1
	s_mov_b32 s42, exec_lo
	v_cmpx_eq_u16_e32 0x80, v11
; %bb.3314:                             ;   in Loop: Header=BB6_2951 Depth=2
	s_xor_b32 s41, exec_lo, -1
; %bb.3315:                             ;   in Loop: Header=BB6_2951 Depth=2
	s_or_b32 exec_lo, exec_lo, s42
	s_and_b32 s41, s41, exec_lo
	s_or_saveexec_b32 s14, s14
	v_mov_b32_e32 v38, 0x7f800001
	s_xor_b32 exec_lo, exec_lo, s14
	s_cbranch_execnz .LBB6_3606
.LBB6_3316:                             ;   in Loop: Header=BB6_2951 Depth=2
	s_or_b32 exec_lo, exec_lo, s14
	s_and_saveexec_b32 s14, s41
	s_cbranch_execz .LBB6_3318
.LBB6_3317:                             ;   in Loop: Header=BB6_2951 Depth=2
	v_bfe_u32 v2, v16, 16, 2
	v_bfe_u32 v38, v16, 18, 5
	v_lshlrev_b32_sdwa v39, v61, v16 dst_sel:DWORD dst_unused:UNUSED_PAD src0_sel:DWORD src1_sel:WORD_1
	v_ffbh_u32_e32 v3, v2
	v_cmp_eq_u32_e32 vcc_lo, 0, v38
	v_min_u32_e32 v3, 32, v3
	v_subrev_nc_u32_e32 v30, 29, v3
	v_sub_nc_u32_e32 v3, 30, v3
	v_lshlrev_b32_sdwa v30, v30, v16 dst_sel:DWORD dst_unused:UNUSED_PAD src0_sel:DWORD src1_sel:WORD_1
	v_cndmask_b32_e32 v3, v38, v3, vcc_lo
	v_and_b32_e32 v30, 3, v30
	v_lshl_add_u32 v3, v3, 23, 0x37800000
	v_cndmask_b32_e32 v2, v2, v30, vcc_lo
	v_and_b32_e32 v30, 0x80000000, v39
	v_lshlrev_b32_e32 v2, 21, v2
	v_or3_b32 v38, v30, v3, v2
.LBB6_3318:                             ;   in Loop: Header=BB6_2951 Depth=2
	s_or_b32 exec_lo, exec_lo, s14
	v_and_b32_sdwa v3, v12, v60 dst_sel:DWORD dst_unused:UNUSED_PAD src0_sel:WORD_1 src1_sel:DWORD
	s_mov_b32 s14, 0
	s_mov_b32 s41, exec_lo
	v_cmpx_lt_i16_e32 0x7f, v3
	s_xor_b32 s41, exec_lo, s41
	s_cbranch_execz .LBB6_3607
; %bb.3319:                             ;   in Loop: Header=BB6_2951 Depth=2
	s_mov_b32 s14, -1
	s_mov_b32 s42, exec_lo
	v_cmpx_eq_u16_e32 0x80, v3
; %bb.3320:                             ;   in Loop: Header=BB6_2951 Depth=2
	s_xor_b32 s14, exec_lo, -1
; %bb.3321:                             ;   in Loop: Header=BB6_2951 Depth=2
	s_or_b32 exec_lo, exec_lo, s42
	s_and_b32 s14, s14, exec_lo
                                        ; implicit-def: $vgpr3
	s_or_saveexec_b32 s41, s41
	v_mov_b32_e32 v2, 0x7f800001
	s_xor_b32 exec_lo, exec_lo, s41
	s_cbranch_execnz .LBB6_3608
.LBB6_3322:                             ;   in Loop: Header=BB6_2951 Depth=2
	s_or_b32 exec_lo, exec_lo, s41
	s_and_saveexec_b32 s41, s14
.LBB6_3323:                             ;   in Loop: Header=BB6_2951 Depth=2
	v_mov_b32_e32 v2, v10
.LBB6_3324:                             ;   in Loop: Header=BB6_2951 Depth=2
	s_or_b32 exec_lo, exec_lo, s41
	v_max_f32_e32 v2, v2, v2
	v_max_f32_e32 v3, v38, v38
	s_mov_b32 s41, 0
	v_max_f32_e32 v39, v3, v2
.LBB6_3325:                             ;   in Loop: Header=BB6_2951 Depth=2
	s_and_b32 vcc_lo, exec_lo, s41
	s_cbranch_vccz .LBB6_3339
; %bb.3326:                             ;   in Loop: Header=BB6_2951 Depth=2
	s_mov_b32 s14, 0
	s_mov_b32 s41, exec_lo
	v_cmpx_lt_i16_e32 0x7f, v11
	s_xor_b32 s41, exec_lo, s41
	s_cbranch_execz .LBB6_3609
; %bb.3327:                             ;   in Loop: Header=BB6_2951 Depth=2
	s_mov_b32 s14, -1
	s_mov_b32 s42, exec_lo
	v_cmpx_eq_u16_e32 0x80, v11
; %bb.3328:                             ;   in Loop: Header=BB6_2951 Depth=2
	s_xor_b32 s14, exec_lo, -1
; %bb.3329:                             ;   in Loop: Header=BB6_2951 Depth=2
	s_or_b32 exec_lo, exec_lo, s42
	s_and_b32 s14, s14, exec_lo
                                        ; implicit-def: $vgpr11
	s_or_saveexec_b32 s41, s41
	v_mov_b32_e32 v38, 0x7f800001
	s_xor_b32 exec_lo, exec_lo, s41
	s_cbranch_execnz .LBB6_3610
.LBB6_3330:                             ;   in Loop: Header=BB6_2951 Depth=2
	s_or_b32 exec_lo, exec_lo, s41
	s_and_saveexec_b32 s41, s14
	s_cbranch_execz .LBB6_3332
.LBB6_3331:                             ;   in Loop: Header=BB6_2951 Depth=2
	v_bfe_u32 v2, v16, 16, 2
	v_bfe_u32 v30, v16, 18, 5
	v_lshlrev_b32_sdwa v38, v61, v16 dst_sel:DWORD dst_unused:UNUSED_PAD src0_sel:DWORD src1_sel:WORD_1
	v_ffbh_u32_e32 v3, v2
	v_cmp_eq_u32_e32 vcc_lo, 0, v30
	v_min_u32_e32 v3, 32, v3
	v_subrev_nc_u32_e32 v11, 29, v3
	v_sub_nc_u32_e32 v3, 30, v3
	v_lshlrev_b32_sdwa v11, v11, v16 dst_sel:DWORD dst_unused:UNUSED_PAD src0_sel:DWORD src1_sel:WORD_1
	v_cndmask_b32_e32 v3, v30, v3, vcc_lo
	v_and_b32_e32 v11, 3, v11
	v_lshl_add_u32 v3, v3, 23, 0x37800000
	v_cndmask_b32_e32 v2, v2, v11, vcc_lo
	v_and_b32_e32 v11, 0x80000000, v38
	v_lshlrev_b32_e32 v2, 21, v2
	v_or3_b32 v38, v11, v3, v2
.LBB6_3332:                             ;   in Loop: Header=BB6_2951 Depth=2
	s_or_b32 exec_lo, exec_lo, s41
	v_and_b32_sdwa v3, v12, v60 dst_sel:DWORD dst_unused:UNUSED_PAD src0_sel:WORD_1 src1_sel:DWORD
	s_mov_b32 s14, 0
	s_mov_b32 s41, exec_lo
	v_cmpx_lt_i16_e32 0x7f, v3
	s_xor_b32 s41, exec_lo, s41
	s_cbranch_execz .LBB6_3611
; %bb.3333:                             ;   in Loop: Header=BB6_2951 Depth=2
	s_mov_b32 s14, -1
	s_mov_b32 s42, exec_lo
	v_cmpx_eq_u16_e32 0x80, v3
; %bb.3334:                             ;   in Loop: Header=BB6_2951 Depth=2
	s_xor_b32 s14, exec_lo, -1
; %bb.3335:                             ;   in Loop: Header=BB6_2951 Depth=2
	s_or_b32 exec_lo, exec_lo, s42
	s_and_b32 s14, s14, exec_lo
                                        ; implicit-def: $vgpr3
	s_or_saveexec_b32 s41, s41
	v_mov_b32_e32 v2, 0x7f800001
	s_xor_b32 exec_lo, exec_lo, s41
	s_cbranch_execnz .LBB6_3612
.LBB6_3336:                             ;   in Loop: Header=BB6_2951 Depth=2
	s_or_b32 exec_lo, exec_lo, s41
	s_and_saveexec_b32 s41, s14
.LBB6_3337:                             ;   in Loop: Header=BB6_2951 Depth=2
	v_mov_b32_e32 v2, v10
.LBB6_3338:                             ;   in Loop: Header=BB6_2951 Depth=2
	s_or_b32 exec_lo, exec_lo, s41
	v_max_f32_e32 v2, v2, v2
	v_max_f32_e32 v3, v38, v38
	v_min_f32_e32 v39, v3, v2
.LBB6_3339:                             ;   in Loop: Header=BB6_2951 Depth=2
	v_and_b32_e32 v2, 0x7f800000, v39
	v_mov_b32_e32 v38, 0x80
	s_mov_b32 s41, exec_lo
	v_cmpx_ne_u32_e32 0x7f800000, v2
	s_cbranch_execz .LBB6_3347
; %bb.3340:                             ;   in Loop: Header=BB6_2951 Depth=2
	v_mov_b32_e32 v38, 0
	s_mov_b32 s42, exec_lo
	v_cmpx_ne_u32_e32 0, v39
	s_cbranch_execz .LBB6_3346
; %bb.3341:                             ;   in Loop: Header=BB6_2951 Depth=2
	v_bfe_u32 v2, v39, 23, 8
	v_and_b32_e32 v3, 0x7fffff, v39
	v_sub_nc_u32_e32 v10, 0x70, v2
	v_cmp_gt_u32_e32 vcc_lo, 0x71, v2
	v_or_b32_e32 v11, 0x800000, v3
	v_cndmask_b32_e32 v10, 0, v10, vcc_lo
	v_cmp_eq_u32_e32 vcc_lo, 0, v2
	v_add_nc_u32_e32 v2, 0xffffff91, v2
	v_cndmask_b32_e64 v10, v10, 0x6f, vcc_lo
	v_cndmask_b32_e32 v3, v11, v3, vcc_lo
	v_cndmask_b32_e64 v2, v2, 0xffffff92, vcc_lo
	v_lshl_add_u32 v30, 0x200000, v10, -1
	v_lshrrev_b32_e32 v11, v10, v3
	v_lshlrev_b32_e64 v48, v10, 0x100000
	v_add_nc_u32_e32 v2, v10, v2
	v_and_b32_e32 v3, v30, v3
	v_bfe_u32 v38, v11, 21, 1
	v_cmp_eq_u32_e64 s14, v3, v48
	v_add_nc_u32_e32 v30, -1, v38
	v_cndmask_b32_e64 v3, 0, v30, s14
	v_lshrrev_b32_e32 v30, 23, v11
	s_mov_b32 s14, exec_lo
	v_add_nc_u32_e32 v3, v3, v11
	v_and_b32_e32 v10, 0x1fffff, v3
	v_xor_b32_e32 v3, 1, v30
	v_add_nc_u32_e32 v11, v10, v11
                                        ; implicit-def: $vgpr10
	v_cmpx_ne_u32_e64 v2, v3
	s_xor_b32 s14, exec_lo, s14
; %bb.3342:                             ;   in Loop: Header=BB6_2951 Depth=2
	v_cmp_lt_u32_e32 vcc_lo, 0xffffff, v11
	v_sub_nc_u32_e32 v2, v2, v3
	v_cndmask_b32_e64 v3, 0, 1, vcc_lo
	v_add_co_ci_u32_e64 v10, null, 0, v2, vcc_lo
	v_lshrrev_b32_e32 v11, v3, v11
; %bb.3343:                             ;   in Loop: Header=BB6_2951 Depth=2
	s_andn2_saveexec_b32 s14, s14
; %bb.3344:                             ;   in Loop: Header=BB6_2951 Depth=2
	v_bfe_u32 v10, v11, 23, 1
; %bb.3345:                             ;   in Loop: Header=BB6_2951 Depth=2
	s_or_b32 exec_lo, exec_lo, s14
	v_lshrrev_b32_e32 v2, 21, v11
	v_min_i32_e32 v3, 31, v10
	v_cmp_gt_i32_e32 vcc_lo, 32, v10
	v_and_b32_sdwa v11, v39, v58 dst_sel:DWORD dst_unused:UNUSED_PAD src0_sel:BYTE_3 src1_sel:DWORD
	v_lshlrev_b32_e32 v3, 2, v3
	v_cndmask_b32_e32 v2, 3, v2, vcc_lo
	v_and_b32_e32 v3, 0xfc, v3
	v_and_b32_e32 v30, 3, v2
	v_or_b32_e32 v2, v10, v2
	v_or3_b32 v3, v3, v11, v30
	v_cmp_ne_u32_e32 vcc_lo, 0, v2
	v_cndmask_b32_e32 v38, 0, v3, vcc_lo
.LBB6_3346:                             ;   in Loop: Header=BB6_2951 Depth=2
	s_or_b32 exec_lo, exec_lo, s42
.LBB6_3347:                             ;   in Loop: Header=BB6_2951 Depth=2
	s_or_b32 exec_lo, exec_lo, s41
	v_bfe_u32 v2, v12, 24, 2
	v_bfe_u32 v11, v12, 26, 5
	v_cmp_gt_i16_sdwa s41, v16, v57 src0_sel:BYTE_3 src1_sel:DWORD
	s_mov_b32 s14, -1
	v_ffbh_u32_e32 v3, v2
	v_cmp_eq_u32_e32 vcc_lo, 0, v11
	v_min_u32_e32 v3, 32, v3
	v_subrev_nc_u32_e32 v10, 29, v3
	v_sub_nc_u32_e32 v3, 30, v3
	v_lshlrev_b32_sdwa v10, v10, v12 dst_sel:DWORD dst_unused:UNUSED_PAD src0_sel:DWORD src1_sel:BYTE_3
	v_cndmask_b32_e32 v3, v11, v3, vcc_lo
                                        ; implicit-def: $vgpr11
	v_and_b32_e32 v10, 3, v10
	v_lshl_add_u32 v3, v3, 23, 0x37800000
	v_cndmask_b32_e32 v2, v2, v10, vcc_lo
	v_and_b32_e32 v10, 0x80000000, v12
	s_and_b32 vcc_lo, exec_lo, s40
	v_lshlrev_b32_e32 v2, 21, v2
	v_or3_b32 v10, v10, v3, v2
	s_cbranch_vccz .LBB6_3361
; %bb.3348:                             ;   in Loop: Header=BB6_2951 Depth=2
	s_mov_b32 s14, 0
	s_and_saveexec_b32 s42, s41
	s_xor_b32 s41, exec_lo, s42
	s_cbranch_execz .LBB6_3613
; %bb.3349:                             ;   in Loop: Header=BB6_2951 Depth=2
	v_cmp_eq_u16_sdwa s43, v16, v58 src0_sel:BYTE_3 src1_sel:DWORD
	s_mov_b32 s14, -1
	s_and_saveexec_b32 s42, s43
; %bb.3350:                             ;   in Loop: Header=BB6_2951 Depth=2
	s_xor_b32 s14, exec_lo, -1
; %bb.3351:                             ;   in Loop: Header=BB6_2951 Depth=2
	s_or_b32 exec_lo, exec_lo, s42
	s_and_b32 s14, s14, exec_lo
	s_or_saveexec_b32 s41, s41
	v_mov_b32_e32 v11, 0x7f800001
	s_xor_b32 exec_lo, exec_lo, s41
	s_cbranch_execnz .LBB6_3614
.LBB6_3352:                             ;   in Loop: Header=BB6_2951 Depth=2
	s_or_b32 exec_lo, exec_lo, s41
	s_and_saveexec_b32 s41, s14
	s_cbranch_execz .LBB6_3354
.LBB6_3353:                             ;   in Loop: Header=BB6_2951 Depth=2
	v_bfe_u32 v2, v16, 24, 2
	v_bfe_u32 v30, v16, 26, 5
	v_ffbh_u32_e32 v3, v2
	v_cmp_eq_u32_e32 vcc_lo, 0, v30
	v_min_u32_e32 v3, 32, v3
	v_subrev_nc_u32_e32 v11, 29, v3
	v_sub_nc_u32_e32 v3, 30, v3
	v_lshlrev_b32_sdwa v11, v11, v16 dst_sel:DWORD dst_unused:UNUSED_PAD src0_sel:DWORD src1_sel:BYTE_3
	v_cndmask_b32_e32 v3, v30, v3, vcc_lo
	v_and_b32_e32 v11, 3, v11
	v_lshl_add_u32 v3, v3, 23, 0x37800000
	v_cndmask_b32_e32 v2, v2, v11, vcc_lo
	v_and_b32_e32 v11, 0x80000000, v16
	v_lshlrev_b32_e32 v2, 21, v2
	v_or3_b32 v11, v11, v3, v2
.LBB6_3354:                             ;   in Loop: Header=BB6_2951 Depth=2
	s_or_b32 exec_lo, exec_lo, s41
	v_cmp_gt_i16_sdwa s41, v12, v57 src0_sel:BYTE_3 src1_sel:DWORD
	s_mov_b32 s14, 0
	s_and_saveexec_b32 s42, s41
	s_xor_b32 s41, exec_lo, s42
	s_cbranch_execz .LBB6_3615
; %bb.3355:                             ;   in Loop: Header=BB6_2951 Depth=2
	v_cmp_eq_u16_sdwa s43, v12, v58 src0_sel:BYTE_3 src1_sel:DWORD
	s_mov_b32 s14, -1
	s_and_saveexec_b32 s42, s43
; %bb.3356:                             ;   in Loop: Header=BB6_2951 Depth=2
	s_xor_b32 s14, exec_lo, -1
; %bb.3357:                             ;   in Loop: Header=BB6_2951 Depth=2
	s_or_b32 exec_lo, exec_lo, s42
	s_and_b32 s14, s14, exec_lo
	s_or_saveexec_b32 s41, s41
	v_mov_b32_e32 v2, 0x7f800001
	s_xor_b32 exec_lo, exec_lo, s41
	s_cbranch_execnz .LBB6_3616
.LBB6_3358:                             ;   in Loop: Header=BB6_2951 Depth=2
	s_or_b32 exec_lo, exec_lo, s41
	s_and_saveexec_b32 s41, s14
.LBB6_3359:                             ;   in Loop: Header=BB6_2951 Depth=2
	v_mov_b32_e32 v2, v10
.LBB6_3360:                             ;   in Loop: Header=BB6_2951 Depth=2
	s_or_b32 exec_lo, exec_lo, s41
	v_max_f32_e32 v2, v2, v2
	v_max_f32_e32 v3, v11, v11
	s_mov_b32 s14, 0
	v_max_f32_e32 v11, v3, v2
.LBB6_3361:                             ;   in Loop: Header=BB6_2951 Depth=2
	s_and_b32 vcc_lo, exec_lo, s14
	s_cbranch_vccz .LBB6_3375
; %bb.3362:                             ;   in Loop: Header=BB6_2951 Depth=2
	v_cmp_gt_i16_sdwa s41, v16, v57 src0_sel:BYTE_3 src1_sel:DWORD
	s_mov_b32 s14, 0
	s_and_saveexec_b32 s42, s41
	s_xor_b32 s41, exec_lo, s42
	s_cbranch_execz .LBB6_3617
; %bb.3363:                             ;   in Loop: Header=BB6_2951 Depth=2
	v_cmp_eq_u16_sdwa s43, v16, v58 src0_sel:BYTE_3 src1_sel:DWORD
	s_mov_b32 s14, -1
	s_and_saveexec_b32 s42, s43
; %bb.3364:                             ;   in Loop: Header=BB6_2951 Depth=2
	s_xor_b32 s14, exec_lo, -1
; %bb.3365:                             ;   in Loop: Header=BB6_2951 Depth=2
	s_or_b32 exec_lo, exec_lo, s42
	s_and_b32 s14, s14, exec_lo
	s_or_saveexec_b32 s41, s41
	v_mov_b32_e32 v11, 0x7f800001
	s_xor_b32 exec_lo, exec_lo, s41
	s_cbranch_execnz .LBB6_3618
.LBB6_3366:                             ;   in Loop: Header=BB6_2951 Depth=2
	s_or_b32 exec_lo, exec_lo, s41
	s_and_saveexec_b32 s41, s14
	s_cbranch_execz .LBB6_3368
.LBB6_3367:                             ;   in Loop: Header=BB6_2951 Depth=2
	v_bfe_u32 v2, v16, 24, 2
	v_bfe_u32 v30, v16, 26, 5
	v_ffbh_u32_e32 v3, v2
	v_cmp_eq_u32_e32 vcc_lo, 0, v30
	v_min_u32_e32 v3, 32, v3
	v_subrev_nc_u32_e32 v11, 29, v3
	v_sub_nc_u32_e32 v3, 30, v3
	v_lshlrev_b32_sdwa v11, v11, v16 dst_sel:DWORD dst_unused:UNUSED_PAD src0_sel:DWORD src1_sel:BYTE_3
	v_cndmask_b32_e32 v3, v30, v3, vcc_lo
	v_and_b32_e32 v11, 3, v11
	v_lshl_add_u32 v3, v3, 23, 0x37800000
	v_cndmask_b32_e32 v2, v2, v11, vcc_lo
	v_and_b32_e32 v11, 0x80000000, v16
	v_lshlrev_b32_e32 v2, 21, v2
	v_or3_b32 v11, v11, v3, v2
.LBB6_3368:                             ;   in Loop: Header=BB6_2951 Depth=2
	s_or_b32 exec_lo, exec_lo, s41
	v_cmp_gt_i16_sdwa s41, v12, v57 src0_sel:BYTE_3 src1_sel:DWORD
	s_mov_b32 s14, 0
	s_and_saveexec_b32 s42, s41
	s_xor_b32 s41, exec_lo, s42
	s_cbranch_execz .LBB6_3619
; %bb.3369:                             ;   in Loop: Header=BB6_2951 Depth=2
	v_cmp_eq_u16_sdwa s43, v12, v58 src0_sel:BYTE_3 src1_sel:DWORD
	s_mov_b32 s14, -1
	s_and_saveexec_b32 s42, s43
; %bb.3370:                             ;   in Loop: Header=BB6_2951 Depth=2
	s_xor_b32 s14, exec_lo, -1
; %bb.3371:                             ;   in Loop: Header=BB6_2951 Depth=2
	s_or_b32 exec_lo, exec_lo, s42
	s_and_b32 s14, s14, exec_lo
	s_or_saveexec_b32 s41, s41
	v_mov_b32_e32 v2, 0x7f800001
	s_xor_b32 exec_lo, exec_lo, s41
	s_cbranch_execnz .LBB6_3620
.LBB6_3372:                             ;   in Loop: Header=BB6_2951 Depth=2
	s_or_b32 exec_lo, exec_lo, s41
	s_and_saveexec_b32 s41, s14
.LBB6_3373:                             ;   in Loop: Header=BB6_2951 Depth=2
	v_mov_b32_e32 v2, v10
.LBB6_3374:                             ;   in Loop: Header=BB6_2951 Depth=2
	s_or_b32 exec_lo, exec_lo, s41
	v_max_f32_e32 v2, v2, v2
	v_max_f32_e32 v3, v11, v11
	v_min_f32_e32 v11, v3, v2
.LBB6_3375:                             ;   in Loop: Header=BB6_2951 Depth=2
	v_and_b32_e32 v2, 0x7f800000, v11
	v_mov_b32_e32 v16, 0x8000
	s_mov_b32 s41, exec_lo
	v_cmpx_ne_u32_e32 0x7f800000, v2
	s_cbranch_execz .LBB6_3383
; %bb.3376:                             ;   in Loop: Header=BB6_2951 Depth=2
	v_mov_b32_e32 v16, 0
	s_mov_b32 s42, exec_lo
	v_cmpx_ne_u32_e32 0, v11
	s_cbranch_execz .LBB6_3382
; %bb.3377:                             ;   in Loop: Header=BB6_2951 Depth=2
	v_bfe_u32 v2, v11, 23, 8
	v_and_b32_e32 v3, 0x7fffff, v11
	v_sub_nc_u32_e32 v10, 0x70, v2
	v_cmp_gt_u32_e32 vcc_lo, 0x71, v2
	v_or_b32_e32 v12, 0x800000, v3
	v_cndmask_b32_e32 v10, 0, v10, vcc_lo
	v_cmp_eq_u32_e32 vcc_lo, 0, v2
	v_add_nc_u32_e32 v2, 0xffffff91, v2
	v_cndmask_b32_e64 v10, v10, 0x6f, vcc_lo
	v_cndmask_b32_e32 v3, v12, v3, vcc_lo
	v_cndmask_b32_e64 v2, v2, 0xffffff92, vcc_lo
	v_lshl_add_u32 v16, 0x200000, v10, -1
	v_lshrrev_b32_e32 v12, v10, v3
	v_lshlrev_b32_e64 v39, v10, 0x100000
	v_add_nc_u32_e32 v2, v10, v2
	v_and_b32_e32 v3, v16, v3
	v_bfe_u32 v30, v12, 21, 1
	v_cmp_eq_u32_e64 s14, v3, v39
	v_add_nc_u32_e32 v16, -1, v30
	v_cndmask_b32_e64 v3, 0, v16, s14
	v_lshrrev_b32_e32 v16, 23, v12
	s_mov_b32 s14, exec_lo
	v_add_nc_u32_e32 v3, v3, v12
	v_and_b32_e32 v10, 0x1fffff, v3
	v_xor_b32_e32 v3, 1, v16
	v_add_nc_u32_e32 v12, v10, v12
                                        ; implicit-def: $vgpr10
	v_cmpx_ne_u32_e64 v2, v3
	s_xor_b32 s14, exec_lo, s14
; %bb.3378:                             ;   in Loop: Header=BB6_2951 Depth=2
	v_cmp_lt_u32_e32 vcc_lo, 0xffffff, v12
	v_sub_nc_u32_e32 v2, v2, v3
	v_cndmask_b32_e64 v3, 0, 1, vcc_lo
	v_add_co_ci_u32_e64 v10, null, 0, v2, vcc_lo
	v_lshrrev_b32_e32 v12, v3, v12
; %bb.3379:                             ;   in Loop: Header=BB6_2951 Depth=2
	s_andn2_saveexec_b32 s14, s14
; %bb.3380:                             ;   in Loop: Header=BB6_2951 Depth=2
	v_bfe_u32 v10, v12, 23, 1
; %bb.3381:                             ;   in Loop: Header=BB6_2951 Depth=2
	s_or_b32 exec_lo, exec_lo, s14
	v_lshrrev_b32_e32 v2, 21, v12
	v_min_i32_e32 v3, 31, v10
	v_cmp_gt_i32_e32 vcc_lo, 32, v10
	v_and_b32_sdwa v11, v11, v58 dst_sel:DWORD dst_unused:UNUSED_PAD src0_sel:BYTE_3 src1_sel:DWORD
	v_lshlrev_b32_e32 v3, 2, v3
	v_cndmask_b32_e32 v2, 3, v2, vcc_lo
	v_and_b32_e32 v3, 0xfc, v3
	v_and_b32_e32 v12, 3, v2
	v_or_b32_e32 v2, v10, v2
	v_or3_b32 v3, v11, v3, v12
	v_cmp_ne_u32_e32 vcc_lo, 0, v2
	v_lshlrev_b32_e32 v3, 8, v3
	v_cndmask_b32_e32 v16, 0, v3, vcc_lo
.LBB6_3382:                             ;   in Loop: Header=BB6_2951 Depth=2
	s_or_b32 exec_lo, exec_lo, s42
.LBB6_3383:                             ;   in Loop: Header=BB6_2951 Depth=2
	s_or_b32 exec_lo, exec_lo, s41
	v_and_b32_e32 v2, 3, v13
	v_bfe_u32 v11, v13, 2, 5
	v_lshlrev_b32_e32 v12, 24, v13
	v_cmp_gt_i16_sdwa s41, v17, v57 src0_sel:BYTE_0 src1_sel:DWORD
	s_mov_b32 s14, -1
	v_ffbh_u32_e32 v3, v2
	v_cmp_eq_u32_e32 vcc_lo, 0, v11
	v_min_u32_e32 v3, 32, v3
	v_subrev_nc_u32_e32 v10, 29, v3
	v_sub_nc_u32_e32 v3, 30, v3
	v_lshlrev_b32_e32 v10, v10, v13
	v_cndmask_b32_e32 v3, v11, v3, vcc_lo
                                        ; implicit-def: $vgpr11
	v_and_b32_e32 v10, 3, v10
	v_lshl_add_u32 v3, v3, 23, 0x37800000
	v_cndmask_b32_e32 v2, v2, v10, vcc_lo
	v_and_b32_e32 v10, 0x80000000, v12
	s_and_b32 vcc_lo, exec_lo, s40
	v_lshlrev_b32_e32 v2, 21, v2
	v_or3_b32 v10, v10, v3, v2
	s_cbranch_vccz .LBB6_3397
; %bb.3384:                             ;   in Loop: Header=BB6_2951 Depth=2
	s_mov_b32 s14, 0
	s_and_saveexec_b32 s42, s41
	s_xor_b32 s41, exec_lo, s42
	s_cbranch_execz .LBB6_3621
; %bb.3385:                             ;   in Loop: Header=BB6_2951 Depth=2
	v_cmp_eq_u16_sdwa s43, v17, v58 src0_sel:BYTE_0 src1_sel:DWORD
	s_mov_b32 s14, -1
	s_and_saveexec_b32 s42, s43
; %bb.3386:                             ;   in Loop: Header=BB6_2951 Depth=2
	s_xor_b32 s14, exec_lo, -1
; %bb.3387:                             ;   in Loop: Header=BB6_2951 Depth=2
	s_or_b32 exec_lo, exec_lo, s42
	s_and_b32 s14, s14, exec_lo
	s_or_saveexec_b32 s41, s41
	v_mov_b32_e32 v11, 0x7f800001
	s_xor_b32 exec_lo, exec_lo, s41
	s_cbranch_execnz .LBB6_3622
.LBB6_3388:                             ;   in Loop: Header=BB6_2951 Depth=2
	s_or_b32 exec_lo, exec_lo, s41
	s_and_saveexec_b32 s41, s14
	s_cbranch_execz .LBB6_3390
.LBB6_3389:                             ;   in Loop: Header=BB6_2951 Depth=2
	v_and_b32_e32 v2, 3, v17
	v_bfe_u32 v12, v17, 2, 5
	v_lshlrev_b32_e32 v30, 24, v17
	v_ffbh_u32_e32 v3, v2
	v_cmp_eq_u32_e32 vcc_lo, 0, v12
	v_min_u32_e32 v3, 32, v3
	v_subrev_nc_u32_e32 v11, 29, v3
	v_sub_nc_u32_e32 v3, 30, v3
	v_lshlrev_b32_e32 v11, v11, v17
	v_cndmask_b32_e32 v3, v12, v3, vcc_lo
	v_and_b32_e32 v11, 3, v11
	v_lshl_add_u32 v3, v3, 23, 0x37800000
	v_cndmask_b32_e32 v2, v2, v11, vcc_lo
	v_and_b32_e32 v11, 0x80000000, v30
	v_lshlrev_b32_e32 v2, 21, v2
	v_or3_b32 v11, v11, v3, v2
.LBB6_3390:                             ;   in Loop: Header=BB6_2951 Depth=2
	s_or_b32 exec_lo, exec_lo, s41
	v_cmp_gt_i16_sdwa s41, v13, v57 src0_sel:BYTE_0 src1_sel:DWORD
	s_mov_b32 s14, 0
	s_and_saveexec_b32 s42, s41
	s_xor_b32 s41, exec_lo, s42
	s_cbranch_execz .LBB6_3623
; %bb.3391:                             ;   in Loop: Header=BB6_2951 Depth=2
	v_cmp_eq_u16_sdwa s43, v13, v58 src0_sel:BYTE_0 src1_sel:DWORD
	s_mov_b32 s14, -1
	s_and_saveexec_b32 s42, s43
; %bb.3392:                             ;   in Loop: Header=BB6_2951 Depth=2
	s_xor_b32 s14, exec_lo, -1
; %bb.3393:                             ;   in Loop: Header=BB6_2951 Depth=2
	s_or_b32 exec_lo, exec_lo, s42
	s_and_b32 s14, s14, exec_lo
	s_or_saveexec_b32 s41, s41
	v_mov_b32_e32 v2, 0x7f800001
	s_xor_b32 exec_lo, exec_lo, s41
	s_cbranch_execnz .LBB6_3624
.LBB6_3394:                             ;   in Loop: Header=BB6_2951 Depth=2
	s_or_b32 exec_lo, exec_lo, s41
	s_and_saveexec_b32 s41, s14
.LBB6_3395:                             ;   in Loop: Header=BB6_2951 Depth=2
	v_mov_b32_e32 v2, v10
.LBB6_3396:                             ;   in Loop: Header=BB6_2951 Depth=2
	s_or_b32 exec_lo, exec_lo, s41
	v_max_f32_e32 v2, v2, v2
	v_max_f32_e32 v3, v11, v11
	s_mov_b32 s14, 0
	v_max_f32_e32 v11, v3, v2
.LBB6_3397:                             ;   in Loop: Header=BB6_2951 Depth=2
	s_and_b32 vcc_lo, exec_lo, s14
	s_cbranch_vccz .LBB6_3411
; %bb.3398:                             ;   in Loop: Header=BB6_2951 Depth=2
	v_cmp_gt_i16_sdwa s41, v17, v57 src0_sel:BYTE_0 src1_sel:DWORD
	s_mov_b32 s14, 0
	s_and_saveexec_b32 s42, s41
	s_xor_b32 s41, exec_lo, s42
	s_cbranch_execz .LBB6_3625
; %bb.3399:                             ;   in Loop: Header=BB6_2951 Depth=2
	v_cmp_eq_u16_sdwa s43, v17, v58 src0_sel:BYTE_0 src1_sel:DWORD
	s_mov_b32 s14, -1
	s_and_saveexec_b32 s42, s43
; %bb.3400:                             ;   in Loop: Header=BB6_2951 Depth=2
	s_xor_b32 s14, exec_lo, -1
; %bb.3401:                             ;   in Loop: Header=BB6_2951 Depth=2
	s_or_b32 exec_lo, exec_lo, s42
	s_and_b32 s14, s14, exec_lo
	s_or_saveexec_b32 s41, s41
	v_mov_b32_e32 v11, 0x7f800001
	s_xor_b32 exec_lo, exec_lo, s41
	s_cbranch_execnz .LBB6_3626
.LBB6_3402:                             ;   in Loop: Header=BB6_2951 Depth=2
	s_or_b32 exec_lo, exec_lo, s41
	s_and_saveexec_b32 s41, s14
	s_cbranch_execz .LBB6_3404
.LBB6_3403:                             ;   in Loop: Header=BB6_2951 Depth=2
	v_and_b32_e32 v2, 3, v17
	v_bfe_u32 v12, v17, 2, 5
	v_lshlrev_b32_e32 v30, 24, v17
	v_ffbh_u32_e32 v3, v2
	v_cmp_eq_u32_e32 vcc_lo, 0, v12
	v_min_u32_e32 v3, 32, v3
	v_subrev_nc_u32_e32 v11, 29, v3
	v_sub_nc_u32_e32 v3, 30, v3
	v_lshlrev_b32_e32 v11, v11, v17
	v_cndmask_b32_e32 v3, v12, v3, vcc_lo
	v_and_b32_e32 v11, 3, v11
	v_lshl_add_u32 v3, v3, 23, 0x37800000
	v_cndmask_b32_e32 v2, v2, v11, vcc_lo
	v_and_b32_e32 v11, 0x80000000, v30
	v_lshlrev_b32_e32 v2, 21, v2
	v_or3_b32 v11, v11, v3, v2
.LBB6_3404:                             ;   in Loop: Header=BB6_2951 Depth=2
	s_or_b32 exec_lo, exec_lo, s41
	v_cmp_gt_i16_sdwa s41, v13, v57 src0_sel:BYTE_0 src1_sel:DWORD
	s_mov_b32 s14, 0
	s_and_saveexec_b32 s42, s41
	s_xor_b32 s41, exec_lo, s42
	s_cbranch_execz .LBB6_3627
; %bb.3405:                             ;   in Loop: Header=BB6_2951 Depth=2
	v_cmp_eq_u16_sdwa s43, v13, v58 src0_sel:BYTE_0 src1_sel:DWORD
	s_mov_b32 s14, -1
	s_and_saveexec_b32 s42, s43
; %bb.3406:                             ;   in Loop: Header=BB6_2951 Depth=2
	s_xor_b32 s14, exec_lo, -1
; %bb.3407:                             ;   in Loop: Header=BB6_2951 Depth=2
	s_or_b32 exec_lo, exec_lo, s42
	s_and_b32 s14, s14, exec_lo
	s_or_saveexec_b32 s41, s41
	v_mov_b32_e32 v2, 0x7f800001
	s_xor_b32 exec_lo, exec_lo, s41
	s_cbranch_execnz .LBB6_3628
.LBB6_3408:                             ;   in Loop: Header=BB6_2951 Depth=2
	s_or_b32 exec_lo, exec_lo, s41
	s_and_saveexec_b32 s41, s14
.LBB6_3409:                             ;   in Loop: Header=BB6_2951 Depth=2
	v_mov_b32_e32 v2, v10
.LBB6_3410:                             ;   in Loop: Header=BB6_2951 Depth=2
	s_or_b32 exec_lo, exec_lo, s41
	v_max_f32_e32 v2, v2, v2
	v_max_f32_e32 v3, v11, v11
	v_min_f32_e32 v11, v3, v2
.LBB6_3411:                             ;   in Loop: Header=BB6_2951 Depth=2
	v_and_b32_e32 v2, 0x7f800000, v11
	v_mov_b32_e32 v39, 0x80
	s_mov_b32 s41, exec_lo
	v_cmpx_ne_u32_e32 0x7f800000, v2
	s_cbranch_execz .LBB6_3419
; %bb.3412:                             ;   in Loop: Header=BB6_2951 Depth=2
	v_mov_b32_e32 v39, 0
	s_mov_b32 s42, exec_lo
	v_cmpx_ne_u32_e32 0, v11
	s_cbranch_execz .LBB6_3418
; %bb.3413:                             ;   in Loop: Header=BB6_2951 Depth=2
	v_bfe_u32 v2, v11, 23, 8
	v_and_b32_e32 v3, 0x7fffff, v11
	v_sub_nc_u32_e32 v10, 0x70, v2
	v_cmp_gt_u32_e32 vcc_lo, 0x71, v2
	v_or_b32_e32 v12, 0x800000, v3
	v_cndmask_b32_e32 v10, 0, v10, vcc_lo
	v_cmp_eq_u32_e32 vcc_lo, 0, v2
	v_add_nc_u32_e32 v2, 0xffffff91, v2
	v_cndmask_b32_e64 v10, v10, 0x6f, vcc_lo
	v_cndmask_b32_e32 v3, v12, v3, vcc_lo
	v_cndmask_b32_e64 v2, v2, 0xffffff92, vcc_lo
	v_lshl_add_u32 v30, 0x200000, v10, -1
	v_lshrrev_b32_e32 v12, v10, v3
	v_lshlrev_b32_e64 v48, v10, 0x100000
	v_add_nc_u32_e32 v2, v10, v2
	v_and_b32_e32 v3, v30, v3
	v_bfe_u32 v39, v12, 21, 1
	v_cmp_eq_u32_e64 s14, v3, v48
	v_add_nc_u32_e32 v30, -1, v39
	v_cndmask_b32_e64 v3, 0, v30, s14
	v_lshrrev_b32_e32 v30, 23, v12
	s_mov_b32 s14, exec_lo
	v_add_nc_u32_e32 v3, v3, v12
	v_and_b32_e32 v10, 0x1fffff, v3
	v_xor_b32_e32 v3, 1, v30
	v_add_nc_u32_e32 v12, v10, v12
                                        ; implicit-def: $vgpr10
	v_cmpx_ne_u32_e64 v2, v3
	s_xor_b32 s14, exec_lo, s14
; %bb.3414:                             ;   in Loop: Header=BB6_2951 Depth=2
	v_cmp_lt_u32_e32 vcc_lo, 0xffffff, v12
	v_sub_nc_u32_e32 v2, v2, v3
	v_cndmask_b32_e64 v3, 0, 1, vcc_lo
	v_add_co_ci_u32_e64 v10, null, 0, v2, vcc_lo
	v_lshrrev_b32_e32 v12, v3, v12
; %bb.3415:                             ;   in Loop: Header=BB6_2951 Depth=2
	s_andn2_saveexec_b32 s14, s14
; %bb.3416:                             ;   in Loop: Header=BB6_2951 Depth=2
	v_bfe_u32 v10, v12, 23, 1
; %bb.3417:                             ;   in Loop: Header=BB6_2951 Depth=2
	s_or_b32 exec_lo, exec_lo, s14
	v_lshrrev_b32_e32 v2, 21, v12
	v_min_i32_e32 v3, 31, v10
	v_cmp_gt_i32_e32 vcc_lo, 32, v10
	v_and_b32_sdwa v11, v11, v58 dst_sel:DWORD dst_unused:UNUSED_PAD src0_sel:BYTE_3 src1_sel:DWORD
	v_lshlrev_b32_e32 v3, 2, v3
	v_cndmask_b32_e32 v2, 3, v2, vcc_lo
	v_and_b32_e32 v3, 0xfc, v3
	v_and_b32_e32 v12, 3, v2
	v_or_b32_e32 v2, v10, v2
	v_or3_b32 v3, v3, v11, v12
	v_cmp_ne_u32_e32 vcc_lo, 0, v2
	v_cndmask_b32_e32 v39, 0, v3, vcc_lo
.LBB6_3418:                             ;   in Loop: Header=BB6_2951 Depth=2
	s_or_b32 exec_lo, exec_lo, s42
.LBB6_3419:                             ;   in Loop: Header=BB6_2951 Depth=2
	s_or_b32 exec_lo, exec_lo, s41
	v_and_b32_sdwa v2, v59, v13 dst_sel:DWORD dst_unused:UNUSED_PAD src0_sel:DWORD src1_sel:BYTE_1
	v_cmp_gt_i16_sdwa s41, v17, v57 src0_sel:BYTE_1 src1_sel:DWORD
	s_mov_b32 s14, -1
	v_and_b32_e32 v3, 3, v2
	v_bfe_u32 v12, v2, 2, 5
	v_ffbh_u32_e32 v10, v3
	v_cmp_eq_u32_e32 vcc_lo, 0, v12
	v_min_u32_e32 v10, 32, v10
	v_subrev_nc_u32_e32 v11, 29, v10
	v_sub_nc_u32_e32 v10, 30, v10
	v_lshlrev_b32_e32 v2, v11, v2
	v_lshlrev_b32_sdwa v11, v61, v13 dst_sel:DWORD dst_unused:UNUSED_PAD src0_sel:DWORD src1_sel:BYTE_1
	v_cndmask_b32_e32 v10, v12, v10, vcc_lo
	v_and_b32_e32 v2, 3, v2
	v_lshl_add_u32 v10, v10, 23, 0x37800000
	v_cndmask_b32_e32 v2, v3, v2, vcc_lo
	v_and_b32_e32 v3, 0x80000000, v11
	s_and_b32 vcc_lo, exec_lo, s40
                                        ; implicit-def: $vgpr11
	v_lshlrev_b32_e32 v2, 21, v2
	v_or3_b32 v10, v3, v10, v2
	s_cbranch_vccz .LBB6_3433
; %bb.3420:                             ;   in Loop: Header=BB6_2951 Depth=2
	s_mov_b32 s14, 0
	s_and_saveexec_b32 s42, s41
	s_xor_b32 s41, exec_lo, s42
	s_cbranch_execz .LBB6_3629
; %bb.3421:                             ;   in Loop: Header=BB6_2951 Depth=2
	v_cmp_eq_u16_sdwa s43, v17, v58 src0_sel:BYTE_1 src1_sel:DWORD
	s_mov_b32 s14, -1
	s_and_saveexec_b32 s42, s43
; %bb.3422:                             ;   in Loop: Header=BB6_2951 Depth=2
	s_xor_b32 s14, exec_lo, -1
; %bb.3423:                             ;   in Loop: Header=BB6_2951 Depth=2
	s_or_b32 exec_lo, exec_lo, s42
	s_and_b32 s14, s14, exec_lo
	s_or_saveexec_b32 s41, s41
	v_mov_b32_e32 v11, 0x7f800001
	s_xor_b32 exec_lo, exec_lo, s41
	s_cbranch_execnz .LBB6_3630
.LBB6_3424:                             ;   in Loop: Header=BB6_2951 Depth=2
	s_or_b32 exec_lo, exec_lo, s41
	s_and_saveexec_b32 s41, s14
	s_cbranch_execz .LBB6_3426
.LBB6_3425:                             ;   in Loop: Header=BB6_2951 Depth=2
	v_and_b32_sdwa v2, v59, v17 dst_sel:DWORD dst_unused:UNUSED_PAD src0_sel:DWORD src1_sel:BYTE_1
	v_and_b32_e32 v3, 3, v2
	v_bfe_u32 v30, v2, 2, 5
	v_ffbh_u32_e32 v11, v3
	v_cmp_eq_u32_e32 vcc_lo, 0, v30
	v_min_u32_e32 v11, 32, v11
	v_subrev_nc_u32_e32 v12, 29, v11
	v_sub_nc_u32_e32 v11, 30, v11
	v_lshlrev_b32_e32 v2, v12, v2
	v_lshlrev_b32_e32 v12, 16, v17
	v_cndmask_b32_e32 v11, v30, v11, vcc_lo
	v_and_b32_e32 v2, 3, v2
	v_lshl_add_u32 v11, v11, 23, 0x37800000
	v_cndmask_b32_e32 v2, v3, v2, vcc_lo
	v_and_b32_e32 v3, 0x80000000, v12
	v_lshlrev_b32_e32 v2, 21, v2
	v_or3_b32 v11, v3, v11, v2
.LBB6_3426:                             ;   in Loop: Header=BB6_2951 Depth=2
	s_or_b32 exec_lo, exec_lo, s41
	v_cmp_gt_i16_sdwa s41, v13, v57 src0_sel:BYTE_1 src1_sel:DWORD
	s_mov_b32 s14, 0
	s_and_saveexec_b32 s42, s41
	s_xor_b32 s41, exec_lo, s42
	s_cbranch_execz .LBB6_3631
; %bb.3427:                             ;   in Loop: Header=BB6_2951 Depth=2
	v_cmp_eq_u16_sdwa s43, v13, v58 src0_sel:BYTE_1 src1_sel:DWORD
	s_mov_b32 s14, -1
	s_and_saveexec_b32 s42, s43
; %bb.3428:                             ;   in Loop: Header=BB6_2951 Depth=2
	s_xor_b32 s14, exec_lo, -1
; %bb.3429:                             ;   in Loop: Header=BB6_2951 Depth=2
	s_or_b32 exec_lo, exec_lo, s42
	s_and_b32 s14, s14, exec_lo
	s_or_saveexec_b32 s41, s41
	v_mov_b32_e32 v2, 0x7f800001
	s_xor_b32 exec_lo, exec_lo, s41
	s_cbranch_execnz .LBB6_3632
.LBB6_3430:                             ;   in Loop: Header=BB6_2951 Depth=2
	s_or_b32 exec_lo, exec_lo, s41
	s_and_saveexec_b32 s41, s14
.LBB6_3431:                             ;   in Loop: Header=BB6_2951 Depth=2
	v_mov_b32_e32 v2, v10
.LBB6_3432:                             ;   in Loop: Header=BB6_2951 Depth=2
	s_or_b32 exec_lo, exec_lo, s41
	v_max_f32_e32 v2, v2, v2
	v_max_f32_e32 v3, v11, v11
	s_mov_b32 s14, 0
	v_max_f32_e32 v11, v3, v2
.LBB6_3433:                             ;   in Loop: Header=BB6_2951 Depth=2
	s_and_b32 vcc_lo, exec_lo, s14
	s_cbranch_vccz .LBB6_3447
; %bb.3434:                             ;   in Loop: Header=BB6_2951 Depth=2
	v_cmp_gt_i16_sdwa s41, v17, v57 src0_sel:BYTE_1 src1_sel:DWORD
	s_mov_b32 s14, 0
	s_and_saveexec_b32 s42, s41
	s_xor_b32 s41, exec_lo, s42
	s_cbranch_execz .LBB6_3633
; %bb.3435:                             ;   in Loop: Header=BB6_2951 Depth=2
	v_cmp_eq_u16_sdwa s43, v17, v58 src0_sel:BYTE_1 src1_sel:DWORD
	s_mov_b32 s14, -1
	s_and_saveexec_b32 s42, s43
; %bb.3436:                             ;   in Loop: Header=BB6_2951 Depth=2
	s_xor_b32 s14, exec_lo, -1
; %bb.3437:                             ;   in Loop: Header=BB6_2951 Depth=2
	s_or_b32 exec_lo, exec_lo, s42
	s_and_b32 s14, s14, exec_lo
	s_or_saveexec_b32 s41, s41
	v_mov_b32_e32 v11, 0x7f800001
	s_xor_b32 exec_lo, exec_lo, s41
	s_cbranch_execnz .LBB6_3634
.LBB6_3438:                             ;   in Loop: Header=BB6_2951 Depth=2
	s_or_b32 exec_lo, exec_lo, s41
	s_and_saveexec_b32 s41, s14
	s_cbranch_execz .LBB6_3440
.LBB6_3439:                             ;   in Loop: Header=BB6_2951 Depth=2
	v_and_b32_sdwa v2, v59, v17 dst_sel:DWORD dst_unused:UNUSED_PAD src0_sel:DWORD src1_sel:BYTE_1
	v_and_b32_e32 v3, 3, v2
	v_bfe_u32 v30, v2, 2, 5
	v_ffbh_u32_e32 v11, v3
	v_cmp_eq_u32_e32 vcc_lo, 0, v30
	v_min_u32_e32 v11, 32, v11
	v_subrev_nc_u32_e32 v12, 29, v11
	v_sub_nc_u32_e32 v11, 30, v11
	v_lshlrev_b32_e32 v2, v12, v2
	v_lshlrev_b32_e32 v12, 16, v17
	v_cndmask_b32_e32 v11, v30, v11, vcc_lo
	v_and_b32_e32 v2, 3, v2
	v_lshl_add_u32 v11, v11, 23, 0x37800000
	v_cndmask_b32_e32 v2, v3, v2, vcc_lo
	v_and_b32_e32 v3, 0x80000000, v12
	v_lshlrev_b32_e32 v2, 21, v2
	v_or3_b32 v11, v3, v11, v2
.LBB6_3440:                             ;   in Loop: Header=BB6_2951 Depth=2
	s_or_b32 exec_lo, exec_lo, s41
	v_cmp_gt_i16_sdwa s41, v13, v57 src0_sel:BYTE_1 src1_sel:DWORD
	s_mov_b32 s14, 0
	s_and_saveexec_b32 s42, s41
	s_xor_b32 s41, exec_lo, s42
	s_cbranch_execz .LBB6_3635
; %bb.3441:                             ;   in Loop: Header=BB6_2951 Depth=2
	v_cmp_eq_u16_sdwa s43, v13, v58 src0_sel:BYTE_1 src1_sel:DWORD
	s_mov_b32 s14, -1
	s_and_saveexec_b32 s42, s43
; %bb.3442:                             ;   in Loop: Header=BB6_2951 Depth=2
	s_xor_b32 s14, exec_lo, -1
; %bb.3443:                             ;   in Loop: Header=BB6_2951 Depth=2
	s_or_b32 exec_lo, exec_lo, s42
	s_and_b32 s14, s14, exec_lo
	s_or_saveexec_b32 s41, s41
	v_mov_b32_e32 v2, 0x7f800001
	s_xor_b32 exec_lo, exec_lo, s41
	s_cbranch_execnz .LBB6_3636
.LBB6_3444:                             ;   in Loop: Header=BB6_2951 Depth=2
	s_or_b32 exec_lo, exec_lo, s41
	s_and_saveexec_b32 s41, s14
.LBB6_3445:                             ;   in Loop: Header=BB6_2951 Depth=2
	v_mov_b32_e32 v2, v10
.LBB6_3446:                             ;   in Loop: Header=BB6_2951 Depth=2
	s_or_b32 exec_lo, exec_lo, s41
	v_max_f32_e32 v2, v2, v2
	v_max_f32_e32 v3, v11, v11
	v_min_f32_e32 v11, v3, v2
.LBB6_3447:                             ;   in Loop: Header=BB6_2951 Depth=2
	v_and_b32_e32 v2, 0x7f800000, v11
	v_mov_b32_e32 v48, 0x8000
	s_mov_b32 s41, exec_lo
	v_cmpx_ne_u32_e32 0x7f800000, v2
	s_cbranch_execz .LBB6_3455
; %bb.3448:                             ;   in Loop: Header=BB6_2951 Depth=2
	v_mov_b32_e32 v48, 0
	s_mov_b32 s42, exec_lo
	v_cmpx_ne_u32_e32 0, v11
	s_cbranch_execz .LBB6_3454
; %bb.3449:                             ;   in Loop: Header=BB6_2951 Depth=2
	v_bfe_u32 v2, v11, 23, 8
	v_and_b32_e32 v3, 0x7fffff, v11
	v_sub_nc_u32_e32 v10, 0x70, v2
	v_cmp_gt_u32_e32 vcc_lo, 0x71, v2
	v_or_b32_e32 v12, 0x800000, v3
	v_cndmask_b32_e32 v10, 0, v10, vcc_lo
	v_cmp_eq_u32_e32 vcc_lo, 0, v2
	v_add_nc_u32_e32 v2, 0xffffff91, v2
	v_cndmask_b32_e64 v10, v10, 0x6f, vcc_lo
	v_cndmask_b32_e32 v3, v12, v3, vcc_lo
	v_cndmask_b32_e64 v2, v2, 0xffffff92, vcc_lo
	v_lshl_add_u32 v30, 0x200000, v10, -1
	v_lshrrev_b32_e32 v12, v10, v3
	v_lshlrev_b32_e64 v49, v10, 0x100000
	v_add_nc_u32_e32 v2, v10, v2
	v_and_b32_e32 v3, v30, v3
	v_bfe_u32 v48, v12, 21, 1
	v_cmp_eq_u32_e64 s14, v3, v49
	v_add_nc_u32_e32 v30, -1, v48
	v_cndmask_b32_e64 v3, 0, v30, s14
	v_lshrrev_b32_e32 v30, 23, v12
	s_mov_b32 s14, exec_lo
	v_add_nc_u32_e32 v3, v3, v12
	v_and_b32_e32 v10, 0x1fffff, v3
	v_xor_b32_e32 v3, 1, v30
	v_add_nc_u32_e32 v12, v10, v12
                                        ; implicit-def: $vgpr10
	v_cmpx_ne_u32_e64 v2, v3
	s_xor_b32 s14, exec_lo, s14
; %bb.3450:                             ;   in Loop: Header=BB6_2951 Depth=2
	v_cmp_lt_u32_e32 vcc_lo, 0xffffff, v12
	v_sub_nc_u32_e32 v2, v2, v3
	v_cndmask_b32_e64 v3, 0, 1, vcc_lo
	v_add_co_ci_u32_e64 v10, null, 0, v2, vcc_lo
	v_lshrrev_b32_e32 v12, v3, v12
; %bb.3451:                             ;   in Loop: Header=BB6_2951 Depth=2
	s_andn2_saveexec_b32 s14, s14
; %bb.3452:                             ;   in Loop: Header=BB6_2951 Depth=2
	v_bfe_u32 v10, v12, 23, 1
; %bb.3453:                             ;   in Loop: Header=BB6_2951 Depth=2
	s_or_b32 exec_lo, exec_lo, s14
	v_lshrrev_b32_e32 v2, 21, v12
	v_min_i32_e32 v3, 31, v10
	v_cmp_gt_i32_e32 vcc_lo, 32, v10
	v_and_b32_sdwa v11, v11, v58 dst_sel:DWORD dst_unused:UNUSED_PAD src0_sel:BYTE_3 src1_sel:DWORD
	v_lshlrev_b32_e32 v3, 2, v3
	v_cndmask_b32_e32 v2, 3, v2, vcc_lo
	v_and_b32_e32 v3, 0xfc, v3
	v_and_b32_e32 v12, 3, v2
	v_or_b32_e32 v2, v10, v2
	v_or3_b32 v3, v11, v3, v12
	v_cmp_ne_u32_e32 vcc_lo, 0, v2
	v_lshlrev_b32_e32 v3, 8, v3
	v_cndmask_b32_e32 v48, 0, v3, vcc_lo
.LBB6_3454:                             ;   in Loop: Header=BB6_2951 Depth=2
	s_or_b32 exec_lo, exec_lo, s42
.LBB6_3455:                             ;   in Loop: Header=BB6_2951 Depth=2
	s_or_b32 exec_lo, exec_lo, s41
	v_bfe_u32 v2, v13, 16, 2
	v_bfe_u32 v11, v13, 18, 5
	v_lshlrev_b32_e32 v12, 8, v13
	s_mov_b32 s41, -1
	v_ffbh_u32_e32 v3, v2
	v_cmp_eq_u32_e32 vcc_lo, 0, v11
	v_min_u32_e32 v3, 32, v3
	v_subrev_nc_u32_e32 v10, 29, v3
	v_sub_nc_u32_e32 v3, 30, v3
	v_lshlrev_b32_sdwa v10, v10, v13 dst_sel:DWORD dst_unused:UNUSED_PAD src0_sel:DWORD src1_sel:WORD_1
	v_cndmask_b32_e32 v3, v11, v3, vcc_lo
	v_and_b32_sdwa v11, v17, v60 dst_sel:DWORD dst_unused:UNUSED_PAD src0_sel:WORD_1 src1_sel:DWORD
	v_and_b32_e32 v10, 3, v10
	v_lshl_add_u32 v3, v3, 23, 0x37800000
	v_cmp_lt_i16_e64 s14, 0x7f, v11
	v_cndmask_b32_e32 v2, v2, v10, vcc_lo
	v_and_b32_e32 v10, 0x80000000, v12
	s_and_b32 vcc_lo, exec_lo, s40
                                        ; implicit-def: $vgpr12
	v_lshlrev_b32_e32 v2, 21, v2
	v_or3_b32 v10, v10, v3, v2
	s_cbranch_vccz .LBB6_3469
; %bb.3456:                             ;   in Loop: Header=BB6_2951 Depth=2
	s_mov_b32 s41, 0
	s_and_saveexec_b32 s42, s14
	s_xor_b32 s14, exec_lo, s42
	s_cbranch_execz .LBB6_3637
; %bb.3457:                             ;   in Loop: Header=BB6_2951 Depth=2
	s_mov_b32 s41, -1
	s_mov_b32 s42, exec_lo
	v_cmpx_eq_u16_e32 0x80, v11
; %bb.3458:                             ;   in Loop: Header=BB6_2951 Depth=2
	s_xor_b32 s41, exec_lo, -1
; %bb.3459:                             ;   in Loop: Header=BB6_2951 Depth=2
	s_or_b32 exec_lo, exec_lo, s42
	s_and_b32 s41, s41, exec_lo
	s_or_saveexec_b32 s14, s14
	v_mov_b32_e32 v12, 0x7f800001
	s_xor_b32 exec_lo, exec_lo, s14
	s_cbranch_execnz .LBB6_3638
.LBB6_3460:                             ;   in Loop: Header=BB6_2951 Depth=2
	s_or_b32 exec_lo, exec_lo, s14
	s_and_saveexec_b32 s14, s41
	s_cbranch_execz .LBB6_3462
.LBB6_3461:                             ;   in Loop: Header=BB6_2951 Depth=2
	v_bfe_u32 v2, v17, 16, 2
	v_bfe_u32 v30, v17, 18, 5
	v_lshlrev_b32_sdwa v49, v61, v17 dst_sel:DWORD dst_unused:UNUSED_PAD src0_sel:DWORD src1_sel:WORD_1
	v_ffbh_u32_e32 v3, v2
	v_cmp_eq_u32_e32 vcc_lo, 0, v30
	v_min_u32_e32 v3, 32, v3
	v_subrev_nc_u32_e32 v12, 29, v3
	v_sub_nc_u32_e32 v3, 30, v3
	v_lshlrev_b32_sdwa v12, v12, v17 dst_sel:DWORD dst_unused:UNUSED_PAD src0_sel:DWORD src1_sel:WORD_1
	v_cndmask_b32_e32 v3, v30, v3, vcc_lo
	v_and_b32_e32 v12, 3, v12
	v_lshl_add_u32 v3, v3, 23, 0x37800000
	v_cndmask_b32_e32 v2, v2, v12, vcc_lo
	v_and_b32_e32 v12, 0x80000000, v49
	v_lshlrev_b32_e32 v2, 21, v2
	v_or3_b32 v12, v12, v3, v2
.LBB6_3462:                             ;   in Loop: Header=BB6_2951 Depth=2
	s_or_b32 exec_lo, exec_lo, s14
	v_and_b32_sdwa v3, v13, v60 dst_sel:DWORD dst_unused:UNUSED_PAD src0_sel:WORD_1 src1_sel:DWORD
	s_mov_b32 s14, 0
	s_mov_b32 s41, exec_lo
	v_cmpx_lt_i16_e32 0x7f, v3
	s_xor_b32 s41, exec_lo, s41
	s_cbranch_execz .LBB6_3639
; %bb.3463:                             ;   in Loop: Header=BB6_2951 Depth=2
	s_mov_b32 s14, -1
	s_mov_b32 s42, exec_lo
	v_cmpx_eq_u16_e32 0x80, v3
; %bb.3464:                             ;   in Loop: Header=BB6_2951 Depth=2
	s_xor_b32 s14, exec_lo, -1
; %bb.3465:                             ;   in Loop: Header=BB6_2951 Depth=2
	s_or_b32 exec_lo, exec_lo, s42
	s_and_b32 s14, s14, exec_lo
                                        ; implicit-def: $vgpr3
	s_or_saveexec_b32 s41, s41
	v_mov_b32_e32 v2, 0x7f800001
	s_xor_b32 exec_lo, exec_lo, s41
	s_cbranch_execnz .LBB6_3640
.LBB6_3466:                             ;   in Loop: Header=BB6_2951 Depth=2
	s_or_b32 exec_lo, exec_lo, s41
	s_and_saveexec_b32 s41, s14
.LBB6_3467:                             ;   in Loop: Header=BB6_2951 Depth=2
	v_mov_b32_e32 v2, v10
.LBB6_3468:                             ;   in Loop: Header=BB6_2951 Depth=2
	s_or_b32 exec_lo, exec_lo, s41
	v_max_f32_e32 v2, v2, v2
	v_max_f32_e32 v3, v12, v12
	s_mov_b32 s41, 0
	v_max_f32_e32 v12, v3, v2
.LBB6_3469:                             ;   in Loop: Header=BB6_2951 Depth=2
	s_and_b32 vcc_lo, exec_lo, s41
	s_cbranch_vccz .LBB6_3483
; %bb.3470:                             ;   in Loop: Header=BB6_2951 Depth=2
	s_mov_b32 s14, 0
	s_mov_b32 s41, exec_lo
	v_cmpx_lt_i16_e32 0x7f, v11
	s_xor_b32 s41, exec_lo, s41
	s_cbranch_execz .LBB6_3641
; %bb.3471:                             ;   in Loop: Header=BB6_2951 Depth=2
	s_mov_b32 s14, -1
	s_mov_b32 s42, exec_lo
	v_cmpx_eq_u16_e32 0x80, v11
; %bb.3472:                             ;   in Loop: Header=BB6_2951 Depth=2
	s_xor_b32 s14, exec_lo, -1
; %bb.3473:                             ;   in Loop: Header=BB6_2951 Depth=2
	s_or_b32 exec_lo, exec_lo, s42
	s_and_b32 s14, s14, exec_lo
                                        ; implicit-def: $vgpr11
	s_or_saveexec_b32 s41, s41
	v_mov_b32_e32 v12, 0x7f800001
	s_xor_b32 exec_lo, exec_lo, s41
	s_cbranch_execnz .LBB6_3642
.LBB6_3474:                             ;   in Loop: Header=BB6_2951 Depth=2
	s_or_b32 exec_lo, exec_lo, s41
	s_and_saveexec_b32 s41, s14
	s_cbranch_execz .LBB6_3476
.LBB6_3475:                             ;   in Loop: Header=BB6_2951 Depth=2
	v_bfe_u32 v2, v17, 16, 2
	v_bfe_u32 v12, v17, 18, 5
	v_lshlrev_b32_sdwa v30, v61, v17 dst_sel:DWORD dst_unused:UNUSED_PAD src0_sel:DWORD src1_sel:WORD_1
	v_ffbh_u32_e32 v3, v2
	v_cmp_eq_u32_e32 vcc_lo, 0, v12
	v_min_u32_e32 v3, 32, v3
	v_subrev_nc_u32_e32 v11, 29, v3
	v_sub_nc_u32_e32 v3, 30, v3
	v_lshlrev_b32_sdwa v11, v11, v17 dst_sel:DWORD dst_unused:UNUSED_PAD src0_sel:DWORD src1_sel:WORD_1
	v_cndmask_b32_e32 v3, v12, v3, vcc_lo
	v_and_b32_e32 v11, 3, v11
	v_lshl_add_u32 v3, v3, 23, 0x37800000
	v_cndmask_b32_e32 v2, v2, v11, vcc_lo
	v_and_b32_e32 v11, 0x80000000, v30
	v_lshlrev_b32_e32 v2, 21, v2
	v_or3_b32 v12, v11, v3, v2
.LBB6_3476:                             ;   in Loop: Header=BB6_2951 Depth=2
	s_or_b32 exec_lo, exec_lo, s41
	v_and_b32_sdwa v3, v13, v60 dst_sel:DWORD dst_unused:UNUSED_PAD src0_sel:WORD_1 src1_sel:DWORD
	s_mov_b32 s14, 0
	s_mov_b32 s41, exec_lo
	v_cmpx_lt_i16_e32 0x7f, v3
	s_xor_b32 s41, exec_lo, s41
	s_cbranch_execz .LBB6_3643
; %bb.3477:                             ;   in Loop: Header=BB6_2951 Depth=2
	s_mov_b32 s14, -1
	s_mov_b32 s42, exec_lo
	v_cmpx_eq_u16_e32 0x80, v3
; %bb.3478:                             ;   in Loop: Header=BB6_2951 Depth=2
	s_xor_b32 s14, exec_lo, -1
; %bb.3479:                             ;   in Loop: Header=BB6_2951 Depth=2
	s_or_b32 exec_lo, exec_lo, s42
	s_and_b32 s14, s14, exec_lo
                                        ; implicit-def: $vgpr3
	s_or_saveexec_b32 s41, s41
	v_mov_b32_e32 v2, 0x7f800001
	s_xor_b32 exec_lo, exec_lo, s41
	s_cbranch_execnz .LBB6_3644
.LBB6_3480:                             ;   in Loop: Header=BB6_2951 Depth=2
	s_or_b32 exec_lo, exec_lo, s41
	s_and_saveexec_b32 s41, s14
.LBB6_3481:                             ;   in Loop: Header=BB6_2951 Depth=2
	v_mov_b32_e32 v2, v10
.LBB6_3482:                             ;   in Loop: Header=BB6_2951 Depth=2
	s_or_b32 exec_lo, exec_lo, s41
	v_max_f32_e32 v2, v2, v2
	v_max_f32_e32 v3, v12, v12
	v_min_f32_e32 v12, v3, v2
.LBB6_3483:                             ;   in Loop: Header=BB6_2951 Depth=2
	v_and_b32_e32 v2, 0x7f800000, v12
	v_mov_b32_e32 v49, 0x80
	s_mov_b32 s41, exec_lo
	v_cmpx_ne_u32_e32 0x7f800000, v2
	s_cbranch_execz .LBB6_3491
; %bb.3484:                             ;   in Loop: Header=BB6_2951 Depth=2
	v_mov_b32_e32 v49, 0
	s_mov_b32 s42, exec_lo
	v_cmpx_ne_u32_e32 0, v12
	s_cbranch_execz .LBB6_3490
; %bb.3485:                             ;   in Loop: Header=BB6_2951 Depth=2
	v_bfe_u32 v2, v12, 23, 8
	v_and_b32_e32 v3, 0x7fffff, v12
	v_sub_nc_u32_e32 v10, 0x70, v2
	v_cmp_gt_u32_e32 vcc_lo, 0x71, v2
	v_or_b32_e32 v11, 0x800000, v3
	v_cndmask_b32_e32 v10, 0, v10, vcc_lo
	v_cmp_eq_u32_e32 vcc_lo, 0, v2
	v_add_nc_u32_e32 v2, 0xffffff91, v2
	v_cndmask_b32_e64 v10, v10, 0x6f, vcc_lo
	v_cndmask_b32_e32 v3, v11, v3, vcc_lo
	v_cndmask_b32_e64 v2, v2, 0xffffff92, vcc_lo
	v_lshl_add_u32 v30, 0x200000, v10, -1
	v_lshrrev_b32_e32 v11, v10, v3
	v_lshlrev_b32_e64 v50, v10, 0x100000
	v_add_nc_u32_e32 v2, v10, v2
	v_and_b32_e32 v3, v30, v3
	v_bfe_u32 v49, v11, 21, 1
	v_cmp_eq_u32_e64 s14, v3, v50
	v_add_nc_u32_e32 v30, -1, v49
	v_cndmask_b32_e64 v3, 0, v30, s14
	v_lshrrev_b32_e32 v30, 23, v11
	s_mov_b32 s14, exec_lo
	v_add_nc_u32_e32 v3, v3, v11
	v_and_b32_e32 v10, 0x1fffff, v3
	v_xor_b32_e32 v3, 1, v30
	v_add_nc_u32_e32 v11, v10, v11
                                        ; implicit-def: $vgpr10
	v_cmpx_ne_u32_e64 v2, v3
	s_xor_b32 s14, exec_lo, s14
; %bb.3486:                             ;   in Loop: Header=BB6_2951 Depth=2
	v_cmp_lt_u32_e32 vcc_lo, 0xffffff, v11
	v_sub_nc_u32_e32 v2, v2, v3
	v_cndmask_b32_e64 v3, 0, 1, vcc_lo
	v_add_co_ci_u32_e64 v10, null, 0, v2, vcc_lo
	v_lshrrev_b32_e32 v11, v3, v11
; %bb.3487:                             ;   in Loop: Header=BB6_2951 Depth=2
	s_andn2_saveexec_b32 s14, s14
; %bb.3488:                             ;   in Loop: Header=BB6_2951 Depth=2
	v_bfe_u32 v10, v11, 23, 1
; %bb.3489:                             ;   in Loop: Header=BB6_2951 Depth=2
	s_or_b32 exec_lo, exec_lo, s14
	v_lshrrev_b32_e32 v2, 21, v11
	v_min_i32_e32 v3, 31, v10
	v_cmp_gt_i32_e32 vcc_lo, 32, v10
	v_and_b32_sdwa v11, v12, v58 dst_sel:DWORD dst_unused:UNUSED_PAD src0_sel:BYTE_3 src1_sel:DWORD
	v_lshlrev_b32_e32 v3, 2, v3
	v_cndmask_b32_e32 v2, 3, v2, vcc_lo
	v_and_b32_e32 v3, 0xfc, v3
	v_and_b32_e32 v12, 3, v2
	v_or_b32_e32 v2, v10, v2
	v_or3_b32 v3, v3, v11, v12
	v_cmp_ne_u32_e32 vcc_lo, 0, v2
	v_cndmask_b32_e32 v49, 0, v3, vcc_lo
.LBB6_3490:                             ;   in Loop: Header=BB6_2951 Depth=2
	s_or_b32 exec_lo, exec_lo, s42
.LBB6_3491:                             ;   in Loop: Header=BB6_2951 Depth=2
	s_or_b32 exec_lo, exec_lo, s41
	v_bfe_u32 v2, v13, 24, 2
	v_bfe_u32 v11, v13, 26, 5
	v_cmp_gt_i16_sdwa s41, v17, v57 src0_sel:BYTE_3 src1_sel:DWORD
	s_mov_b32 s14, -1
	v_ffbh_u32_e32 v3, v2
	v_cmp_eq_u32_e32 vcc_lo, 0, v11
	v_min_u32_e32 v3, 32, v3
	v_subrev_nc_u32_e32 v10, 29, v3
	v_sub_nc_u32_e32 v3, 30, v3
	v_lshlrev_b32_sdwa v10, v10, v13 dst_sel:DWORD dst_unused:UNUSED_PAD src0_sel:DWORD src1_sel:BYTE_3
	v_cndmask_b32_e32 v3, v11, v3, vcc_lo
	v_and_b32_e32 v10, 3, v10
	v_lshl_add_u32 v3, v3, 23, 0x37800000
	v_cndmask_b32_e32 v2, v2, v10, vcc_lo
	v_and_b32_e32 v10, 0x80000000, v13
	s_and_b32 vcc_lo, exec_lo, s40
	v_lshlrev_b32_e32 v2, 21, v2
	v_or3_b32 v50, v10, v3, v2
                                        ; implicit-def: $vgpr10
	s_cbranch_vccz .LBB6_3505
; %bb.3492:                             ;   in Loop: Header=BB6_2951 Depth=2
	s_mov_b32 s14, 0
	s_and_saveexec_b32 s42, s41
	s_xor_b32 s41, exec_lo, s42
	s_cbranch_execz .LBB6_3645
; %bb.3493:                             ;   in Loop: Header=BB6_2951 Depth=2
	v_cmp_eq_u16_sdwa s43, v17, v58 src0_sel:BYTE_3 src1_sel:DWORD
	s_mov_b32 s14, -1
	s_and_saveexec_b32 s42, s43
; %bb.3494:                             ;   in Loop: Header=BB6_2951 Depth=2
	s_xor_b32 s14, exec_lo, -1
; %bb.3495:                             ;   in Loop: Header=BB6_2951 Depth=2
	s_or_b32 exec_lo, exec_lo, s42
	s_and_b32 s14, s14, exec_lo
	s_or_saveexec_b32 s41, s41
	v_mov_b32_e32 v10, 0x7f800001
	s_xor_b32 exec_lo, exec_lo, s41
	s_cbranch_execnz .LBB6_3646
.LBB6_3496:                             ;   in Loop: Header=BB6_2951 Depth=2
	s_or_b32 exec_lo, exec_lo, s41
	s_and_saveexec_b32 s41, s14
	s_cbranch_execz .LBB6_3498
.LBB6_3497:                             ;   in Loop: Header=BB6_2951 Depth=2
	v_bfe_u32 v2, v17, 24, 2
	v_bfe_u32 v11, v17, 26, 5
	v_ffbh_u32_e32 v3, v2
	v_cmp_eq_u32_e32 vcc_lo, 0, v11
	v_min_u32_e32 v3, 32, v3
	v_subrev_nc_u32_e32 v10, 29, v3
	v_sub_nc_u32_e32 v3, 30, v3
	v_lshlrev_b32_sdwa v10, v10, v17 dst_sel:DWORD dst_unused:UNUSED_PAD src0_sel:DWORD src1_sel:BYTE_3
	v_cndmask_b32_e32 v3, v11, v3, vcc_lo
	v_and_b32_e32 v10, 3, v10
	v_lshl_add_u32 v3, v3, 23, 0x37800000
	v_cndmask_b32_e32 v2, v2, v10, vcc_lo
	v_and_b32_e32 v10, 0x80000000, v17
	v_lshlrev_b32_e32 v2, 21, v2
	v_or3_b32 v10, v10, v3, v2
.LBB6_3498:                             ;   in Loop: Header=BB6_2951 Depth=2
	s_or_b32 exec_lo, exec_lo, s41
	v_cmp_gt_i16_sdwa s41, v13, v57 src0_sel:BYTE_3 src1_sel:DWORD
	s_mov_b32 s14, 0
	s_and_saveexec_b32 s42, s41
	s_xor_b32 s41, exec_lo, s42
	s_cbranch_execz .LBB6_3647
; %bb.3499:                             ;   in Loop: Header=BB6_2951 Depth=2
	v_cmp_eq_u16_sdwa s43, v13, v58 src0_sel:BYTE_3 src1_sel:DWORD
	s_mov_b32 s14, -1
	s_and_saveexec_b32 s42, s43
; %bb.3500:                             ;   in Loop: Header=BB6_2951 Depth=2
	s_xor_b32 s14, exec_lo, -1
; %bb.3501:                             ;   in Loop: Header=BB6_2951 Depth=2
	s_or_b32 exec_lo, exec_lo, s42
	s_and_b32 s14, s14, exec_lo
	s_or_saveexec_b32 s41, s41
	v_mov_b32_e32 v2, 0x7f800001
	s_xor_b32 exec_lo, exec_lo, s41
	s_cbranch_execnz .LBB6_3648
.LBB6_3502:                             ;   in Loop: Header=BB6_2951 Depth=2
	s_or_b32 exec_lo, exec_lo, s41
	s_and_saveexec_b32 s41, s14
.LBB6_3503:                             ;   in Loop: Header=BB6_2951 Depth=2
	v_mov_b32_e32 v2, v50
.LBB6_3504:                             ;   in Loop: Header=BB6_2951 Depth=2
	s_or_b32 exec_lo, exec_lo, s41
	v_max_f32_e32 v2, v2, v2
	v_max_f32_e32 v3, v10, v10
	s_mov_b32 s14, 0
	v_max_f32_e32 v10, v3, v2
.LBB6_3505:                             ;   in Loop: Header=BB6_2951 Depth=2
	s_and_b32 vcc_lo, exec_lo, s14
	s_cbranch_vccz .LBB6_3519
; %bb.3506:                             ;   in Loop: Header=BB6_2951 Depth=2
	v_cmp_gt_i16_sdwa s41, v17, v57 src0_sel:BYTE_3 src1_sel:DWORD
	s_mov_b32 s14, 0
	s_and_saveexec_b32 s42, s41
	s_xor_b32 s41, exec_lo, s42
	s_cbranch_execz .LBB6_3649
; %bb.3507:                             ;   in Loop: Header=BB6_2951 Depth=2
	v_cmp_eq_u16_sdwa s43, v17, v58 src0_sel:BYTE_3 src1_sel:DWORD
	s_mov_b32 s14, -1
	s_and_saveexec_b32 s42, s43
; %bb.3508:                             ;   in Loop: Header=BB6_2951 Depth=2
	s_xor_b32 s14, exec_lo, -1
; %bb.3509:                             ;   in Loop: Header=BB6_2951 Depth=2
	s_or_b32 exec_lo, exec_lo, s42
	s_and_b32 s14, s14, exec_lo
	s_or_saveexec_b32 s41, s41
	v_mov_b32_e32 v51, 0x7f800001
	s_xor_b32 exec_lo, exec_lo, s41
	s_cbranch_execnz .LBB6_3650
.LBB6_3510:                             ;   in Loop: Header=BB6_2951 Depth=2
	s_or_b32 exec_lo, exec_lo, s41
	s_and_saveexec_b32 s41, s14
	s_cbranch_execz .LBB6_3512
.LBB6_3511:                             ;   in Loop: Header=BB6_2951 Depth=2
	v_bfe_u32 v2, v17, 24, 2
	v_bfe_u32 v11, v17, 26, 5
	v_ffbh_u32_e32 v3, v2
	v_cmp_eq_u32_e32 vcc_lo, 0, v11
	v_min_u32_e32 v3, 32, v3
	v_subrev_nc_u32_e32 v10, 29, v3
	v_sub_nc_u32_e32 v3, 30, v3
	v_lshlrev_b32_sdwa v10, v10, v17 dst_sel:DWORD dst_unused:UNUSED_PAD src0_sel:DWORD src1_sel:BYTE_3
	v_cndmask_b32_e32 v3, v11, v3, vcc_lo
	v_and_b32_e32 v10, 3, v10
	v_lshl_add_u32 v3, v3, 23, 0x37800000
	v_cndmask_b32_e32 v2, v2, v10, vcc_lo
	v_and_b32_e32 v10, 0x80000000, v17
	v_lshlrev_b32_e32 v2, 21, v2
	v_or3_b32 v51, v10, v3, v2
.LBB6_3512:                             ;   in Loop: Header=BB6_2951 Depth=2
	s_or_b32 exec_lo, exec_lo, s41
	v_cmp_gt_i16_sdwa s41, v13, v57 src0_sel:BYTE_3 src1_sel:DWORD
	s_mov_b32 s14, 0
	s_and_saveexec_b32 s42, s41
	s_xor_b32 s41, exec_lo, s42
	s_cbranch_execz .LBB6_3651
; %bb.3513:                             ;   in Loop: Header=BB6_2951 Depth=2
	v_cmp_eq_u16_sdwa s43, v13, v58 src0_sel:BYTE_3 src1_sel:DWORD
	s_mov_b32 s14, -1
	s_and_saveexec_b32 s42, s43
; %bb.3514:                             ;   in Loop: Header=BB6_2951 Depth=2
	s_xor_b32 s14, exec_lo, -1
; %bb.3515:                             ;   in Loop: Header=BB6_2951 Depth=2
	s_or_b32 exec_lo, exec_lo, s42
	s_and_b32 s14, s14, exec_lo
                                        ; implicit-def: $vgpr10_vgpr11_vgpr12_vgpr13
	s_or_saveexec_b32 s41, s41
	v_mov_b32_e32 v2, 0x7f800001
	s_xor_b32 exec_lo, exec_lo, s41
	s_cbranch_execnz .LBB6_3652
.LBB6_3516:                             ;   in Loop: Header=BB6_2951 Depth=2
	s_or_b32 exec_lo, exec_lo, s41
	s_and_saveexec_b32 s41, s14
.LBB6_3517:                             ;   in Loop: Header=BB6_2951 Depth=2
	v_mov_b32_e32 v2, v50
.LBB6_3518:                             ;   in Loop: Header=BB6_2951 Depth=2
	s_or_b32 exec_lo, exec_lo, s41
	v_max_f32_e32 v2, v2, v2
	v_max_f32_e32 v3, v51, v51
	v_min_f32_e32 v10, v3, v2
.LBB6_3519:                             ;   in Loop: Header=BB6_2951 Depth=2
	v_and_b32_e32 v2, 0x7f800000, v10
	v_cmp_ne_u32_e32 vcc_lo, 0x7f800000, v2
	v_mov_b32_e32 v2, 0x8000
	s_and_saveexec_b32 s41, vcc_lo
	s_cbranch_execz .LBB6_2950
; %bb.3520:                             ;   in Loop: Header=BB6_2951 Depth=2
	v_mov_b32_e32 v2, 0
	s_mov_b32 s42, exec_lo
	v_cmpx_ne_u32_e32 0, v10
	s_cbranch_execz .LBB6_2949
; %bb.3521:                             ;   in Loop: Header=BB6_2951 Depth=2
	v_bfe_u32 v2, v10, 23, 8
	v_and_b32_e32 v3, 0x7fffff, v10
	v_sub_nc_u32_e32 v11, 0x70, v2
	v_cmp_gt_u32_e32 vcc_lo, 0x71, v2
	v_or_b32_e32 v12, 0x800000, v3
	v_cndmask_b32_e32 v11, 0, v11, vcc_lo
	v_cmp_eq_u32_e32 vcc_lo, 0, v2
	v_add_nc_u32_e32 v2, 0xffffff91, v2
	v_cndmask_b32_e64 v11, v11, 0x6f, vcc_lo
	v_cndmask_b32_e32 v3, v12, v3, vcc_lo
	v_cndmask_b32_e64 v2, v2, 0xffffff92, vcc_lo
	v_lshl_add_u32 v13, 0x200000, v11, -1
	v_lshrrev_b32_e32 v12, v11, v3
	v_lshlrev_b32_e64 v30, v11, 0x100000
	v_add_nc_u32_e32 v2, v11, v2
	v_and_b32_e32 v3, v13, v3
	v_bfe_u32 v17, v12, 21, 1
	v_cmp_eq_u32_e64 s14, v3, v30
	v_add_nc_u32_e32 v13, -1, v17
	v_cndmask_b32_e64 v3, 0, v13, s14
	v_lshrrev_b32_e32 v13, 23, v12
	s_mov_b32 s14, exec_lo
	v_add_nc_u32_e32 v3, v3, v12
	v_and_b32_e32 v11, 0x1fffff, v3
	v_xor_b32_e32 v3, 1, v13
	v_add_nc_u32_e32 v12, v11, v12
                                        ; implicit-def: $vgpr11
	v_cmpx_ne_u32_e64 v2, v3
	s_xor_b32 s14, exec_lo, s14
; %bb.3522:                             ;   in Loop: Header=BB6_2951 Depth=2
	v_cmp_lt_u32_e32 vcc_lo, 0xffffff, v12
	v_sub_nc_u32_e32 v2, v2, v3
	v_cndmask_b32_e64 v3, 0, 1, vcc_lo
	v_add_co_ci_u32_e64 v11, null, 0, v2, vcc_lo
	v_lshrrev_b32_e32 v12, v3, v12
; %bb.3523:                             ;   in Loop: Header=BB6_2951 Depth=2
	s_andn2_saveexec_b32 s14, s14
	s_cbranch_execz .LBB6_2948
; %bb.3524:                             ;   in Loop: Header=BB6_2951 Depth=2
	v_bfe_u32 v11, v12, 23, 1
	s_branch .LBB6_2948
.LBB6_3525:                             ;   in Loop: Header=BB6_2951 Depth=2
	s_or_saveexec_b32 s41, s41
	v_mov_b32_e32 v29, 0x7f800001
	s_xor_b32 exec_lo, exec_lo, s41
	s_cbranch_execz .LBB6_2956
.LBB6_3526:                             ;   in Loop: Header=BB6_2951 Depth=2
	v_cmp_ne_u16_sdwa s42, v14, v84 src0_sel:BYTE_0 src1_sel:DWORD
	v_mov_b32_e32 v29, 0
	s_andn2_b32 s14, s14, exec_lo
	s_and_b32 s42, s42, exec_lo
	s_or_b32 s14, s14, s42
	s_or_b32 exec_lo, exec_lo, s41
	s_and_saveexec_b32 s41, s14
	s_cbranch_execnz .LBB6_2957
	s_branch .LBB6_2958
.LBB6_3527:                             ;   in Loop: Header=BB6_2951 Depth=2
	s_or_saveexec_b32 s41, s41
	v_mov_b32_e32 v2, 0x7f800001
	s_xor_b32 exec_lo, exec_lo, s41
	s_cbranch_execz .LBB6_2962
.LBB6_3528:                             ;   in Loop: Header=BB6_2951 Depth=2
	v_cmp_ne_u16_sdwa s42, v10, v84 src0_sel:BYTE_0 src1_sel:DWORD
	v_mov_b32_e32 v2, 0
	s_andn2_b32 s14, s14, exec_lo
	s_and_b32 s42, s42, exec_lo
	s_or_b32 s14, s14, s42
	s_or_b32 exec_lo, exec_lo, s41
	s_and_saveexec_b32 s41, s14
	s_cbranch_execnz .LBB6_2963
	s_branch .LBB6_2964
.LBB6_3529:                             ;   in Loop: Header=BB6_2951 Depth=2
	s_or_saveexec_b32 s41, s41
	v_mov_b32_e32 v29, 0x7f800001
	s_xor_b32 exec_lo, exec_lo, s41
	s_cbranch_execz .LBB6_2970
.LBB6_3530:                             ;   in Loop: Header=BB6_2951 Depth=2
	v_cmp_ne_u16_sdwa s42, v14, v84 src0_sel:BYTE_0 src1_sel:DWORD
	v_mov_b32_e32 v29, 0
	s_andn2_b32 s14, s14, exec_lo
	s_and_b32 s42, s42, exec_lo
	s_or_b32 s14, s14, s42
	s_or_b32 exec_lo, exec_lo, s41
	s_and_saveexec_b32 s41, s14
	s_cbranch_execnz .LBB6_2971
	s_branch .LBB6_2972
.LBB6_3531:                             ;   in Loop: Header=BB6_2951 Depth=2
	s_or_saveexec_b32 s41, s41
	v_mov_b32_e32 v2, 0x7f800001
	s_xor_b32 exec_lo, exec_lo, s41
	s_cbranch_execz .LBB6_2976
.LBB6_3532:                             ;   in Loop: Header=BB6_2951 Depth=2
	v_cmp_ne_u16_sdwa s42, v10, v84 src0_sel:BYTE_0 src1_sel:DWORD
	v_mov_b32_e32 v2, 0
	s_andn2_b32 s14, s14, exec_lo
	s_and_b32 s42, s42, exec_lo
	s_or_b32 s14, s14, s42
	s_or_b32 exec_lo, exec_lo, s41
	s_and_saveexec_b32 s41, s14
	s_cbranch_execnz .LBB6_2977
	s_branch .LBB6_2978
.LBB6_3533:                             ;   in Loop: Header=BB6_2951 Depth=2
	s_or_saveexec_b32 s41, s41
	v_mov_b32_e32 v32, 0x7f800001
	s_xor_b32 exec_lo, exec_lo, s41
	s_cbranch_execz .LBB6_2992
.LBB6_3534:                             ;   in Loop: Header=BB6_2951 Depth=2
	v_cmp_ne_u16_sdwa s42, v14, v84 src0_sel:BYTE_1 src1_sel:DWORD
	v_mov_b32_e32 v32, 0
	s_andn2_b32 s14, s14, exec_lo
	s_and_b32 s42, s42, exec_lo
	s_or_b32 s14, s14, s42
	s_or_b32 exec_lo, exec_lo, s41
	s_and_saveexec_b32 s41, s14
	s_cbranch_execnz .LBB6_2993
	s_branch .LBB6_2994
.LBB6_3535:                             ;   in Loop: Header=BB6_2951 Depth=2
	s_or_saveexec_b32 s41, s41
	v_mov_b32_e32 v2, 0x7f800001
	s_xor_b32 exec_lo, exec_lo, s41
	s_cbranch_execz .LBB6_2998
.LBB6_3536:                             ;   in Loop: Header=BB6_2951 Depth=2
	v_cmp_ne_u16_sdwa s42, v10, v84 src0_sel:BYTE_1 src1_sel:DWORD
	v_mov_b32_e32 v2, 0
	s_andn2_b32 s14, s14, exec_lo
	s_and_b32 s42, s42, exec_lo
	s_or_b32 s14, s14, s42
	s_or_b32 exec_lo, exec_lo, s41
	s_and_saveexec_b32 s41, s14
	s_cbranch_execnz .LBB6_2999
	s_branch .LBB6_3000
.LBB6_3537:                             ;   in Loop: Header=BB6_2951 Depth=2
	s_or_saveexec_b32 s41, s41
	v_mov_b32_e32 v32, 0x7f800001
	s_xor_b32 exec_lo, exec_lo, s41
	s_cbranch_execz .LBB6_3006
.LBB6_3538:                             ;   in Loop: Header=BB6_2951 Depth=2
	v_cmp_ne_u16_sdwa s42, v14, v84 src0_sel:BYTE_1 src1_sel:DWORD
	v_mov_b32_e32 v32, 0
	s_andn2_b32 s14, s14, exec_lo
	s_and_b32 s42, s42, exec_lo
	s_or_b32 s14, s14, s42
	s_or_b32 exec_lo, exec_lo, s41
	s_and_saveexec_b32 s41, s14
	s_cbranch_execnz .LBB6_3007
	s_branch .LBB6_3008
.LBB6_3539:                             ;   in Loop: Header=BB6_2951 Depth=2
	s_or_saveexec_b32 s41, s41
	v_mov_b32_e32 v2, 0x7f800001
	s_xor_b32 exec_lo, exec_lo, s41
	s_cbranch_execz .LBB6_3012
.LBB6_3540:                             ;   in Loop: Header=BB6_2951 Depth=2
	v_cmp_ne_u16_sdwa s42, v10, v84 src0_sel:BYTE_1 src1_sel:DWORD
	v_mov_b32_e32 v2, 0
	s_andn2_b32 s14, s14, exec_lo
	s_and_b32 s42, s42, exec_lo
	s_or_b32 s14, s14, s42
	s_or_b32 exec_lo, exec_lo, s41
	s_and_saveexec_b32 s41, s14
	s_cbranch_execnz .LBB6_3013
	s_branch .LBB6_3014
.LBB6_3541:                             ;   in Loop: Header=BB6_2951 Depth=2
	s_or_saveexec_b32 s14, s14
	v_mov_b32_e32 v34, 0x7f800001
	s_xor_b32 exec_lo, exec_lo, s14
	s_cbranch_execz .LBB6_3028
.LBB6_3542:                             ;   in Loop: Header=BB6_2951 Depth=2
	v_cmp_ne_u16_e32 vcc_lo, 0, v33
	v_mov_b32_e32 v34, 0
	s_andn2_b32 s41, s41, exec_lo
	s_and_b32 s42, vcc_lo, exec_lo
	s_or_b32 s41, s41, s42
	s_or_b32 exec_lo, exec_lo, s14
	s_and_saveexec_b32 s14, s41
	s_cbranch_execnz .LBB6_3029
	s_branch .LBB6_3030
.LBB6_3543:                             ;   in Loop: Header=BB6_2951 Depth=2
	s_or_saveexec_b32 s41, s41
	v_mov_b32_e32 v2, 0x7f800001
	s_xor_b32 exec_lo, exec_lo, s41
	s_cbranch_execz .LBB6_3034
.LBB6_3544:                             ;   in Loop: Header=BB6_2951 Depth=2
	v_cmp_ne_u16_e32 vcc_lo, 0, v3
	v_mov_b32_e32 v2, 0
	s_andn2_b32 s14, s14, exec_lo
	s_and_b32 s42, vcc_lo, exec_lo
	s_or_b32 s14, s14, s42
	s_or_b32 exec_lo, exec_lo, s41
	s_and_saveexec_b32 s41, s14
	s_cbranch_execnz .LBB6_3035
	s_branch .LBB6_3036
.LBB6_3545:                             ;   in Loop: Header=BB6_2951 Depth=2
	s_or_saveexec_b32 s41, s41
	v_mov_b32_e32 v34, 0x7f800001
	s_xor_b32 exec_lo, exec_lo, s41
	s_cbranch_execz .LBB6_3042
.LBB6_3546:                             ;   in Loop: Header=BB6_2951 Depth=2
	v_cmp_ne_u16_e32 vcc_lo, 0, v33
	v_mov_b32_e32 v34, 0
	s_andn2_b32 s14, s14, exec_lo
	s_and_b32 s42, vcc_lo, exec_lo
	s_or_b32 s14, s14, s42
	s_or_b32 exec_lo, exec_lo, s41
	s_and_saveexec_b32 s41, s14
	s_cbranch_execnz .LBB6_3043
	s_branch .LBB6_3044
.LBB6_3547:                             ;   in Loop: Header=BB6_2951 Depth=2
	s_or_saveexec_b32 s41, s41
	v_mov_b32_e32 v2, 0x7f800001
	s_xor_b32 exec_lo, exec_lo, s41
	s_cbranch_execz .LBB6_3048
.LBB6_3548:                             ;   in Loop: Header=BB6_2951 Depth=2
	v_cmp_ne_u16_e32 vcc_lo, 0, v3
	v_mov_b32_e32 v2, 0
	s_andn2_b32 s14, s14, exec_lo
	s_and_b32 s42, vcc_lo, exec_lo
	s_or_b32 s14, s14, s42
	s_or_b32 exec_lo, exec_lo, s41
	s_and_saveexec_b32 s41, s14
	s_cbranch_execnz .LBB6_3049
	s_branch .LBB6_3050
.LBB6_3549:                             ;   in Loop: Header=BB6_2951 Depth=2
	s_or_saveexec_b32 s41, s41
	v_mov_b32_e32 v34, 0x7f800001
	s_xor_b32 exec_lo, exec_lo, s41
	s_cbranch_execz .LBB6_3064
.LBB6_3550:                             ;   in Loop: Header=BB6_2951 Depth=2
	v_cmp_ne_u16_sdwa s42, v14, v84 src0_sel:BYTE_3 src1_sel:DWORD
	v_mov_b32_e32 v34, 0
	s_andn2_b32 s14, s14, exec_lo
	s_and_b32 s42, s42, exec_lo
	s_or_b32 s14, s14, s42
	s_or_b32 exec_lo, exec_lo, s41
	s_and_saveexec_b32 s41, s14
	s_cbranch_execnz .LBB6_3065
	s_branch .LBB6_3066
.LBB6_3551:                             ;   in Loop: Header=BB6_2951 Depth=2
	s_or_saveexec_b32 s41, s41
	v_mov_b32_e32 v2, 0x7f800001
	s_xor_b32 exec_lo, exec_lo, s41
	s_cbranch_execz .LBB6_3070
.LBB6_3552:                             ;   in Loop: Header=BB6_2951 Depth=2
	v_cmp_ne_u16_sdwa s42, v10, v84 src0_sel:BYTE_3 src1_sel:DWORD
	v_mov_b32_e32 v2, 0
	s_andn2_b32 s14, s14, exec_lo
	s_and_b32 s42, s42, exec_lo
	s_or_b32 s14, s14, s42
	s_or_b32 exec_lo, exec_lo, s41
	s_and_saveexec_b32 s41, s14
	s_cbranch_execnz .LBB6_3071
	s_branch .LBB6_3072
.LBB6_3553:                             ;   in Loop: Header=BB6_2951 Depth=2
	s_or_saveexec_b32 s41, s41
	v_mov_b32_e32 v34, 0x7f800001
	s_xor_b32 exec_lo, exec_lo, s41
	s_cbranch_execz .LBB6_3078
.LBB6_3554:                             ;   in Loop: Header=BB6_2951 Depth=2
	v_cmp_ne_u16_sdwa s42, v14, v84 src0_sel:BYTE_3 src1_sel:DWORD
	v_mov_b32_e32 v34, 0
	s_andn2_b32 s14, s14, exec_lo
	s_and_b32 s42, s42, exec_lo
	s_or_b32 s14, s14, s42
	s_or_b32 exec_lo, exec_lo, s41
	s_and_saveexec_b32 s41, s14
	s_cbranch_execnz .LBB6_3079
	s_branch .LBB6_3080
.LBB6_3555:                             ;   in Loop: Header=BB6_2951 Depth=2
	s_or_saveexec_b32 s41, s41
	v_mov_b32_e32 v2, 0x7f800001
	s_xor_b32 exec_lo, exec_lo, s41
	s_cbranch_execz .LBB6_3084
.LBB6_3556:                             ;   in Loop: Header=BB6_2951 Depth=2
	v_cmp_ne_u16_sdwa s42, v10, v84 src0_sel:BYTE_3 src1_sel:DWORD
	v_mov_b32_e32 v2, 0
	s_andn2_b32 s14, s14, exec_lo
	s_and_b32 s42, s42, exec_lo
	s_or_b32 s14, s14, s42
	s_or_b32 exec_lo, exec_lo, s41
	s_and_saveexec_b32 s41, s14
	s_cbranch_execnz .LBB6_3085
	s_branch .LBB6_3086
.LBB6_3557:                             ;   in Loop: Header=BB6_2951 Depth=2
	s_or_saveexec_b32 s41, s41
	v_mov_b32_e32 v33, 0x7f800001
	s_xor_b32 exec_lo, exec_lo, s41
	s_cbranch_execz .LBB6_3100
.LBB6_3558:                             ;   in Loop: Header=BB6_2951 Depth=2
	v_cmp_ne_u16_sdwa s42, v15, v84 src0_sel:BYTE_0 src1_sel:DWORD
	v_mov_b32_e32 v33, 0
	s_andn2_b32 s14, s14, exec_lo
	s_and_b32 s42, s42, exec_lo
	s_or_b32 s14, s14, s42
	s_or_b32 exec_lo, exec_lo, s41
	s_and_saveexec_b32 s41, s14
	s_cbranch_execnz .LBB6_3101
	s_branch .LBB6_3102
.LBB6_3559:                             ;   in Loop: Header=BB6_2951 Depth=2
	s_or_saveexec_b32 s41, s41
	v_mov_b32_e32 v2, 0x7f800001
	s_xor_b32 exec_lo, exec_lo, s41
	s_cbranch_execz .LBB6_3106
.LBB6_3560:                             ;   in Loop: Header=BB6_2951 Depth=2
	v_cmp_ne_u16_sdwa s42, v11, v84 src0_sel:BYTE_0 src1_sel:DWORD
	v_mov_b32_e32 v2, 0
	s_andn2_b32 s14, s14, exec_lo
	s_and_b32 s42, s42, exec_lo
	s_or_b32 s14, s14, s42
	s_or_b32 exec_lo, exec_lo, s41
	s_and_saveexec_b32 s41, s14
	s_cbranch_execnz .LBB6_3107
	s_branch .LBB6_3108
.LBB6_3561:                             ;   in Loop: Header=BB6_2951 Depth=2
	s_or_saveexec_b32 s41, s41
	v_mov_b32_e32 v33, 0x7f800001
	s_xor_b32 exec_lo, exec_lo, s41
	s_cbranch_execz .LBB6_3114
.LBB6_3562:                             ;   in Loop: Header=BB6_2951 Depth=2
	v_cmp_ne_u16_sdwa s42, v15, v84 src0_sel:BYTE_0 src1_sel:DWORD
	v_mov_b32_e32 v33, 0
	s_andn2_b32 s14, s14, exec_lo
	s_and_b32 s42, s42, exec_lo
	s_or_b32 s14, s14, s42
	s_or_b32 exec_lo, exec_lo, s41
	s_and_saveexec_b32 s41, s14
	s_cbranch_execnz .LBB6_3115
	s_branch .LBB6_3116
.LBB6_3563:                             ;   in Loop: Header=BB6_2951 Depth=2
	s_or_saveexec_b32 s41, s41
	v_mov_b32_e32 v2, 0x7f800001
	s_xor_b32 exec_lo, exec_lo, s41
	s_cbranch_execz .LBB6_3120
.LBB6_3564:                             ;   in Loop: Header=BB6_2951 Depth=2
	v_cmp_ne_u16_sdwa s42, v11, v84 src0_sel:BYTE_0 src1_sel:DWORD
	v_mov_b32_e32 v2, 0
	s_andn2_b32 s14, s14, exec_lo
	s_and_b32 s42, s42, exec_lo
	s_or_b32 s14, s14, s42
	s_or_b32 exec_lo, exec_lo, s41
	s_and_saveexec_b32 s41, s14
	s_cbranch_execnz .LBB6_3121
	s_branch .LBB6_3122
.LBB6_3565:                             ;   in Loop: Header=BB6_2951 Depth=2
	s_or_saveexec_b32 s41, s41
	v_mov_b32_e32 v34, 0x7f800001
	s_xor_b32 exec_lo, exec_lo, s41
	s_cbranch_execz .LBB6_3136
.LBB6_3566:                             ;   in Loop: Header=BB6_2951 Depth=2
	v_cmp_ne_u16_sdwa s42, v15, v84 src0_sel:BYTE_1 src1_sel:DWORD
	v_mov_b32_e32 v34, 0
	s_andn2_b32 s14, s14, exec_lo
	s_and_b32 s42, s42, exec_lo
	s_or_b32 s14, s14, s42
	s_or_b32 exec_lo, exec_lo, s41
	s_and_saveexec_b32 s41, s14
	s_cbranch_execnz .LBB6_3137
	s_branch .LBB6_3138
.LBB6_3567:                             ;   in Loop: Header=BB6_2951 Depth=2
	s_or_saveexec_b32 s41, s41
	v_mov_b32_e32 v2, 0x7f800001
	s_xor_b32 exec_lo, exec_lo, s41
	s_cbranch_execz .LBB6_3142
.LBB6_3568:                             ;   in Loop: Header=BB6_2951 Depth=2
	v_cmp_ne_u16_sdwa s42, v11, v84 src0_sel:BYTE_1 src1_sel:DWORD
	v_mov_b32_e32 v2, 0
	s_andn2_b32 s14, s14, exec_lo
	s_and_b32 s42, s42, exec_lo
	s_or_b32 s14, s14, s42
	s_or_b32 exec_lo, exec_lo, s41
	s_and_saveexec_b32 s41, s14
	s_cbranch_execnz .LBB6_3143
	s_branch .LBB6_3144
.LBB6_3569:                             ;   in Loop: Header=BB6_2951 Depth=2
	s_or_saveexec_b32 s41, s41
	v_mov_b32_e32 v34, 0x7f800001
	s_xor_b32 exec_lo, exec_lo, s41
	s_cbranch_execz .LBB6_3150
.LBB6_3570:                             ;   in Loop: Header=BB6_2951 Depth=2
	v_cmp_ne_u16_sdwa s42, v15, v84 src0_sel:BYTE_1 src1_sel:DWORD
	v_mov_b32_e32 v34, 0
	s_andn2_b32 s14, s14, exec_lo
	s_and_b32 s42, s42, exec_lo
	s_or_b32 s14, s14, s42
	s_or_b32 exec_lo, exec_lo, s41
	s_and_saveexec_b32 s41, s14
	s_cbranch_execnz .LBB6_3151
	s_branch .LBB6_3152
.LBB6_3571:                             ;   in Loop: Header=BB6_2951 Depth=2
	s_or_saveexec_b32 s41, s41
	v_mov_b32_e32 v2, 0x7f800001
	s_xor_b32 exec_lo, exec_lo, s41
	s_cbranch_execz .LBB6_3156
.LBB6_3572:                             ;   in Loop: Header=BB6_2951 Depth=2
	v_cmp_ne_u16_sdwa s42, v11, v84 src0_sel:BYTE_1 src1_sel:DWORD
	v_mov_b32_e32 v2, 0
	s_andn2_b32 s14, s14, exec_lo
	s_and_b32 s42, s42, exec_lo
	s_or_b32 s14, s14, s42
	s_or_b32 exec_lo, exec_lo, s41
	s_and_saveexec_b32 s41, s14
	s_cbranch_execnz .LBB6_3157
	s_branch .LBB6_3158
.LBB6_3573:                             ;   in Loop: Header=BB6_2951 Depth=2
	s_or_saveexec_b32 s14, s14
	v_mov_b32_e32 v36, 0x7f800001
	s_xor_b32 exec_lo, exec_lo, s14
	s_cbranch_execz .LBB6_3172
.LBB6_3574:                             ;   in Loop: Header=BB6_2951 Depth=2
	v_cmp_ne_u16_e32 vcc_lo, 0, v35
	v_mov_b32_e32 v36, 0
	s_andn2_b32 s41, s41, exec_lo
	s_and_b32 s42, vcc_lo, exec_lo
	s_or_b32 s41, s41, s42
	s_or_b32 exec_lo, exec_lo, s14
	s_and_saveexec_b32 s14, s41
	s_cbranch_execnz .LBB6_3173
	s_branch .LBB6_3174
.LBB6_3575:                             ;   in Loop: Header=BB6_2951 Depth=2
	s_or_saveexec_b32 s41, s41
	v_mov_b32_e32 v2, 0x7f800001
	s_xor_b32 exec_lo, exec_lo, s41
	s_cbranch_execz .LBB6_3178
.LBB6_3576:                             ;   in Loop: Header=BB6_2951 Depth=2
	v_cmp_ne_u16_e32 vcc_lo, 0, v3
	v_mov_b32_e32 v2, 0
	s_andn2_b32 s14, s14, exec_lo
	s_and_b32 s42, vcc_lo, exec_lo
	s_or_b32 s14, s14, s42
	s_or_b32 exec_lo, exec_lo, s41
	s_and_saveexec_b32 s41, s14
	s_cbranch_execnz .LBB6_3179
	s_branch .LBB6_3180
.LBB6_3577:                             ;   in Loop: Header=BB6_2951 Depth=2
	s_or_saveexec_b32 s41, s41
	v_mov_b32_e32 v36, 0x7f800001
	s_xor_b32 exec_lo, exec_lo, s41
	s_cbranch_execz .LBB6_3186
.LBB6_3578:                             ;   in Loop: Header=BB6_2951 Depth=2
	v_cmp_ne_u16_e32 vcc_lo, 0, v35
	v_mov_b32_e32 v36, 0
	s_andn2_b32 s14, s14, exec_lo
	s_and_b32 s42, vcc_lo, exec_lo
	s_or_b32 s14, s14, s42
	s_or_b32 exec_lo, exec_lo, s41
	s_and_saveexec_b32 s41, s14
	s_cbranch_execnz .LBB6_3187
	s_branch .LBB6_3188
.LBB6_3579:                             ;   in Loop: Header=BB6_2951 Depth=2
	s_or_saveexec_b32 s41, s41
	v_mov_b32_e32 v2, 0x7f800001
	s_xor_b32 exec_lo, exec_lo, s41
	s_cbranch_execz .LBB6_3192
.LBB6_3580:                             ;   in Loop: Header=BB6_2951 Depth=2
	v_cmp_ne_u16_e32 vcc_lo, 0, v3
	v_mov_b32_e32 v2, 0
	s_andn2_b32 s14, s14, exec_lo
	s_and_b32 s42, vcc_lo, exec_lo
	s_or_b32 s14, s14, s42
	s_or_b32 exec_lo, exec_lo, s41
	s_and_saveexec_b32 s41, s14
	s_cbranch_execnz .LBB6_3193
	s_branch .LBB6_3194
.LBB6_3581:                             ;   in Loop: Header=BB6_2951 Depth=2
	s_or_saveexec_b32 s41, s41
	v_mov_b32_e32 v36, 0x7f800001
	s_xor_b32 exec_lo, exec_lo, s41
	s_cbranch_execz .LBB6_3208
.LBB6_3582:                             ;   in Loop: Header=BB6_2951 Depth=2
	v_cmp_ne_u16_sdwa s42, v15, v84 src0_sel:BYTE_3 src1_sel:DWORD
	v_mov_b32_e32 v36, 0
	s_andn2_b32 s14, s14, exec_lo
	s_and_b32 s42, s42, exec_lo
	s_or_b32 s14, s14, s42
	s_or_b32 exec_lo, exec_lo, s41
	s_and_saveexec_b32 s41, s14
	s_cbranch_execnz .LBB6_3209
	s_branch .LBB6_3210
.LBB6_3583:                             ;   in Loop: Header=BB6_2951 Depth=2
	s_or_saveexec_b32 s41, s41
	v_mov_b32_e32 v2, 0x7f800001
	s_xor_b32 exec_lo, exec_lo, s41
	s_cbranch_execz .LBB6_3214
.LBB6_3584:                             ;   in Loop: Header=BB6_2951 Depth=2
	v_cmp_ne_u16_sdwa s42, v11, v84 src0_sel:BYTE_3 src1_sel:DWORD
	v_mov_b32_e32 v2, 0
	s_andn2_b32 s14, s14, exec_lo
	s_and_b32 s42, s42, exec_lo
	s_or_b32 s14, s14, s42
	s_or_b32 exec_lo, exec_lo, s41
	s_and_saveexec_b32 s41, s14
	s_cbranch_execnz .LBB6_3215
	s_branch .LBB6_3216
.LBB6_3585:                             ;   in Loop: Header=BB6_2951 Depth=2
	s_or_saveexec_b32 s41, s41
	v_mov_b32_e32 v36, 0x7f800001
	s_xor_b32 exec_lo, exec_lo, s41
	s_cbranch_execz .LBB6_3222
.LBB6_3586:                             ;   in Loop: Header=BB6_2951 Depth=2
	v_cmp_ne_u16_sdwa s42, v15, v84 src0_sel:BYTE_3 src1_sel:DWORD
	v_mov_b32_e32 v36, 0
	s_andn2_b32 s14, s14, exec_lo
	s_and_b32 s42, s42, exec_lo
	s_or_b32 s14, s14, s42
	s_or_b32 exec_lo, exec_lo, s41
	s_and_saveexec_b32 s41, s14
	s_cbranch_execnz .LBB6_3223
	s_branch .LBB6_3224
.LBB6_3587:                             ;   in Loop: Header=BB6_2951 Depth=2
	s_or_saveexec_b32 s41, s41
	v_mov_b32_e32 v2, 0x7f800001
	s_xor_b32 exec_lo, exec_lo, s41
	s_cbranch_execz .LBB6_3228
.LBB6_3588:                             ;   in Loop: Header=BB6_2951 Depth=2
	v_cmp_ne_u16_sdwa s42, v11, v84 src0_sel:BYTE_3 src1_sel:DWORD
	v_mov_b32_e32 v2, 0
	s_andn2_b32 s14, s14, exec_lo
	s_and_b32 s42, s42, exec_lo
	s_or_b32 s14, s14, s42
	s_or_b32 exec_lo, exec_lo, s41
	s_and_saveexec_b32 s41, s14
	s_cbranch_execnz .LBB6_3229
	s_branch .LBB6_3230
.LBB6_3589:                             ;   in Loop: Header=BB6_2951 Depth=2
	s_or_saveexec_b32 s41, s41
	v_mov_b32_e32 v11, 0x7f800001
	s_xor_b32 exec_lo, exec_lo, s41
	s_cbranch_execz .LBB6_3244
.LBB6_3590:                             ;   in Loop: Header=BB6_2951 Depth=2
	v_cmp_ne_u16_sdwa s42, v16, v84 src0_sel:BYTE_0 src1_sel:DWORD
	v_mov_b32_e32 v11, 0
	s_andn2_b32 s14, s14, exec_lo
	s_and_b32 s42, s42, exec_lo
	s_or_b32 s14, s14, s42
	s_or_b32 exec_lo, exec_lo, s41
	s_and_saveexec_b32 s41, s14
	s_cbranch_execnz .LBB6_3245
	s_branch .LBB6_3246
.LBB6_3591:                             ;   in Loop: Header=BB6_2951 Depth=2
	s_or_saveexec_b32 s41, s41
	v_mov_b32_e32 v2, 0x7f800001
	s_xor_b32 exec_lo, exec_lo, s41
	s_cbranch_execz .LBB6_3250
.LBB6_3592:                             ;   in Loop: Header=BB6_2951 Depth=2
	v_cmp_ne_u16_sdwa s42, v12, v84 src0_sel:BYTE_0 src1_sel:DWORD
	v_mov_b32_e32 v2, 0
	s_andn2_b32 s14, s14, exec_lo
	s_and_b32 s42, s42, exec_lo
	s_or_b32 s14, s14, s42
	s_or_b32 exec_lo, exec_lo, s41
	s_and_saveexec_b32 s41, s14
	s_cbranch_execnz .LBB6_3251
	s_branch .LBB6_3252
.LBB6_3593:                             ;   in Loop: Header=BB6_2951 Depth=2
	s_or_saveexec_b32 s41, s41
	v_mov_b32_e32 v11, 0x7f800001
	s_xor_b32 exec_lo, exec_lo, s41
	s_cbranch_execz .LBB6_3258
.LBB6_3594:                             ;   in Loop: Header=BB6_2951 Depth=2
	v_cmp_ne_u16_sdwa s42, v16, v84 src0_sel:BYTE_0 src1_sel:DWORD
	v_mov_b32_e32 v11, 0
	s_andn2_b32 s14, s14, exec_lo
	s_and_b32 s42, s42, exec_lo
	s_or_b32 s14, s14, s42
	s_or_b32 exec_lo, exec_lo, s41
	s_and_saveexec_b32 s41, s14
	s_cbranch_execnz .LBB6_3259
	s_branch .LBB6_3260
.LBB6_3595:                             ;   in Loop: Header=BB6_2951 Depth=2
	s_or_saveexec_b32 s41, s41
	v_mov_b32_e32 v2, 0x7f800001
	s_xor_b32 exec_lo, exec_lo, s41
	s_cbranch_execz .LBB6_3264
.LBB6_3596:                             ;   in Loop: Header=BB6_2951 Depth=2
	v_cmp_ne_u16_sdwa s42, v12, v84 src0_sel:BYTE_0 src1_sel:DWORD
	v_mov_b32_e32 v2, 0
	s_andn2_b32 s14, s14, exec_lo
	s_and_b32 s42, s42, exec_lo
	s_or_b32 s14, s14, s42
	s_or_b32 exec_lo, exec_lo, s41
	s_and_saveexec_b32 s41, s14
	s_cbranch_execnz .LBB6_3265
	s_branch .LBB6_3266
.LBB6_3597:                             ;   in Loop: Header=BB6_2951 Depth=2
	s_or_saveexec_b32 s41, s41
	v_mov_b32_e32 v11, 0x7f800001
	s_xor_b32 exec_lo, exec_lo, s41
	s_cbranch_execz .LBB6_3280
.LBB6_3598:                             ;   in Loop: Header=BB6_2951 Depth=2
	v_cmp_ne_u16_sdwa s42, v16, v84 src0_sel:BYTE_1 src1_sel:DWORD
	v_mov_b32_e32 v11, 0
	s_andn2_b32 s14, s14, exec_lo
	s_and_b32 s42, s42, exec_lo
	s_or_b32 s14, s14, s42
	s_or_b32 exec_lo, exec_lo, s41
	s_and_saveexec_b32 s41, s14
	s_cbranch_execnz .LBB6_3281
	s_branch .LBB6_3282
.LBB6_3599:                             ;   in Loop: Header=BB6_2951 Depth=2
	s_or_saveexec_b32 s41, s41
	v_mov_b32_e32 v2, 0x7f800001
	s_xor_b32 exec_lo, exec_lo, s41
	s_cbranch_execz .LBB6_3286
.LBB6_3600:                             ;   in Loop: Header=BB6_2951 Depth=2
	v_cmp_ne_u16_sdwa s42, v12, v84 src0_sel:BYTE_1 src1_sel:DWORD
	v_mov_b32_e32 v2, 0
	s_andn2_b32 s14, s14, exec_lo
	s_and_b32 s42, s42, exec_lo
	s_or_b32 s14, s14, s42
	s_or_b32 exec_lo, exec_lo, s41
	s_and_saveexec_b32 s41, s14
	s_cbranch_execnz .LBB6_3287
	s_branch .LBB6_3288
.LBB6_3601:                             ;   in Loop: Header=BB6_2951 Depth=2
	s_or_saveexec_b32 s41, s41
	v_mov_b32_e32 v11, 0x7f800001
	s_xor_b32 exec_lo, exec_lo, s41
	s_cbranch_execz .LBB6_3294
.LBB6_3602:                             ;   in Loop: Header=BB6_2951 Depth=2
	v_cmp_ne_u16_sdwa s42, v16, v84 src0_sel:BYTE_1 src1_sel:DWORD
	v_mov_b32_e32 v11, 0
	s_andn2_b32 s14, s14, exec_lo
	s_and_b32 s42, s42, exec_lo
	s_or_b32 s14, s14, s42
	s_or_b32 exec_lo, exec_lo, s41
	s_and_saveexec_b32 s41, s14
	s_cbranch_execnz .LBB6_3295
	s_branch .LBB6_3296
.LBB6_3603:                             ;   in Loop: Header=BB6_2951 Depth=2
	s_or_saveexec_b32 s41, s41
	v_mov_b32_e32 v2, 0x7f800001
	s_xor_b32 exec_lo, exec_lo, s41
	s_cbranch_execz .LBB6_3300
.LBB6_3604:                             ;   in Loop: Header=BB6_2951 Depth=2
	v_cmp_ne_u16_sdwa s42, v12, v84 src0_sel:BYTE_1 src1_sel:DWORD
	v_mov_b32_e32 v2, 0
	s_andn2_b32 s14, s14, exec_lo
	s_and_b32 s42, s42, exec_lo
	s_or_b32 s14, s14, s42
	s_or_b32 exec_lo, exec_lo, s41
	s_and_saveexec_b32 s41, s14
	s_cbranch_execnz .LBB6_3301
	s_branch .LBB6_3302
.LBB6_3605:                             ;   in Loop: Header=BB6_2951 Depth=2
	s_or_saveexec_b32 s14, s14
	v_mov_b32_e32 v38, 0x7f800001
	s_xor_b32 exec_lo, exec_lo, s14
	s_cbranch_execz .LBB6_3316
.LBB6_3606:                             ;   in Loop: Header=BB6_2951 Depth=2
	v_cmp_ne_u16_e32 vcc_lo, 0, v11
	v_mov_b32_e32 v38, 0
	s_andn2_b32 s41, s41, exec_lo
	s_and_b32 s42, vcc_lo, exec_lo
	s_or_b32 s41, s41, s42
	s_or_b32 exec_lo, exec_lo, s14
	s_and_saveexec_b32 s14, s41
	s_cbranch_execnz .LBB6_3317
	s_branch .LBB6_3318
.LBB6_3607:                             ;   in Loop: Header=BB6_2951 Depth=2
	s_or_saveexec_b32 s41, s41
	v_mov_b32_e32 v2, 0x7f800001
	s_xor_b32 exec_lo, exec_lo, s41
	s_cbranch_execz .LBB6_3322
.LBB6_3608:                             ;   in Loop: Header=BB6_2951 Depth=2
	v_cmp_ne_u16_e32 vcc_lo, 0, v3
	v_mov_b32_e32 v2, 0
	s_andn2_b32 s14, s14, exec_lo
	s_and_b32 s42, vcc_lo, exec_lo
	s_or_b32 s14, s14, s42
	s_or_b32 exec_lo, exec_lo, s41
	s_and_saveexec_b32 s41, s14
	s_cbranch_execnz .LBB6_3323
	s_branch .LBB6_3324
.LBB6_3609:                             ;   in Loop: Header=BB6_2951 Depth=2
	s_or_saveexec_b32 s41, s41
	v_mov_b32_e32 v38, 0x7f800001
	s_xor_b32 exec_lo, exec_lo, s41
	s_cbranch_execz .LBB6_3330
.LBB6_3610:                             ;   in Loop: Header=BB6_2951 Depth=2
	v_cmp_ne_u16_e32 vcc_lo, 0, v11
	v_mov_b32_e32 v38, 0
	s_andn2_b32 s14, s14, exec_lo
	s_and_b32 s42, vcc_lo, exec_lo
	s_or_b32 s14, s14, s42
	s_or_b32 exec_lo, exec_lo, s41
	s_and_saveexec_b32 s41, s14
	s_cbranch_execnz .LBB6_3331
	s_branch .LBB6_3332
.LBB6_3611:                             ;   in Loop: Header=BB6_2951 Depth=2
	s_or_saveexec_b32 s41, s41
	v_mov_b32_e32 v2, 0x7f800001
	s_xor_b32 exec_lo, exec_lo, s41
	s_cbranch_execz .LBB6_3336
.LBB6_3612:                             ;   in Loop: Header=BB6_2951 Depth=2
	v_cmp_ne_u16_e32 vcc_lo, 0, v3
	v_mov_b32_e32 v2, 0
	s_andn2_b32 s14, s14, exec_lo
	s_and_b32 s42, vcc_lo, exec_lo
	s_or_b32 s14, s14, s42
	s_or_b32 exec_lo, exec_lo, s41
	s_and_saveexec_b32 s41, s14
	s_cbranch_execnz .LBB6_3337
	s_branch .LBB6_3338
.LBB6_3613:                             ;   in Loop: Header=BB6_2951 Depth=2
	s_or_saveexec_b32 s41, s41
	v_mov_b32_e32 v11, 0x7f800001
	s_xor_b32 exec_lo, exec_lo, s41
	s_cbranch_execz .LBB6_3352
.LBB6_3614:                             ;   in Loop: Header=BB6_2951 Depth=2
	v_cmp_ne_u16_sdwa s42, v16, v84 src0_sel:BYTE_3 src1_sel:DWORD
	v_mov_b32_e32 v11, 0
	s_andn2_b32 s14, s14, exec_lo
	s_and_b32 s42, s42, exec_lo
	s_or_b32 s14, s14, s42
	s_or_b32 exec_lo, exec_lo, s41
	s_and_saveexec_b32 s41, s14
	s_cbranch_execnz .LBB6_3353
	s_branch .LBB6_3354
.LBB6_3615:                             ;   in Loop: Header=BB6_2951 Depth=2
	s_or_saveexec_b32 s41, s41
	v_mov_b32_e32 v2, 0x7f800001
	s_xor_b32 exec_lo, exec_lo, s41
	s_cbranch_execz .LBB6_3358
.LBB6_3616:                             ;   in Loop: Header=BB6_2951 Depth=2
	v_cmp_ne_u16_sdwa s42, v12, v84 src0_sel:BYTE_3 src1_sel:DWORD
	v_mov_b32_e32 v2, 0
	s_andn2_b32 s14, s14, exec_lo
	s_and_b32 s42, s42, exec_lo
	s_or_b32 s14, s14, s42
	s_or_b32 exec_lo, exec_lo, s41
	s_and_saveexec_b32 s41, s14
	s_cbranch_execnz .LBB6_3359
	s_branch .LBB6_3360
.LBB6_3617:                             ;   in Loop: Header=BB6_2951 Depth=2
	s_or_saveexec_b32 s41, s41
	v_mov_b32_e32 v11, 0x7f800001
	s_xor_b32 exec_lo, exec_lo, s41
	s_cbranch_execz .LBB6_3366
.LBB6_3618:                             ;   in Loop: Header=BB6_2951 Depth=2
	v_cmp_ne_u16_sdwa s42, v16, v84 src0_sel:BYTE_3 src1_sel:DWORD
	v_mov_b32_e32 v11, 0
	s_andn2_b32 s14, s14, exec_lo
	s_and_b32 s42, s42, exec_lo
	s_or_b32 s14, s14, s42
	s_or_b32 exec_lo, exec_lo, s41
	s_and_saveexec_b32 s41, s14
	s_cbranch_execnz .LBB6_3367
	s_branch .LBB6_3368
.LBB6_3619:                             ;   in Loop: Header=BB6_2951 Depth=2
	s_or_saveexec_b32 s41, s41
	v_mov_b32_e32 v2, 0x7f800001
	s_xor_b32 exec_lo, exec_lo, s41
	s_cbranch_execz .LBB6_3372
.LBB6_3620:                             ;   in Loop: Header=BB6_2951 Depth=2
	v_cmp_ne_u16_sdwa s42, v12, v84 src0_sel:BYTE_3 src1_sel:DWORD
	v_mov_b32_e32 v2, 0
	s_andn2_b32 s14, s14, exec_lo
	s_and_b32 s42, s42, exec_lo
	s_or_b32 s14, s14, s42
	s_or_b32 exec_lo, exec_lo, s41
	s_and_saveexec_b32 s41, s14
	s_cbranch_execnz .LBB6_3373
	s_branch .LBB6_3374
.LBB6_3621:                             ;   in Loop: Header=BB6_2951 Depth=2
	s_or_saveexec_b32 s41, s41
	v_mov_b32_e32 v11, 0x7f800001
	s_xor_b32 exec_lo, exec_lo, s41
	s_cbranch_execz .LBB6_3388
.LBB6_3622:                             ;   in Loop: Header=BB6_2951 Depth=2
	v_cmp_ne_u16_sdwa s42, v17, v84 src0_sel:BYTE_0 src1_sel:DWORD
	v_mov_b32_e32 v11, 0
	s_andn2_b32 s14, s14, exec_lo
	s_and_b32 s42, s42, exec_lo
	s_or_b32 s14, s14, s42
	s_or_b32 exec_lo, exec_lo, s41
	s_and_saveexec_b32 s41, s14
	s_cbranch_execnz .LBB6_3389
	s_branch .LBB6_3390
.LBB6_3623:                             ;   in Loop: Header=BB6_2951 Depth=2
	s_or_saveexec_b32 s41, s41
	v_mov_b32_e32 v2, 0x7f800001
	s_xor_b32 exec_lo, exec_lo, s41
	s_cbranch_execz .LBB6_3394
.LBB6_3624:                             ;   in Loop: Header=BB6_2951 Depth=2
	v_cmp_ne_u16_sdwa s42, v13, v84 src0_sel:BYTE_0 src1_sel:DWORD
	v_mov_b32_e32 v2, 0
	s_andn2_b32 s14, s14, exec_lo
	s_and_b32 s42, s42, exec_lo
	s_or_b32 s14, s14, s42
	s_or_b32 exec_lo, exec_lo, s41
	s_and_saveexec_b32 s41, s14
	s_cbranch_execnz .LBB6_3395
	s_branch .LBB6_3396
.LBB6_3625:                             ;   in Loop: Header=BB6_2951 Depth=2
	s_or_saveexec_b32 s41, s41
	v_mov_b32_e32 v11, 0x7f800001
	s_xor_b32 exec_lo, exec_lo, s41
	s_cbranch_execz .LBB6_3402
.LBB6_3626:                             ;   in Loop: Header=BB6_2951 Depth=2
	v_cmp_ne_u16_sdwa s42, v17, v84 src0_sel:BYTE_0 src1_sel:DWORD
	v_mov_b32_e32 v11, 0
	s_andn2_b32 s14, s14, exec_lo
	s_and_b32 s42, s42, exec_lo
	s_or_b32 s14, s14, s42
	s_or_b32 exec_lo, exec_lo, s41
	s_and_saveexec_b32 s41, s14
	s_cbranch_execnz .LBB6_3403
	s_branch .LBB6_3404
.LBB6_3627:                             ;   in Loop: Header=BB6_2951 Depth=2
	s_or_saveexec_b32 s41, s41
	v_mov_b32_e32 v2, 0x7f800001
	s_xor_b32 exec_lo, exec_lo, s41
	s_cbranch_execz .LBB6_3408
.LBB6_3628:                             ;   in Loop: Header=BB6_2951 Depth=2
	v_cmp_ne_u16_sdwa s42, v13, v84 src0_sel:BYTE_0 src1_sel:DWORD
	v_mov_b32_e32 v2, 0
	s_andn2_b32 s14, s14, exec_lo
	s_and_b32 s42, s42, exec_lo
	s_or_b32 s14, s14, s42
	s_or_b32 exec_lo, exec_lo, s41
	s_and_saveexec_b32 s41, s14
	s_cbranch_execnz .LBB6_3409
	s_branch .LBB6_3410
.LBB6_3629:                             ;   in Loop: Header=BB6_2951 Depth=2
	s_or_saveexec_b32 s41, s41
	v_mov_b32_e32 v11, 0x7f800001
	s_xor_b32 exec_lo, exec_lo, s41
	s_cbranch_execz .LBB6_3424
.LBB6_3630:                             ;   in Loop: Header=BB6_2951 Depth=2
	v_cmp_ne_u16_sdwa s42, v17, v84 src0_sel:BYTE_1 src1_sel:DWORD
	v_mov_b32_e32 v11, 0
	s_andn2_b32 s14, s14, exec_lo
	s_and_b32 s42, s42, exec_lo
	s_or_b32 s14, s14, s42
	s_or_b32 exec_lo, exec_lo, s41
	s_and_saveexec_b32 s41, s14
	s_cbranch_execnz .LBB6_3425
	s_branch .LBB6_3426
.LBB6_3631:                             ;   in Loop: Header=BB6_2951 Depth=2
	s_or_saveexec_b32 s41, s41
	v_mov_b32_e32 v2, 0x7f800001
	s_xor_b32 exec_lo, exec_lo, s41
	s_cbranch_execz .LBB6_3430
.LBB6_3632:                             ;   in Loop: Header=BB6_2951 Depth=2
	v_cmp_ne_u16_sdwa s42, v13, v84 src0_sel:BYTE_1 src1_sel:DWORD
	v_mov_b32_e32 v2, 0
	s_andn2_b32 s14, s14, exec_lo
	s_and_b32 s42, s42, exec_lo
	s_or_b32 s14, s14, s42
	s_or_b32 exec_lo, exec_lo, s41
	s_and_saveexec_b32 s41, s14
	s_cbranch_execnz .LBB6_3431
	s_branch .LBB6_3432
.LBB6_3633:                             ;   in Loop: Header=BB6_2951 Depth=2
	s_or_saveexec_b32 s41, s41
	v_mov_b32_e32 v11, 0x7f800001
	s_xor_b32 exec_lo, exec_lo, s41
	s_cbranch_execz .LBB6_3438
.LBB6_3634:                             ;   in Loop: Header=BB6_2951 Depth=2
	v_cmp_ne_u16_sdwa s42, v17, v84 src0_sel:BYTE_1 src1_sel:DWORD
	v_mov_b32_e32 v11, 0
	s_andn2_b32 s14, s14, exec_lo
	s_and_b32 s42, s42, exec_lo
	s_or_b32 s14, s14, s42
	s_or_b32 exec_lo, exec_lo, s41
	s_and_saveexec_b32 s41, s14
	s_cbranch_execnz .LBB6_3439
	s_branch .LBB6_3440
.LBB6_3635:                             ;   in Loop: Header=BB6_2951 Depth=2
	s_or_saveexec_b32 s41, s41
	v_mov_b32_e32 v2, 0x7f800001
	s_xor_b32 exec_lo, exec_lo, s41
	s_cbranch_execz .LBB6_3444
.LBB6_3636:                             ;   in Loop: Header=BB6_2951 Depth=2
	v_cmp_ne_u16_sdwa s42, v13, v84 src0_sel:BYTE_1 src1_sel:DWORD
	v_mov_b32_e32 v2, 0
	s_andn2_b32 s14, s14, exec_lo
	s_and_b32 s42, s42, exec_lo
	s_or_b32 s14, s14, s42
	s_or_b32 exec_lo, exec_lo, s41
	s_and_saveexec_b32 s41, s14
	s_cbranch_execnz .LBB6_3445
	s_branch .LBB6_3446
.LBB6_3637:                             ;   in Loop: Header=BB6_2951 Depth=2
	s_or_saveexec_b32 s14, s14
	v_mov_b32_e32 v12, 0x7f800001
	s_xor_b32 exec_lo, exec_lo, s14
	s_cbranch_execz .LBB6_3460
.LBB6_3638:                             ;   in Loop: Header=BB6_2951 Depth=2
	v_cmp_ne_u16_e32 vcc_lo, 0, v11
	v_mov_b32_e32 v12, 0
	s_andn2_b32 s41, s41, exec_lo
	s_and_b32 s42, vcc_lo, exec_lo
	s_or_b32 s41, s41, s42
	s_or_b32 exec_lo, exec_lo, s14
	s_and_saveexec_b32 s14, s41
	s_cbranch_execnz .LBB6_3461
	s_branch .LBB6_3462
.LBB6_3639:                             ;   in Loop: Header=BB6_2951 Depth=2
	s_or_saveexec_b32 s41, s41
	v_mov_b32_e32 v2, 0x7f800001
	s_xor_b32 exec_lo, exec_lo, s41
	s_cbranch_execz .LBB6_3466
.LBB6_3640:                             ;   in Loop: Header=BB6_2951 Depth=2
	v_cmp_ne_u16_e32 vcc_lo, 0, v3
	v_mov_b32_e32 v2, 0
	s_andn2_b32 s14, s14, exec_lo
	s_and_b32 s42, vcc_lo, exec_lo
	s_or_b32 s14, s14, s42
	s_or_b32 exec_lo, exec_lo, s41
	s_and_saveexec_b32 s41, s14
	s_cbranch_execnz .LBB6_3467
	s_branch .LBB6_3468
.LBB6_3641:                             ;   in Loop: Header=BB6_2951 Depth=2
	s_or_saveexec_b32 s41, s41
	v_mov_b32_e32 v12, 0x7f800001
	s_xor_b32 exec_lo, exec_lo, s41
	s_cbranch_execz .LBB6_3474
.LBB6_3642:                             ;   in Loop: Header=BB6_2951 Depth=2
	v_cmp_ne_u16_e32 vcc_lo, 0, v11
	v_mov_b32_e32 v12, 0
	s_andn2_b32 s14, s14, exec_lo
	s_and_b32 s42, vcc_lo, exec_lo
	s_or_b32 s14, s14, s42
	s_or_b32 exec_lo, exec_lo, s41
	s_and_saveexec_b32 s41, s14
	s_cbranch_execnz .LBB6_3475
	s_branch .LBB6_3476
.LBB6_3643:                             ;   in Loop: Header=BB6_2951 Depth=2
	s_or_saveexec_b32 s41, s41
	v_mov_b32_e32 v2, 0x7f800001
	s_xor_b32 exec_lo, exec_lo, s41
	s_cbranch_execz .LBB6_3480
.LBB6_3644:                             ;   in Loop: Header=BB6_2951 Depth=2
	v_cmp_ne_u16_e32 vcc_lo, 0, v3
	v_mov_b32_e32 v2, 0
	s_andn2_b32 s14, s14, exec_lo
	s_and_b32 s42, vcc_lo, exec_lo
	s_or_b32 s14, s14, s42
	s_or_b32 exec_lo, exec_lo, s41
	s_and_saveexec_b32 s41, s14
	s_cbranch_execnz .LBB6_3481
	s_branch .LBB6_3482
.LBB6_3645:                             ;   in Loop: Header=BB6_2951 Depth=2
	s_or_saveexec_b32 s41, s41
	v_mov_b32_e32 v10, 0x7f800001
	s_xor_b32 exec_lo, exec_lo, s41
	s_cbranch_execz .LBB6_3496
.LBB6_3646:                             ;   in Loop: Header=BB6_2951 Depth=2
	v_cmp_ne_u16_sdwa s42, v17, v84 src0_sel:BYTE_3 src1_sel:DWORD
	v_mov_b32_e32 v10, 0
	s_andn2_b32 s14, s14, exec_lo
	s_and_b32 s42, s42, exec_lo
	s_or_b32 s14, s14, s42
	s_or_b32 exec_lo, exec_lo, s41
	s_and_saveexec_b32 s41, s14
	s_cbranch_execnz .LBB6_3497
	s_branch .LBB6_3498
.LBB6_3647:                             ;   in Loop: Header=BB6_2951 Depth=2
	s_or_saveexec_b32 s41, s41
	v_mov_b32_e32 v2, 0x7f800001
	s_xor_b32 exec_lo, exec_lo, s41
	s_cbranch_execz .LBB6_3502
.LBB6_3648:                             ;   in Loop: Header=BB6_2951 Depth=2
	v_cmp_ne_u16_sdwa s42, v13, v84 src0_sel:BYTE_3 src1_sel:DWORD
	v_mov_b32_e32 v2, 0
	s_andn2_b32 s14, s14, exec_lo
	s_and_b32 s42, s42, exec_lo
	s_or_b32 s14, s14, s42
	s_or_b32 exec_lo, exec_lo, s41
	s_and_saveexec_b32 s41, s14
	s_cbranch_execnz .LBB6_3503
	s_branch .LBB6_3504
.LBB6_3649:                             ;   in Loop: Header=BB6_2951 Depth=2
	s_or_saveexec_b32 s41, s41
	v_mov_b32_e32 v51, 0x7f800001
	s_xor_b32 exec_lo, exec_lo, s41
	s_cbranch_execz .LBB6_3510
.LBB6_3650:                             ;   in Loop: Header=BB6_2951 Depth=2
	v_cmp_ne_u16_sdwa s42, v17, v84 src0_sel:BYTE_3 src1_sel:DWORD
	v_mov_b32_e32 v51, 0
	s_andn2_b32 s14, s14, exec_lo
	s_and_b32 s42, s42, exec_lo
	s_or_b32 s14, s14, s42
	s_or_b32 exec_lo, exec_lo, s41
	s_and_saveexec_b32 s41, s14
	s_cbranch_execnz .LBB6_3511
	s_branch .LBB6_3512
.LBB6_3651:                             ;   in Loop: Header=BB6_2951 Depth=2
	s_or_saveexec_b32 s41, s41
	v_mov_b32_e32 v2, 0x7f800001
	s_xor_b32 exec_lo, exec_lo, s41
	s_cbranch_execz .LBB6_3516
.LBB6_3652:                             ;   in Loop: Header=BB6_2951 Depth=2
	v_cmp_ne_u16_sdwa s42, v13, v84 src0_sel:BYTE_3 src1_sel:DWORD
	v_mov_b32_e32 v2, 0
	s_andn2_b32 s14, s14, exec_lo
	s_and_b32 s42, s42, exec_lo
	s_or_b32 s14, s14, s42
	s_or_b32 exec_lo, exec_lo, s41
	s_and_saveexec_b32 s41, s14
	s_cbranch_execnz .LBB6_3517
	s_branch .LBB6_3518
.LBB6_3653:                             ;   in Loop: Header=BB6_49 Depth=1
	s_or_b32 exec_lo, exec_lo, s29
.LBB6_3654:                             ;   in Loop: Header=BB6_49 Depth=1
	s_or_b32 exec_lo, exec_lo, s28
	v_cmp_lt_i32_e32 vcc_lo, 0, v26
	v_and_b32_e32 v2, 15, v85
	v_and_b32_e32 v3, 0x1f0, v85
	v_cndmask_b32_e32 v10, 0, v41, vcc_lo
	v_cndmask_b32_e64 v17, v25, v2, s13
	v_cndmask_b32_e64 v2, 0, v3, s13
	v_sub_nc_u32_e32 v3, v10, v26
	v_cmp_ne_u32_e32 vcc_lo, 0, v17
	v_and_or_b32 v16, 0x3ffffe00, v85, v2
	v_lshl_add_u32 v18, v3, 5, v24
	s_and_b32 s13, vcc_lo, exec_lo
.LBB6_3655:                             ;   in Loop: Header=BB6_49 Depth=1
	s_or_b32 exec_lo, exec_lo, s27
	s_and_saveexec_b32 s14, s13
	s_cbranch_execz .LBB6_5116
.LBB6_3656:                             ;   in Loop: Header=BB6_49 Depth=1
	v_ashrrev_i32_e32 v2, 31, v18
	v_lshrrev_b32_e32 v3, 10, v17
	s_mov_b32 s27, exec_lo
	v_lshrrev_b32_e32 v2, 27, v2
	v_add_nc_u32_e32 v2, v18, v2
	v_ashrrev_i32_e32 v19, 5, v2
	v_sub_nc_u32_e32 v20, v3, v19
	v_cmpx_lt_i32_e32 0, v20
	s_cbranch_execz .LBB6_5068
; %bb.3657:                             ;   in Loop: Header=BB6_49 Depth=1
	v_and_b32_e32 v10, 0xffffffe0, v2
	s_trap 2
	ds_read_b64 v[2:3], v0
	v_lshlrev_b32_e32 v11, 10, v19
	v_add_co_u32 v21, vcc_lo, 0x3e0, v100
	v_sub_nc_u32_e32 v10, v18, v10
	v_add_co_ci_u32_e64 v22, null, 0, v101, vcc_lo
	s_bitcmp1_b32 s26, 0
	s_mov_b32 s29, 0
	v_add3_u32 v14, v16, v10, v11
	s_cselect_b32 s28, -1, 0
	v_ashrrev_i32_e32 v15, 31, v14
	v_add_co_u32 v10, vcc_lo, v14, v98
	v_add_co_ci_u32_e64 v11, null, v15, v99, vcc_lo
	s_waitcnt lgkmcnt(0)
	v_add_co_u32 v12, vcc_lo, v2, v14
	v_add_co_ci_u32_e64 v13, null, v3, v15, vcc_lo
	v_add_co_u32 v14, vcc_lo, v21, v14
	v_add_co_ci_u32_e64 v15, null, v22, v15, vcc_lo
	s_branch .LBB6_3661
.LBB6_3658:                             ;   in Loop: Header=BB6_3661 Depth=2
	s_or_b32 exec_lo, exec_lo, s13
	v_lshrrev_b32_e32 v3, 21, v3
	v_cmp_gt_i32_e32 vcc_lo, 32, v2
	v_min_i32_e32 v21, 31, v2
	v_and_b32_sdwa v22, v25, v58 dst_sel:DWORD dst_unused:UNUSED_PAD src0_sel:BYTE_3 src1_sel:DWORD
	v_cndmask_b32_e32 v3, 3, v3, vcc_lo
	v_lshlrev_b32_e32 v21, 2, v21
	v_and_b32_e32 v25, 3, v3
	v_or_b32_e32 v2, v2, v3
	v_or3_b32 v3, v21, v22, v25
	v_cmp_ne_u32_e32 vcc_lo, 0, v2
	v_cndmask_b32_e32 v21, 0, v3, vcc_lo
.LBB6_3659:                             ;   in Loop: Header=BB6_3661 Depth=2
	s_or_b32 exec_lo, exec_lo, s41
.LBB6_3660:                             ;   in Loop: Header=BB6_3661 Depth=2
	s_or_b32 exec_lo, exec_lo, s40
	v_add_co_u32 v2, vcc_lo, 0xfffffc20, v14
	v_add_co_ci_u32_e64 v3, null, -1, v15, vcc_lo
	v_sub_nc_u32_e32 v20, v20, v41
	flat_store_byte v[2:3], v23 glc slc
	v_add_co_u32 v2, vcc_lo, 0xfffffc40, v14
	v_add_co_ci_u32_e64 v3, null, -1, v15, vcc_lo
	v_add_co_u32 v22, vcc_lo, 0xfffffc60, v14
	v_add_co_ci_u32_e64 v23, null, -1, v15, vcc_lo
	v_add_co_u32 v104, vcc_lo, 0xfffffc80, v14
	v_add_co_ci_u32_e64 v105, null, -1, v15, vcc_lo
	v_add_co_u32 v106, vcc_lo, 0xfffffca0, v14
	v_add_co_ci_u32_e64 v107, null, -1, v15, vcc_lo
	v_add_co_u32 v108, vcc_lo, 0xfffffcc0, v14
	v_add_co_ci_u32_e64 v109, null, -1, v15, vcc_lo
	flat_store_byte v[2:3], v27 glc slc
	flat_store_byte v[22:23], v33 glc slc
	flat_store_byte v[104:105], v36 glc slc
	flat_store_byte v[106:107], v39 glc slc
	flat_store_byte v[108:109], v50 glc slc
	v_add_co_u32 v2, vcc_lo, 0xfffffce0, v14
	v_add_co_ci_u32_e64 v3, null, -1, v15, vcc_lo
	v_add_co_u32 v22, vcc_lo, 0xfffffd00, v14
	v_add_co_ci_u32_e64 v23, null, -1, v15, vcc_lo
	v_add_co_u32 v27, vcc_lo, 0xfffffd20, v14
	v_add_co_ci_u32_e64 v28, null, -1, v15, vcc_lo
	v_add_co_u32 v32, vcc_lo, 0xfffffd40, v14
	v_add_co_ci_u32_e64 v33, null, -1, v15, vcc_lo
	v_add_co_u32 v35, vcc_lo, 0xfffffd60, v14
	v_add_co_ci_u32_e64 v36, null, -1, v15, vcc_lo
	flat_store_byte v[2:3], v99 glc slc
	flat_store_byte v[22:23], v102 glc slc
	flat_store_byte v[27:28], v113 glc slc
	flat_store_byte v[32:33], v62 glc slc
	;; [unrolled: 15-line block ×5, first 2 shown]
	flat_store_byte v[35:36], v48 glc slc
	v_add_co_u32 v2, vcc_lo, 0xffffff60, v14
	v_add_co_ci_u32_e64 v3, null, -1, v15, vcc_lo
	v_add_co_u32 v22, vcc_lo, 0xffffff80, v14
	v_add_co_ci_u32_e64 v23, null, -1, v15, vcc_lo
	;; [unrolled: 2-line block ×5, first 2 shown]
	v_add_co_u32 v10, vcc_lo, v10, v45
	v_add_co_ci_u32_e64 v11, null, 0, v11, vcc_lo
	v_add_co_u32 v12, vcc_lo, v12, v45
	flat_store_byte v[2:3], v37 glc slc
	flat_store_byte v[22:23], v34 glc slc
	;; [unrolled: 1-line block ×6, first 2 shown]
	v_add_co_ci_u32_e64 v13, null, 0, v13, vcc_lo
	v_cmp_gt_i32_e32 vcc_lo, 1, v20
	v_add_co_u32 v14, s13, v14, v45
	v_add_co_ci_u32_e64 v15, null, 0, v15, s13
	s_or_b32 s29, vcc_lo, s29
	s_andn2_b32 exec_lo, exec_lo, s29
	s_cbranch_execz .LBB6_5067
.LBB6_3661:                             ;   Parent Loop BB6_49 Depth=1
                                        ; =>  This Inner Loop Header: Depth=2
	s_clause 0x1f
	flat_load_ubyte v119, v[10:11] slc
	flat_load_ubyte v125, v[10:11] offset:32 slc
	flat_load_ubyte v124, v[10:11] offset:64 slc
	;; [unrolled: 1-line block ×31, first 2 shown]
	s_clause 0x1f
	flat_load_ubyte v23, v[12:13] slc
	flat_load_ubyte v27, v[12:13] offset:32 slc
	flat_load_ubyte v33, v[12:13] offset:64 slc
	;; [unrolled: 1-line block ×31, first 2 shown]
	s_and_b32 vcc_lo, exec_lo, s28
	s_mov_b32 s13, -1
                                        ; implicit-def: $vgpr126
	s_waitcnt vmcnt(62) lgkmcnt(62)
	v_cmp_gt_i16_sdwa s41, v119, v57 src0_sel:BYTE_0 src1_sel:DWORD
	s_cbranch_vccz .LBB6_3675
; %bb.3662:                             ;   in Loop: Header=BB6_3661 Depth=2
	s_mov_b32 s40, 0
	s_and_saveexec_b32 s13, s41
	s_xor_b32 s13, exec_lo, s13
	s_cbranch_execz .LBB6_4811
; %bb.3663:                             ;   in Loop: Header=BB6_3661 Depth=2
	v_cmp_eq_u16_sdwa s42, v119, v58 src0_sel:BYTE_0 src1_sel:DWORD
	s_mov_b32 s40, -1
	s_and_saveexec_b32 s41, s42
; %bb.3664:                             ;   in Loop: Header=BB6_3661 Depth=2
	s_xor_b32 s40, exec_lo, -1
; %bb.3665:                             ;   in Loop: Header=BB6_3661 Depth=2
	s_or_b32 exec_lo, exec_lo, s41
	s_and_b32 s40, s40, exec_lo
	s_or_saveexec_b32 s13, s13
	v_mov_b32_e32 v40, 0x7f800001
	s_xor_b32 exec_lo, exec_lo, s13
	s_cbranch_execnz .LBB6_4812
.LBB6_3666:                             ;   in Loop: Header=BB6_3661 Depth=2
	s_or_b32 exec_lo, exec_lo, s13
	s_and_saveexec_b32 s13, s40
	s_cbranch_execz .LBB6_3668
.LBB6_3667:                             ;   in Loop: Header=BB6_3661 Depth=2
	v_and_b32_e32 v2, 3, v119
	v_lshrrev_b16 v30, 2, v119
	v_lshlrev_b32_e32 v42, 24, v119
	v_ffbh_u32_e32 v3, v2
	v_and_b32_e32 v30, 31, v30
	v_min_u32_e32 v3, 32, v3
	v_cmp_eq_u32_e32 vcc_lo, 0, v30
	v_subrev_nc_u32_e32 v40, 29, v3
	v_sub_nc_u32_e32 v3, 30, v3
	v_lshlrev_b32_e32 v40, v40, v119
	v_cndmask_b32_e32 v3, v30, v3, vcc_lo
	v_and_b32_e32 v30, 0x80000000, v42
	v_and_b32_e32 v40, 3, v40
	v_lshl_add_u32 v3, v3, 23, 0x37800000
	v_cndmask_b32_e32 v2, v2, v40, vcc_lo
	v_lshlrev_b32_e32 v2, 21, v2
	v_or3_b32 v40, v30, v3, v2
.LBB6_3668:                             ;   in Loop: Header=BB6_3661 Depth=2
	s_or_b32 exec_lo, exec_lo, s13
	s_waitcnt vmcnt(31) lgkmcnt(31)
	v_cmp_gt_i16_sdwa s13, v23, v57 src0_sel:BYTE_0 src1_sel:DWORD
	s_mov_b32 s40, 0
	s_and_saveexec_b32 s41, s13
	s_xor_b32 s13, exec_lo, s41
	s_cbranch_execz .LBB6_4813
; %bb.3669:                             ;   in Loop: Header=BB6_3661 Depth=2
	v_cmp_eq_u16_sdwa s42, v23, v58 src0_sel:BYTE_0 src1_sel:DWORD
	s_mov_b32 s40, -1
	s_and_saveexec_b32 s41, s42
; %bb.3670:                             ;   in Loop: Header=BB6_3661 Depth=2
	s_xor_b32 s40, exec_lo, -1
; %bb.3671:                             ;   in Loop: Header=BB6_3661 Depth=2
	s_or_b32 exec_lo, exec_lo, s41
	s_and_b32 s40, s40, exec_lo
	s_or_saveexec_b32 s13, s13
	v_mov_b32_e32 v2, 0x7f800001
	s_xor_b32 exec_lo, exec_lo, s13
	s_cbranch_execnz .LBB6_4814
.LBB6_3672:                             ;   in Loop: Header=BB6_3661 Depth=2
	s_or_b32 exec_lo, exec_lo, s13
	s_and_saveexec_b32 s13, s40
	s_cbranch_execz .LBB6_3674
.LBB6_3673:                             ;   in Loop: Header=BB6_3661 Depth=2
	v_and_b32_e32 v2, 3, v23
	v_lshrrev_b16 v30, 2, v23
	v_lshlrev_b32_e32 v126, 24, v23
	v_ffbh_u32_e32 v3, v2
	v_and_b32_e32 v30, 31, v30
	v_min_u32_e32 v3, 32, v3
	v_cmp_eq_u32_e32 vcc_lo, 0, v30
	v_subrev_nc_u32_e32 v42, 29, v3
	v_sub_nc_u32_e32 v3, 30, v3
	v_lshlrev_b32_e32 v42, v42, v23
	v_cndmask_b32_e32 v3, v30, v3, vcc_lo
	v_and_b32_e32 v30, 0x80000000, v126
	v_and_b32_e32 v42, 3, v42
	v_lshl_add_u32 v3, v3, 23, 0x37800000
	v_cndmask_b32_e32 v2, v2, v42, vcc_lo
	v_lshlrev_b32_e32 v2, 21, v2
	v_or3_b32 v2, v30, v3, v2
.LBB6_3674:                             ;   in Loop: Header=BB6_3661 Depth=2
	s_or_b32 exec_lo, exec_lo, s13
	v_max_f32_e32 v2, v2, v2
	v_max_f32_e32 v3, v40, v40
	s_mov_b32 s13, 0
	v_max_f32_e32 v126, v3, v2
.LBB6_3675:                             ;   in Loop: Header=BB6_3661 Depth=2
	s_and_b32 vcc_lo, exec_lo, s13
	s_cbranch_vccz .LBB6_3689
; %bb.3676:                             ;   in Loop: Header=BB6_3661 Depth=2
	v_cmp_gt_i16_sdwa s13, v119, v57 src0_sel:BYTE_0 src1_sel:DWORD
	s_mov_b32 s40, 0
	s_and_saveexec_b32 s41, s13
	s_xor_b32 s13, exec_lo, s41
	s_cbranch_execz .LBB6_4815
; %bb.3677:                             ;   in Loop: Header=BB6_3661 Depth=2
	v_cmp_eq_u16_sdwa s42, v119, v58 src0_sel:BYTE_0 src1_sel:DWORD
	s_mov_b32 s40, -1
	s_and_saveexec_b32 s41, s42
; %bb.3678:                             ;   in Loop: Header=BB6_3661 Depth=2
	s_xor_b32 s40, exec_lo, -1
; %bb.3679:                             ;   in Loop: Header=BB6_3661 Depth=2
	s_or_b32 exec_lo, exec_lo, s41
	s_and_b32 s40, s40, exec_lo
	s_or_saveexec_b32 s13, s13
	v_mov_b32_e32 v40, 0x7f800001
	s_xor_b32 exec_lo, exec_lo, s13
	s_cbranch_execnz .LBB6_4816
.LBB6_3680:                             ;   in Loop: Header=BB6_3661 Depth=2
	s_or_b32 exec_lo, exec_lo, s13
	s_and_saveexec_b32 s13, s40
	s_cbranch_execz .LBB6_3682
.LBB6_3681:                             ;   in Loop: Header=BB6_3661 Depth=2
	v_and_b32_e32 v2, 3, v119
	v_lshrrev_b16 v30, 2, v119
	v_ffbh_u32_e32 v3, v2
	v_and_b32_e32 v30, 31, v30
	v_min_u32_e32 v3, 32, v3
	v_cmp_eq_u32_e32 vcc_lo, 0, v30
	v_subrev_nc_u32_e32 v40, 29, v3
	v_sub_nc_u32_e32 v3, 30, v3
	v_lshlrev_b32_e32 v40, v40, v119
	v_lshlrev_b32_e32 v119, 24, v119
	v_cndmask_b32_e32 v3, v30, v3, vcc_lo
	v_and_b32_e32 v40, 3, v40
	v_and_b32_e32 v30, 0x80000000, v119
	v_lshl_add_u32 v3, v3, 23, 0x37800000
	v_cndmask_b32_e32 v2, v2, v40, vcc_lo
	v_lshlrev_b32_e32 v2, 21, v2
	v_or3_b32 v40, v30, v3, v2
.LBB6_3682:                             ;   in Loop: Header=BB6_3661 Depth=2
	s_or_b32 exec_lo, exec_lo, s13
	s_waitcnt vmcnt(31) lgkmcnt(31)
	v_cmp_gt_i16_sdwa s13, v23, v57 src0_sel:BYTE_0 src1_sel:DWORD
	s_mov_b32 s40, 0
	s_and_saveexec_b32 s41, s13
	s_xor_b32 s13, exec_lo, s41
	s_cbranch_execz .LBB6_4817
; %bb.3683:                             ;   in Loop: Header=BB6_3661 Depth=2
	v_cmp_eq_u16_sdwa s42, v23, v58 src0_sel:BYTE_0 src1_sel:DWORD
	s_mov_b32 s40, -1
	s_and_saveexec_b32 s41, s42
; %bb.3684:                             ;   in Loop: Header=BB6_3661 Depth=2
	s_xor_b32 s40, exec_lo, -1
; %bb.3685:                             ;   in Loop: Header=BB6_3661 Depth=2
	s_or_b32 exec_lo, exec_lo, s41
	s_and_b32 s40, s40, exec_lo
	s_or_saveexec_b32 s13, s13
	v_mov_b32_e32 v2, 0x7f800001
	s_xor_b32 exec_lo, exec_lo, s13
	s_cbranch_execnz .LBB6_4818
.LBB6_3686:                             ;   in Loop: Header=BB6_3661 Depth=2
	s_or_b32 exec_lo, exec_lo, s13
	s_and_saveexec_b32 s13, s40
	s_cbranch_execz .LBB6_3688
.LBB6_3687:                             ;   in Loop: Header=BB6_3661 Depth=2
	v_and_b32_e32 v2, 3, v23
	v_lshrrev_b16 v30, 2, v23
	v_ffbh_u32_e32 v3, v2
	v_and_b32_e32 v30, 31, v30
	v_min_u32_e32 v3, 32, v3
	v_cmp_eq_u32_e32 vcc_lo, 0, v30
	v_subrev_nc_u32_e32 v119, 29, v3
	v_sub_nc_u32_e32 v3, 30, v3
	v_lshlrev_b32_e32 v119, v119, v23
	v_lshlrev_b32_e32 v23, 24, v23
	v_cndmask_b32_e32 v3, v30, v3, vcc_lo
	v_and_b32_e32 v119, 3, v119
	v_and_b32_e32 v23, 0x80000000, v23
	v_lshl_add_u32 v3, v3, 23, 0x37800000
	v_cndmask_b32_e32 v2, v2, v119, vcc_lo
	v_lshlrev_b32_e32 v2, 21, v2
	v_or3_b32 v2, v23, v3, v2
.LBB6_3688:                             ;   in Loop: Header=BB6_3661 Depth=2
	s_or_b32 exec_lo, exec_lo, s13
	v_max_f32_e32 v2, v2, v2
	v_max_f32_e32 v3, v40, v40
	v_min_f32_e32 v126, v3, v2
.LBB6_3689:                             ;   in Loop: Header=BB6_3661 Depth=2
	v_and_b32_e32 v2, 0x7f800000, v126
	s_waitcnt vmcnt(31) lgkmcnt(31)
	v_mov_b32_e32 v23, 0x80
	s_mov_b32 s40, exec_lo
	v_cmpx_ne_u32_e32 0x7f800000, v2
	s_cbranch_execz .LBB6_3697
; %bb.3690:                             ;   in Loop: Header=BB6_3661 Depth=2
	v_mov_b32_e32 v23, 0
	s_mov_b32 s41, exec_lo
	v_cmpx_ne_u32_e32 0, v126
	s_cbranch_execz .LBB6_3696
; %bb.3691:                             ;   in Loop: Header=BB6_3661 Depth=2
	v_bfe_u32 v3, v126, 23, 8
	v_and_b32_e32 v2, 0x7fffff, v126
                                        ; implicit-def: $vgpr40
	v_cmp_gt_u32_e64 s13, 0x71, v3
	v_sub_nc_u32_e32 v23, 0x70, v3
	v_cmp_eq_u32_e32 vcc_lo, 0, v3
	v_or_b32_e32 v30, 0x800000, v2
	v_add_nc_u32_e32 v3, 0xffffff91, v3
	v_cndmask_b32_e64 v23, 0, v23, s13
	v_cndmask_b32_e32 v2, v30, v2, vcc_lo
	v_cndmask_b32_e64 v3, v3, 0xffffff92, vcc_lo
	v_cndmask_b32_e64 v23, v23, 0x6f, vcc_lo
	v_lshl_add_u32 v30, 0x200000, v23, -1
	v_lshlrev_b32_e64 v119, v23, 0x100000
	v_and_b32_e32 v30, v30, v2
	v_lshrrev_b32_e32 v2, v23, v2
	v_add_nc_u32_e32 v23, v23, v3
	v_cmp_eq_u32_e64 s13, v30, v119
	v_lshrrev_b32_e32 v3, 23, v2
	v_xor_b32_e32 v30, 1, v3
	v_bfe_u32 v3, v2, 21, 1
	v_add_nc_u32_e32 v3, -1, v3
	v_cndmask_b32_e64 v3, 0, v3, s13
	s_mov_b32 s13, exec_lo
	v_add_nc_u32_e32 v3, v3, v2
	v_and_b32_e32 v3, 0x1fffff, v3
	v_add_nc_u32_e32 v119, v3, v2
	v_cmpx_ne_u32_e64 v23, v30
	s_xor_b32 s13, exec_lo, s13
; %bb.3692:                             ;   in Loop: Header=BB6_3661 Depth=2
	v_cmp_lt_u32_e32 vcc_lo, 0xffffff, v119
	v_sub_nc_u32_e32 v2, v23, v30
	v_cndmask_b32_e64 v3, 0, 1, vcc_lo
	v_add_co_ci_u32_e64 v40, null, 0, v2, vcc_lo
	v_lshrrev_b32_e32 v119, v3, v119
; %bb.3693:                             ;   in Loop: Header=BB6_3661 Depth=2
	s_andn2_saveexec_b32 s13, s13
; %bb.3694:                             ;   in Loop: Header=BB6_3661 Depth=2
	v_bfe_u32 v40, v119, 23, 1
; %bb.3695:                             ;   in Loop: Header=BB6_3661 Depth=2
	s_or_b32 exec_lo, exec_lo, s13
	v_lshrrev_b32_e32 v3, 21, v119
	v_cmp_gt_i32_e32 vcc_lo, 32, v40
	v_min_i32_e32 v23, 31, v40
	v_and_b32_sdwa v2, v126, v58 dst_sel:DWORD dst_unused:UNUSED_PAD src0_sel:BYTE_3 src1_sel:DWORD
	v_cndmask_b32_e32 v3, 3, v3, vcc_lo
	v_lshlrev_b32_e32 v23, 2, v23
	v_or_b32_e32 v30, v40, v3
	v_and_b32_e32 v3, 3, v3
	v_cmp_ne_u32_e32 vcc_lo, 0, v30
	v_or3_b32 v2, v23, v2, v3
	v_cndmask_b32_e32 v23, 0, v2, vcc_lo
.LBB6_3696:                             ;   in Loop: Header=BB6_3661 Depth=2
	s_or_b32 exec_lo, exec_lo, s41
.LBB6_3697:                             ;   in Loop: Header=BB6_3661 Depth=2
	s_or_b32 exec_lo, exec_lo, s40
	v_cmp_gt_i16_sdwa s40, v125, v57 src0_sel:BYTE_0 src1_sel:DWORD
	s_andn2_b32 vcc_lo, exec_lo, s28
	s_mov_b32 s13, -1
                                        ; implicit-def: $vgpr119
	s_cbranch_vccnz .LBB6_3711
; %bb.3698:                             ;   in Loop: Header=BB6_3661 Depth=2
	s_mov_b32 s13, 0
	s_and_saveexec_b32 s41, s40
	s_xor_b32 s40, exec_lo, s41
	s_cbranch_execz .LBB6_4819
; %bb.3699:                             ;   in Loop: Header=BB6_3661 Depth=2
	v_cmp_eq_u16_sdwa s42, v125, v58 src0_sel:BYTE_0 src1_sel:DWORD
	s_mov_b32 s13, -1
	s_and_saveexec_b32 s41, s42
; %bb.3700:                             ;   in Loop: Header=BB6_3661 Depth=2
	s_xor_b32 s13, exec_lo, -1
; %bb.3701:                             ;   in Loop: Header=BB6_3661 Depth=2
	s_or_b32 exec_lo, exec_lo, s41
	s_and_b32 s13, s13, exec_lo
	s_or_saveexec_b32 s40, s40
	v_mov_b32_e32 v119, 0x7f800001
	s_xor_b32 exec_lo, exec_lo, s40
	s_cbranch_execnz .LBB6_4820
.LBB6_3702:                             ;   in Loop: Header=BB6_3661 Depth=2
	s_or_b32 exec_lo, exec_lo, s40
	s_and_saveexec_b32 s40, s13
	s_cbranch_execz .LBB6_3704
.LBB6_3703:                             ;   in Loop: Header=BB6_3661 Depth=2
	v_and_b32_e32 v2, 3, v125
	v_lshrrev_b16 v30, 2, v125
	v_lshlrev_b32_e32 v40, 24, v125
	v_ffbh_u32_e32 v3, v2
	v_and_b32_e32 v30, 31, v30
	v_min_u32_e32 v3, 32, v3
	v_cmp_eq_u32_e32 vcc_lo, 0, v30
	v_subrev_nc_u32_e32 v119, 29, v3
	v_sub_nc_u32_e32 v3, 30, v3
	v_lshlrev_b32_e32 v119, v119, v125
	v_cndmask_b32_e32 v3, v30, v3, vcc_lo
	v_and_b32_e32 v30, 0x80000000, v40
	v_and_b32_e32 v119, 3, v119
	v_lshl_add_u32 v3, v3, 23, 0x37800000
	v_cndmask_b32_e32 v2, v2, v119, vcc_lo
	v_lshlrev_b32_e32 v2, 21, v2
	v_or3_b32 v119, v30, v3, v2
.LBB6_3704:                             ;   in Loop: Header=BB6_3661 Depth=2
	s_or_b32 exec_lo, exec_lo, s40
	s_waitcnt vmcnt(30) lgkmcnt(30)
	v_cmp_gt_i16_sdwa s40, v27, v57 src0_sel:BYTE_0 src1_sel:DWORD
	s_mov_b32 s13, 0
	s_and_saveexec_b32 s41, s40
	s_xor_b32 s40, exec_lo, s41
	s_cbranch_execz .LBB6_4821
; %bb.3705:                             ;   in Loop: Header=BB6_3661 Depth=2
	v_cmp_eq_u16_sdwa s42, v27, v58 src0_sel:BYTE_0 src1_sel:DWORD
	s_mov_b32 s13, -1
	s_and_saveexec_b32 s41, s42
; %bb.3706:                             ;   in Loop: Header=BB6_3661 Depth=2
	s_xor_b32 s13, exec_lo, -1
; %bb.3707:                             ;   in Loop: Header=BB6_3661 Depth=2
	s_or_b32 exec_lo, exec_lo, s41
	s_and_b32 s13, s13, exec_lo
	s_or_saveexec_b32 s40, s40
	v_mov_b32_e32 v2, 0x7f800001
	s_xor_b32 exec_lo, exec_lo, s40
	s_cbranch_execnz .LBB6_4822
.LBB6_3708:                             ;   in Loop: Header=BB6_3661 Depth=2
	s_or_b32 exec_lo, exec_lo, s40
	s_and_saveexec_b32 s40, s13
	s_cbranch_execz .LBB6_3710
.LBB6_3709:                             ;   in Loop: Header=BB6_3661 Depth=2
	v_and_b32_e32 v2, 3, v27
	v_lshrrev_b16 v30, 2, v27
	v_lshlrev_b32_e32 v42, 24, v27
	v_ffbh_u32_e32 v3, v2
	v_and_b32_e32 v30, 31, v30
	v_min_u32_e32 v3, 32, v3
	v_cmp_eq_u32_e32 vcc_lo, 0, v30
	v_subrev_nc_u32_e32 v40, 29, v3
	v_sub_nc_u32_e32 v3, 30, v3
	v_lshlrev_b32_e32 v40, v40, v27
	v_cndmask_b32_e32 v3, v30, v3, vcc_lo
	v_and_b32_e32 v30, 0x80000000, v42
	v_and_b32_e32 v40, 3, v40
	v_lshl_add_u32 v3, v3, 23, 0x37800000
	v_cndmask_b32_e32 v2, v2, v40, vcc_lo
	v_lshlrev_b32_e32 v2, 21, v2
	v_or3_b32 v2, v30, v3, v2
.LBB6_3710:                             ;   in Loop: Header=BB6_3661 Depth=2
	s_or_b32 exec_lo, exec_lo, s40
	v_max_f32_e32 v2, v2, v2
	v_max_f32_e32 v3, v119, v119
	s_mov_b32 s13, 0
	v_max_f32_e32 v119, v3, v2
.LBB6_3711:                             ;   in Loop: Header=BB6_3661 Depth=2
	s_and_b32 vcc_lo, exec_lo, s13
	s_cbranch_vccz .LBB6_3725
; %bb.3712:                             ;   in Loop: Header=BB6_3661 Depth=2
	v_cmp_gt_i16_sdwa s40, v125, v57 src0_sel:BYTE_0 src1_sel:DWORD
	s_mov_b32 s13, 0
	s_and_saveexec_b32 s41, s40
	s_xor_b32 s40, exec_lo, s41
	s_cbranch_execz .LBB6_4823
; %bb.3713:                             ;   in Loop: Header=BB6_3661 Depth=2
	v_cmp_eq_u16_sdwa s42, v125, v58 src0_sel:BYTE_0 src1_sel:DWORD
	s_mov_b32 s13, -1
	s_and_saveexec_b32 s41, s42
; %bb.3714:                             ;   in Loop: Header=BB6_3661 Depth=2
	s_xor_b32 s13, exec_lo, -1
; %bb.3715:                             ;   in Loop: Header=BB6_3661 Depth=2
	s_or_b32 exec_lo, exec_lo, s41
	s_and_b32 s13, s13, exec_lo
	s_or_saveexec_b32 s40, s40
	v_mov_b32_e32 v119, 0x7f800001
	s_xor_b32 exec_lo, exec_lo, s40
	s_cbranch_execnz .LBB6_4824
.LBB6_3716:                             ;   in Loop: Header=BB6_3661 Depth=2
	s_or_b32 exec_lo, exec_lo, s40
	s_and_saveexec_b32 s40, s13
	s_cbranch_execz .LBB6_3718
.LBB6_3717:                             ;   in Loop: Header=BB6_3661 Depth=2
	v_and_b32_e32 v2, 3, v125
	v_lshrrev_b16 v30, 2, v125
	v_lshlrev_b32_e32 v40, 24, v125
	v_ffbh_u32_e32 v3, v2
	v_and_b32_e32 v30, 31, v30
	v_min_u32_e32 v3, 32, v3
	v_cmp_eq_u32_e32 vcc_lo, 0, v30
	v_subrev_nc_u32_e32 v119, 29, v3
	v_sub_nc_u32_e32 v3, 30, v3
	v_lshlrev_b32_e32 v119, v119, v125
	v_cndmask_b32_e32 v3, v30, v3, vcc_lo
	v_and_b32_e32 v30, 0x80000000, v40
	v_and_b32_e32 v119, 3, v119
	v_lshl_add_u32 v3, v3, 23, 0x37800000
	v_cndmask_b32_e32 v2, v2, v119, vcc_lo
	v_lshlrev_b32_e32 v2, 21, v2
	v_or3_b32 v119, v30, v3, v2
.LBB6_3718:                             ;   in Loop: Header=BB6_3661 Depth=2
	s_or_b32 exec_lo, exec_lo, s40
	s_waitcnt vmcnt(30) lgkmcnt(30)
	v_cmp_gt_i16_sdwa s40, v27, v57 src0_sel:BYTE_0 src1_sel:DWORD
	s_mov_b32 s13, 0
	s_and_saveexec_b32 s41, s40
	s_xor_b32 s40, exec_lo, s41
	s_cbranch_execz .LBB6_4825
; %bb.3719:                             ;   in Loop: Header=BB6_3661 Depth=2
	v_cmp_eq_u16_sdwa s42, v27, v58 src0_sel:BYTE_0 src1_sel:DWORD
	s_mov_b32 s13, -1
	s_and_saveexec_b32 s41, s42
; %bb.3720:                             ;   in Loop: Header=BB6_3661 Depth=2
	s_xor_b32 s13, exec_lo, -1
; %bb.3721:                             ;   in Loop: Header=BB6_3661 Depth=2
	s_or_b32 exec_lo, exec_lo, s41
	s_and_b32 s13, s13, exec_lo
	s_or_saveexec_b32 s40, s40
	v_mov_b32_e32 v2, 0x7f800001
	s_xor_b32 exec_lo, exec_lo, s40
	s_cbranch_execnz .LBB6_4826
.LBB6_3722:                             ;   in Loop: Header=BB6_3661 Depth=2
	s_or_b32 exec_lo, exec_lo, s40
	s_and_saveexec_b32 s40, s13
	s_cbranch_execz .LBB6_3724
.LBB6_3723:                             ;   in Loop: Header=BB6_3661 Depth=2
	v_and_b32_e32 v2, 3, v27
	v_lshrrev_b16 v30, 2, v27
	v_ffbh_u32_e32 v3, v2
	v_and_b32_e32 v30, 31, v30
	v_min_u32_e32 v3, 32, v3
	v_cmp_eq_u32_e32 vcc_lo, 0, v30
	v_subrev_nc_u32_e32 v40, 29, v3
	v_sub_nc_u32_e32 v3, 30, v3
	v_lshlrev_b32_e32 v40, v40, v27
	v_lshlrev_b32_e32 v27, 24, v27
	v_cndmask_b32_e32 v3, v30, v3, vcc_lo
	v_and_b32_e32 v40, 3, v40
	v_and_b32_e32 v27, 0x80000000, v27
	v_lshl_add_u32 v3, v3, 23, 0x37800000
	v_cndmask_b32_e32 v2, v2, v40, vcc_lo
	v_lshlrev_b32_e32 v2, 21, v2
	v_or3_b32 v2, v27, v3, v2
.LBB6_3724:                             ;   in Loop: Header=BB6_3661 Depth=2
	s_or_b32 exec_lo, exec_lo, s40
	v_max_f32_e32 v2, v2, v2
	v_max_f32_e32 v3, v119, v119
	v_min_f32_e32 v119, v3, v2
.LBB6_3725:                             ;   in Loop: Header=BB6_3661 Depth=2
	v_and_b32_e32 v2, 0x7f800000, v119
	s_waitcnt vmcnt(30) lgkmcnt(30)
	v_mov_b32_e32 v27, 0x80
	s_mov_b32 s40, exec_lo
	v_cmpx_ne_u32_e32 0x7f800000, v2
	s_cbranch_execz .LBB6_3733
; %bb.3726:                             ;   in Loop: Header=BB6_3661 Depth=2
	v_mov_b32_e32 v27, 0
	s_mov_b32 s41, exec_lo
	v_cmpx_ne_u32_e32 0, v119
	s_cbranch_execz .LBB6_3732
; %bb.3727:                             ;   in Loop: Header=BB6_3661 Depth=2
	v_bfe_u32 v3, v119, 23, 8
	v_and_b32_e32 v2, 0x7fffff, v119
                                        ; implicit-def: $vgpr42
	v_cmp_gt_u32_e64 s13, 0x71, v3
	v_sub_nc_u32_e32 v27, 0x70, v3
	v_cmp_eq_u32_e32 vcc_lo, 0, v3
	v_or_b32_e32 v30, 0x800000, v2
	v_add_nc_u32_e32 v3, 0xffffff91, v3
	v_cndmask_b32_e64 v27, 0, v27, s13
	v_cndmask_b32_e32 v2, v30, v2, vcc_lo
	v_cndmask_b32_e64 v3, v3, 0xffffff92, vcc_lo
	v_cndmask_b32_e64 v27, v27, 0x6f, vcc_lo
	v_lshl_add_u32 v30, 0x200000, v27, -1
	v_lshlrev_b32_e64 v40, v27, 0x100000
	v_and_b32_e32 v30, v30, v2
	v_lshrrev_b32_e32 v2, v27, v2
	v_add_nc_u32_e32 v27, v27, v3
	v_cmp_eq_u32_e64 s13, v30, v40
	v_lshrrev_b32_e32 v3, 23, v2
	v_xor_b32_e32 v30, 1, v3
	v_bfe_u32 v3, v2, 21, 1
	v_add_nc_u32_e32 v3, -1, v3
	v_cndmask_b32_e64 v3, 0, v3, s13
	s_mov_b32 s13, exec_lo
	v_add_nc_u32_e32 v3, v3, v2
	v_and_b32_e32 v3, 0x1fffff, v3
	v_add_nc_u32_e32 v40, v3, v2
	v_cmpx_ne_u32_e64 v27, v30
	s_xor_b32 s13, exec_lo, s13
; %bb.3728:                             ;   in Loop: Header=BB6_3661 Depth=2
	v_cmp_lt_u32_e32 vcc_lo, 0xffffff, v40
	v_sub_nc_u32_e32 v2, v27, v30
	v_cndmask_b32_e64 v3, 0, 1, vcc_lo
	v_add_co_ci_u32_e64 v42, null, 0, v2, vcc_lo
	v_lshrrev_b32_e32 v40, v3, v40
; %bb.3729:                             ;   in Loop: Header=BB6_3661 Depth=2
	s_andn2_saveexec_b32 s13, s13
; %bb.3730:                             ;   in Loop: Header=BB6_3661 Depth=2
	v_bfe_u32 v42, v40, 23, 1
; %bb.3731:                             ;   in Loop: Header=BB6_3661 Depth=2
	s_or_b32 exec_lo, exec_lo, s13
	v_lshrrev_b32_e32 v3, 21, v40
	v_cmp_gt_i32_e32 vcc_lo, 32, v42
	v_min_i32_e32 v27, 31, v42
	v_and_b32_sdwa v2, v119, v58 dst_sel:DWORD dst_unused:UNUSED_PAD src0_sel:BYTE_3 src1_sel:DWORD
	v_cndmask_b32_e32 v3, 3, v3, vcc_lo
	v_lshlrev_b32_e32 v27, 2, v27
	v_or_b32_e32 v30, v42, v3
	v_and_b32_e32 v3, 3, v3
	v_cmp_ne_u32_e32 vcc_lo, 0, v30
	v_or3_b32 v2, v27, v2, v3
	v_cndmask_b32_e32 v27, 0, v2, vcc_lo
.LBB6_3732:                             ;   in Loop: Header=BB6_3661 Depth=2
	s_or_b32 exec_lo, exec_lo, s41
.LBB6_3733:                             ;   in Loop: Header=BB6_3661 Depth=2
	s_or_b32 exec_lo, exec_lo, s40
	v_cmp_gt_i16_sdwa s40, v124, v57 src0_sel:BYTE_0 src1_sel:DWORD
	s_andn2_b32 vcc_lo, exec_lo, s28
	s_mov_b32 s13, -1
                                        ; implicit-def: $vgpr119
	s_cbranch_vccnz .LBB6_3747
; %bb.3734:                             ;   in Loop: Header=BB6_3661 Depth=2
	s_mov_b32 s13, 0
	s_and_saveexec_b32 s41, s40
	s_xor_b32 s40, exec_lo, s41
	s_cbranch_execz .LBB6_4827
; %bb.3735:                             ;   in Loop: Header=BB6_3661 Depth=2
	v_cmp_eq_u16_sdwa s42, v124, v58 src0_sel:BYTE_0 src1_sel:DWORD
	s_mov_b32 s13, -1
	s_and_saveexec_b32 s41, s42
; %bb.3736:                             ;   in Loop: Header=BB6_3661 Depth=2
	s_xor_b32 s13, exec_lo, -1
; %bb.3737:                             ;   in Loop: Header=BB6_3661 Depth=2
	s_or_b32 exec_lo, exec_lo, s41
	s_and_b32 s13, s13, exec_lo
	s_or_saveexec_b32 s40, s40
	v_mov_b32_e32 v119, 0x7f800001
	s_xor_b32 exec_lo, exec_lo, s40
	s_cbranch_execnz .LBB6_4828
.LBB6_3738:                             ;   in Loop: Header=BB6_3661 Depth=2
	s_or_b32 exec_lo, exec_lo, s40
	s_and_saveexec_b32 s40, s13
	s_cbranch_execz .LBB6_3740
.LBB6_3739:                             ;   in Loop: Header=BB6_3661 Depth=2
	v_and_b32_e32 v2, 3, v124
	v_lshrrev_b16 v30, 2, v124
	v_lshlrev_b32_e32 v40, 24, v124
	v_ffbh_u32_e32 v3, v2
	v_and_b32_e32 v30, 31, v30
	v_min_u32_e32 v3, 32, v3
	v_cmp_eq_u32_e32 vcc_lo, 0, v30
	v_subrev_nc_u32_e32 v119, 29, v3
	v_sub_nc_u32_e32 v3, 30, v3
	v_lshlrev_b32_e32 v119, v119, v124
	v_cndmask_b32_e32 v3, v30, v3, vcc_lo
	v_and_b32_e32 v30, 0x80000000, v40
	v_and_b32_e32 v119, 3, v119
	v_lshl_add_u32 v3, v3, 23, 0x37800000
	v_cndmask_b32_e32 v2, v2, v119, vcc_lo
	v_lshlrev_b32_e32 v2, 21, v2
	v_or3_b32 v119, v30, v3, v2
.LBB6_3740:                             ;   in Loop: Header=BB6_3661 Depth=2
	s_or_b32 exec_lo, exec_lo, s40
	s_waitcnt vmcnt(29) lgkmcnt(29)
	v_cmp_gt_i16_sdwa s40, v33, v57 src0_sel:BYTE_0 src1_sel:DWORD
	s_mov_b32 s13, 0
	s_and_saveexec_b32 s41, s40
	s_xor_b32 s40, exec_lo, s41
	s_cbranch_execz .LBB6_4829
; %bb.3741:                             ;   in Loop: Header=BB6_3661 Depth=2
	v_cmp_eq_u16_sdwa s42, v33, v58 src0_sel:BYTE_0 src1_sel:DWORD
	s_mov_b32 s13, -1
	s_and_saveexec_b32 s41, s42
; %bb.3742:                             ;   in Loop: Header=BB6_3661 Depth=2
	s_xor_b32 s13, exec_lo, -1
; %bb.3743:                             ;   in Loop: Header=BB6_3661 Depth=2
	s_or_b32 exec_lo, exec_lo, s41
	s_and_b32 s13, s13, exec_lo
	s_or_saveexec_b32 s40, s40
	v_mov_b32_e32 v2, 0x7f800001
	s_xor_b32 exec_lo, exec_lo, s40
	s_cbranch_execnz .LBB6_4830
.LBB6_3744:                             ;   in Loop: Header=BB6_3661 Depth=2
	s_or_b32 exec_lo, exec_lo, s40
	s_and_saveexec_b32 s40, s13
	s_cbranch_execz .LBB6_3746
.LBB6_3745:                             ;   in Loop: Header=BB6_3661 Depth=2
	v_and_b32_e32 v2, 3, v33
	v_lshrrev_b16 v30, 2, v33
	v_lshlrev_b32_e32 v42, 24, v33
	v_ffbh_u32_e32 v3, v2
	v_and_b32_e32 v30, 31, v30
	v_min_u32_e32 v3, 32, v3
	v_cmp_eq_u32_e32 vcc_lo, 0, v30
	v_subrev_nc_u32_e32 v40, 29, v3
	v_sub_nc_u32_e32 v3, 30, v3
	v_lshlrev_b32_e32 v40, v40, v33
	v_cndmask_b32_e32 v3, v30, v3, vcc_lo
	v_and_b32_e32 v30, 0x80000000, v42
	v_and_b32_e32 v40, 3, v40
	v_lshl_add_u32 v3, v3, 23, 0x37800000
	v_cndmask_b32_e32 v2, v2, v40, vcc_lo
	v_lshlrev_b32_e32 v2, 21, v2
	v_or3_b32 v2, v30, v3, v2
.LBB6_3746:                             ;   in Loop: Header=BB6_3661 Depth=2
	s_or_b32 exec_lo, exec_lo, s40
	v_max_f32_e32 v2, v2, v2
	v_max_f32_e32 v3, v119, v119
	s_mov_b32 s13, 0
	v_max_f32_e32 v119, v3, v2
.LBB6_3747:                             ;   in Loop: Header=BB6_3661 Depth=2
	s_and_b32 vcc_lo, exec_lo, s13
	s_cbranch_vccz .LBB6_3761
; %bb.3748:                             ;   in Loop: Header=BB6_3661 Depth=2
	v_cmp_gt_i16_sdwa s40, v124, v57 src0_sel:BYTE_0 src1_sel:DWORD
	s_mov_b32 s13, 0
	s_and_saveexec_b32 s41, s40
	s_xor_b32 s40, exec_lo, s41
	s_cbranch_execz .LBB6_4831
; %bb.3749:                             ;   in Loop: Header=BB6_3661 Depth=2
	v_cmp_eq_u16_sdwa s42, v124, v58 src0_sel:BYTE_0 src1_sel:DWORD
	s_mov_b32 s13, -1
	s_and_saveexec_b32 s41, s42
; %bb.3750:                             ;   in Loop: Header=BB6_3661 Depth=2
	s_xor_b32 s13, exec_lo, -1
; %bb.3751:                             ;   in Loop: Header=BB6_3661 Depth=2
	s_or_b32 exec_lo, exec_lo, s41
	s_and_b32 s13, s13, exec_lo
	s_or_saveexec_b32 s40, s40
	v_mov_b32_e32 v119, 0x7f800001
	s_xor_b32 exec_lo, exec_lo, s40
	s_cbranch_execnz .LBB6_4832
.LBB6_3752:                             ;   in Loop: Header=BB6_3661 Depth=2
	s_or_b32 exec_lo, exec_lo, s40
	s_and_saveexec_b32 s40, s13
	s_cbranch_execz .LBB6_3754
.LBB6_3753:                             ;   in Loop: Header=BB6_3661 Depth=2
	v_and_b32_e32 v2, 3, v124
	v_lshrrev_b16 v30, 2, v124
	v_lshlrev_b32_e32 v40, 24, v124
	v_ffbh_u32_e32 v3, v2
	v_and_b32_e32 v30, 31, v30
	v_min_u32_e32 v3, 32, v3
	v_cmp_eq_u32_e32 vcc_lo, 0, v30
	v_subrev_nc_u32_e32 v119, 29, v3
	v_sub_nc_u32_e32 v3, 30, v3
	v_lshlrev_b32_e32 v119, v119, v124
	v_cndmask_b32_e32 v3, v30, v3, vcc_lo
	v_and_b32_e32 v30, 0x80000000, v40
	v_and_b32_e32 v119, 3, v119
	v_lshl_add_u32 v3, v3, 23, 0x37800000
	v_cndmask_b32_e32 v2, v2, v119, vcc_lo
	v_lshlrev_b32_e32 v2, 21, v2
	v_or3_b32 v119, v30, v3, v2
.LBB6_3754:                             ;   in Loop: Header=BB6_3661 Depth=2
	s_or_b32 exec_lo, exec_lo, s40
	s_waitcnt vmcnt(29) lgkmcnt(29)
	v_cmp_gt_i16_sdwa s40, v33, v57 src0_sel:BYTE_0 src1_sel:DWORD
	s_mov_b32 s13, 0
	s_and_saveexec_b32 s41, s40
	s_xor_b32 s40, exec_lo, s41
	s_cbranch_execz .LBB6_4833
; %bb.3755:                             ;   in Loop: Header=BB6_3661 Depth=2
	v_cmp_eq_u16_sdwa s42, v33, v58 src0_sel:BYTE_0 src1_sel:DWORD
	s_mov_b32 s13, -1
	s_and_saveexec_b32 s41, s42
; %bb.3756:                             ;   in Loop: Header=BB6_3661 Depth=2
	s_xor_b32 s13, exec_lo, -1
; %bb.3757:                             ;   in Loop: Header=BB6_3661 Depth=2
	s_or_b32 exec_lo, exec_lo, s41
	s_and_b32 s13, s13, exec_lo
	s_or_saveexec_b32 s40, s40
	v_mov_b32_e32 v2, 0x7f800001
	s_xor_b32 exec_lo, exec_lo, s40
	s_cbranch_execnz .LBB6_4834
.LBB6_3758:                             ;   in Loop: Header=BB6_3661 Depth=2
	s_or_b32 exec_lo, exec_lo, s40
	s_and_saveexec_b32 s40, s13
	s_cbranch_execz .LBB6_3760
.LBB6_3759:                             ;   in Loop: Header=BB6_3661 Depth=2
	v_and_b32_e32 v2, 3, v33
	v_lshrrev_b16 v30, 2, v33
	v_ffbh_u32_e32 v3, v2
	v_and_b32_e32 v30, 31, v30
	v_min_u32_e32 v3, 32, v3
	v_cmp_eq_u32_e32 vcc_lo, 0, v30
	v_subrev_nc_u32_e32 v40, 29, v3
	v_sub_nc_u32_e32 v3, 30, v3
	v_lshlrev_b32_e32 v40, v40, v33
	v_lshlrev_b32_e32 v33, 24, v33
	v_cndmask_b32_e32 v3, v30, v3, vcc_lo
	v_and_b32_e32 v40, 3, v40
	v_and_b32_e32 v30, 0x80000000, v33
	v_lshl_add_u32 v3, v3, 23, 0x37800000
	v_cndmask_b32_e32 v2, v2, v40, vcc_lo
	v_lshlrev_b32_e32 v2, 21, v2
	v_or3_b32 v2, v30, v3, v2
.LBB6_3760:                             ;   in Loop: Header=BB6_3661 Depth=2
	s_or_b32 exec_lo, exec_lo, s40
	v_max_f32_e32 v2, v2, v2
	v_max_f32_e32 v3, v119, v119
	v_min_f32_e32 v119, v3, v2
.LBB6_3761:                             ;   in Loop: Header=BB6_3661 Depth=2
	v_and_b32_e32 v2, 0x7f800000, v119
	s_waitcnt vmcnt(29) lgkmcnt(29)
	v_mov_b32_e32 v33, 0x80
	s_mov_b32 s40, exec_lo
	v_cmpx_ne_u32_e32 0x7f800000, v2
	s_cbranch_execz .LBB6_3769
; %bb.3762:                             ;   in Loop: Header=BB6_3661 Depth=2
	v_mov_b32_e32 v33, 0
	s_mov_b32 s41, exec_lo
	v_cmpx_ne_u32_e32 0, v119
	s_cbranch_execz .LBB6_3768
; %bb.3763:                             ;   in Loop: Header=BB6_3661 Depth=2
	v_bfe_u32 v3, v119, 23, 8
	v_and_b32_e32 v2, 0x7fffff, v119
                                        ; implicit-def: $vgpr42
	v_cmp_gt_u32_e64 s13, 0x71, v3
	v_sub_nc_u32_e32 v30, 0x70, v3
	v_cmp_eq_u32_e32 vcc_lo, 0, v3
	v_or_b32_e32 v33, 0x800000, v2
	v_add_nc_u32_e32 v3, 0xffffff91, v3
	v_cndmask_b32_e64 v30, 0, v30, s13
	v_cndmask_b32_e32 v2, v33, v2, vcc_lo
	v_cndmask_b32_e64 v3, v3, 0xffffff92, vcc_lo
	v_cndmask_b32_e64 v30, v30, 0x6f, vcc_lo
	v_lshl_add_u32 v33, 0x200000, v30, -1
	v_lshlrev_b32_e64 v40, v30, 0x100000
	v_and_b32_e32 v33, v33, v2
	v_lshrrev_b32_e32 v2, v30, v2
	v_cmp_eq_u32_e64 s13, v33, v40
	v_add_nc_u32_e32 v33, v30, v3
	v_lshrrev_b32_e32 v3, 23, v2
	v_xor_b32_e32 v30, 1, v3
	v_bfe_u32 v3, v2, 21, 1
	v_add_nc_u32_e32 v3, -1, v3
	v_cndmask_b32_e64 v3, 0, v3, s13
	s_mov_b32 s13, exec_lo
	v_add_nc_u32_e32 v3, v3, v2
	v_and_b32_e32 v3, 0x1fffff, v3
	v_add_nc_u32_e32 v40, v3, v2
	v_cmpx_ne_u32_e64 v33, v30
	s_xor_b32 s13, exec_lo, s13
; %bb.3764:                             ;   in Loop: Header=BB6_3661 Depth=2
	v_cmp_lt_u32_e32 vcc_lo, 0xffffff, v40
	v_sub_nc_u32_e32 v2, v33, v30
	v_cndmask_b32_e64 v3, 0, 1, vcc_lo
	v_add_co_ci_u32_e64 v42, null, 0, v2, vcc_lo
	v_lshrrev_b32_e32 v40, v3, v40
; %bb.3765:                             ;   in Loop: Header=BB6_3661 Depth=2
	s_andn2_saveexec_b32 s13, s13
; %bb.3766:                             ;   in Loop: Header=BB6_3661 Depth=2
	v_bfe_u32 v42, v40, 23, 1
; %bb.3767:                             ;   in Loop: Header=BB6_3661 Depth=2
	s_or_b32 exec_lo, exec_lo, s13
	v_lshrrev_b32_e32 v3, 21, v40
	v_cmp_gt_i32_e32 vcc_lo, 32, v42
	v_min_i32_e32 v30, 31, v42
	v_and_b32_sdwa v2, v119, v58 dst_sel:DWORD dst_unused:UNUSED_PAD src0_sel:BYTE_3 src1_sel:DWORD
	v_cndmask_b32_e32 v3, 3, v3, vcc_lo
	v_lshlrev_b32_e32 v30, 2, v30
	v_or_b32_e32 v33, v42, v3
	v_and_b32_e32 v3, 3, v3
	v_cmp_ne_u32_e32 vcc_lo, 0, v33
	v_or3_b32 v2, v30, v2, v3
	v_cndmask_b32_e32 v33, 0, v2, vcc_lo
.LBB6_3768:                             ;   in Loop: Header=BB6_3661 Depth=2
	s_or_b32 exec_lo, exec_lo, s41
.LBB6_3769:                             ;   in Loop: Header=BB6_3661 Depth=2
	s_or_b32 exec_lo, exec_lo, s40
	v_cmp_gt_i16_sdwa s40, v123, v57 src0_sel:BYTE_0 src1_sel:DWORD
	s_andn2_b32 vcc_lo, exec_lo, s28
	s_mov_b32 s13, -1
                                        ; implicit-def: $vgpr119
	s_cbranch_vccnz .LBB6_3783
; %bb.3770:                             ;   in Loop: Header=BB6_3661 Depth=2
	s_mov_b32 s13, 0
	s_and_saveexec_b32 s41, s40
	s_xor_b32 s40, exec_lo, s41
	s_cbranch_execz .LBB6_4835
; %bb.3771:                             ;   in Loop: Header=BB6_3661 Depth=2
	v_cmp_eq_u16_sdwa s42, v123, v58 src0_sel:BYTE_0 src1_sel:DWORD
	s_mov_b32 s13, -1
	s_and_saveexec_b32 s41, s42
; %bb.3772:                             ;   in Loop: Header=BB6_3661 Depth=2
	s_xor_b32 s13, exec_lo, -1
; %bb.3773:                             ;   in Loop: Header=BB6_3661 Depth=2
	s_or_b32 exec_lo, exec_lo, s41
	s_and_b32 s13, s13, exec_lo
	s_or_saveexec_b32 s40, s40
	v_mov_b32_e32 v119, 0x7f800001
	s_xor_b32 exec_lo, exec_lo, s40
	s_cbranch_execnz .LBB6_4836
.LBB6_3774:                             ;   in Loop: Header=BB6_3661 Depth=2
	s_or_b32 exec_lo, exec_lo, s40
	s_and_saveexec_b32 s40, s13
	s_cbranch_execz .LBB6_3776
.LBB6_3775:                             ;   in Loop: Header=BB6_3661 Depth=2
	v_and_b32_e32 v2, 3, v123
	v_lshrrev_b16 v30, 2, v123
	v_lshlrev_b32_e32 v40, 24, v123
	v_ffbh_u32_e32 v3, v2
	v_and_b32_e32 v30, 31, v30
	v_min_u32_e32 v3, 32, v3
	v_cmp_eq_u32_e32 vcc_lo, 0, v30
	v_subrev_nc_u32_e32 v119, 29, v3
	v_sub_nc_u32_e32 v3, 30, v3
	v_lshlrev_b32_e32 v119, v119, v123
	v_cndmask_b32_e32 v3, v30, v3, vcc_lo
	v_and_b32_e32 v30, 0x80000000, v40
	v_and_b32_e32 v119, 3, v119
	v_lshl_add_u32 v3, v3, 23, 0x37800000
	v_cndmask_b32_e32 v2, v2, v119, vcc_lo
	v_lshlrev_b32_e32 v2, 21, v2
	v_or3_b32 v119, v30, v3, v2
.LBB6_3776:                             ;   in Loop: Header=BB6_3661 Depth=2
	s_or_b32 exec_lo, exec_lo, s40
	s_waitcnt vmcnt(28) lgkmcnt(28)
	v_cmp_gt_i16_sdwa s40, v36, v57 src0_sel:BYTE_0 src1_sel:DWORD
	s_mov_b32 s13, 0
	s_and_saveexec_b32 s41, s40
	s_xor_b32 s40, exec_lo, s41
	s_cbranch_execz .LBB6_4837
; %bb.3777:                             ;   in Loop: Header=BB6_3661 Depth=2
	v_cmp_eq_u16_sdwa s42, v36, v58 src0_sel:BYTE_0 src1_sel:DWORD
	s_mov_b32 s13, -1
	s_and_saveexec_b32 s41, s42
; %bb.3778:                             ;   in Loop: Header=BB6_3661 Depth=2
	s_xor_b32 s13, exec_lo, -1
; %bb.3779:                             ;   in Loop: Header=BB6_3661 Depth=2
	s_or_b32 exec_lo, exec_lo, s41
	s_and_b32 s13, s13, exec_lo
	s_or_saveexec_b32 s40, s40
	v_mov_b32_e32 v2, 0x7f800001
	s_xor_b32 exec_lo, exec_lo, s40
	s_cbranch_execnz .LBB6_4838
.LBB6_3780:                             ;   in Loop: Header=BB6_3661 Depth=2
	s_or_b32 exec_lo, exec_lo, s40
	s_and_saveexec_b32 s40, s13
	s_cbranch_execz .LBB6_3782
.LBB6_3781:                             ;   in Loop: Header=BB6_3661 Depth=2
	v_and_b32_e32 v2, 3, v36
	v_lshrrev_b16 v30, 2, v36
	v_lshlrev_b32_e32 v42, 24, v36
	v_ffbh_u32_e32 v3, v2
	v_and_b32_e32 v30, 31, v30
	v_min_u32_e32 v3, 32, v3
	v_cmp_eq_u32_e32 vcc_lo, 0, v30
	v_subrev_nc_u32_e32 v40, 29, v3
	v_sub_nc_u32_e32 v3, 30, v3
	v_lshlrev_b32_e32 v40, v40, v36
	v_cndmask_b32_e32 v3, v30, v3, vcc_lo
	v_and_b32_e32 v30, 0x80000000, v42
	v_and_b32_e32 v40, 3, v40
	v_lshl_add_u32 v3, v3, 23, 0x37800000
	v_cndmask_b32_e32 v2, v2, v40, vcc_lo
	v_lshlrev_b32_e32 v2, 21, v2
	v_or3_b32 v2, v30, v3, v2
.LBB6_3782:                             ;   in Loop: Header=BB6_3661 Depth=2
	s_or_b32 exec_lo, exec_lo, s40
	v_max_f32_e32 v2, v2, v2
	v_max_f32_e32 v3, v119, v119
	s_mov_b32 s13, 0
	v_max_f32_e32 v119, v3, v2
.LBB6_3783:                             ;   in Loop: Header=BB6_3661 Depth=2
	s_and_b32 vcc_lo, exec_lo, s13
	s_cbranch_vccz .LBB6_3797
; %bb.3784:                             ;   in Loop: Header=BB6_3661 Depth=2
	v_cmp_gt_i16_sdwa s40, v123, v57 src0_sel:BYTE_0 src1_sel:DWORD
	s_mov_b32 s13, 0
	s_and_saveexec_b32 s41, s40
	s_xor_b32 s40, exec_lo, s41
	s_cbranch_execz .LBB6_4839
; %bb.3785:                             ;   in Loop: Header=BB6_3661 Depth=2
	v_cmp_eq_u16_sdwa s42, v123, v58 src0_sel:BYTE_0 src1_sel:DWORD
	s_mov_b32 s13, -1
	s_and_saveexec_b32 s41, s42
; %bb.3786:                             ;   in Loop: Header=BB6_3661 Depth=2
	s_xor_b32 s13, exec_lo, -1
; %bb.3787:                             ;   in Loop: Header=BB6_3661 Depth=2
	s_or_b32 exec_lo, exec_lo, s41
	s_and_b32 s13, s13, exec_lo
	s_or_saveexec_b32 s40, s40
	v_mov_b32_e32 v119, 0x7f800001
	s_xor_b32 exec_lo, exec_lo, s40
	s_cbranch_execnz .LBB6_4840
.LBB6_3788:                             ;   in Loop: Header=BB6_3661 Depth=2
	s_or_b32 exec_lo, exec_lo, s40
	s_and_saveexec_b32 s40, s13
	s_cbranch_execz .LBB6_3790
.LBB6_3789:                             ;   in Loop: Header=BB6_3661 Depth=2
	v_and_b32_e32 v2, 3, v123
	v_lshrrev_b16 v30, 2, v123
	v_lshlrev_b32_e32 v40, 24, v123
	v_ffbh_u32_e32 v3, v2
	v_and_b32_e32 v30, 31, v30
	v_min_u32_e32 v3, 32, v3
	v_cmp_eq_u32_e32 vcc_lo, 0, v30
	v_subrev_nc_u32_e32 v119, 29, v3
	v_sub_nc_u32_e32 v3, 30, v3
	v_lshlrev_b32_e32 v119, v119, v123
	v_cndmask_b32_e32 v3, v30, v3, vcc_lo
	v_and_b32_e32 v30, 0x80000000, v40
	v_and_b32_e32 v119, 3, v119
	v_lshl_add_u32 v3, v3, 23, 0x37800000
	v_cndmask_b32_e32 v2, v2, v119, vcc_lo
	v_lshlrev_b32_e32 v2, 21, v2
	v_or3_b32 v119, v30, v3, v2
.LBB6_3790:                             ;   in Loop: Header=BB6_3661 Depth=2
	s_or_b32 exec_lo, exec_lo, s40
	s_waitcnt vmcnt(28) lgkmcnt(28)
	v_cmp_gt_i16_sdwa s40, v36, v57 src0_sel:BYTE_0 src1_sel:DWORD
	s_mov_b32 s13, 0
	s_and_saveexec_b32 s41, s40
	s_xor_b32 s40, exec_lo, s41
	s_cbranch_execz .LBB6_4841
; %bb.3791:                             ;   in Loop: Header=BB6_3661 Depth=2
	v_cmp_eq_u16_sdwa s42, v36, v58 src0_sel:BYTE_0 src1_sel:DWORD
	s_mov_b32 s13, -1
	s_and_saveexec_b32 s41, s42
; %bb.3792:                             ;   in Loop: Header=BB6_3661 Depth=2
	s_xor_b32 s13, exec_lo, -1
; %bb.3793:                             ;   in Loop: Header=BB6_3661 Depth=2
	s_or_b32 exec_lo, exec_lo, s41
	s_and_b32 s13, s13, exec_lo
	s_or_saveexec_b32 s40, s40
	v_mov_b32_e32 v2, 0x7f800001
	s_xor_b32 exec_lo, exec_lo, s40
	s_cbranch_execnz .LBB6_4842
.LBB6_3794:                             ;   in Loop: Header=BB6_3661 Depth=2
	s_or_b32 exec_lo, exec_lo, s40
	s_and_saveexec_b32 s40, s13
	s_cbranch_execz .LBB6_3796
.LBB6_3795:                             ;   in Loop: Header=BB6_3661 Depth=2
	v_and_b32_e32 v2, 3, v36
	v_lshrrev_b16 v30, 2, v36
	v_ffbh_u32_e32 v3, v2
	v_and_b32_e32 v30, 31, v30
	v_min_u32_e32 v3, 32, v3
	v_cmp_eq_u32_e32 vcc_lo, 0, v30
	v_subrev_nc_u32_e32 v40, 29, v3
	v_sub_nc_u32_e32 v3, 30, v3
	v_lshlrev_b32_e32 v40, v40, v36
	v_lshlrev_b32_e32 v36, 24, v36
	v_cndmask_b32_e32 v3, v30, v3, vcc_lo
	v_and_b32_e32 v40, 3, v40
	v_and_b32_e32 v30, 0x80000000, v36
	v_lshl_add_u32 v3, v3, 23, 0x37800000
	v_cndmask_b32_e32 v2, v2, v40, vcc_lo
	v_lshlrev_b32_e32 v2, 21, v2
	v_or3_b32 v2, v30, v3, v2
.LBB6_3796:                             ;   in Loop: Header=BB6_3661 Depth=2
	s_or_b32 exec_lo, exec_lo, s40
	v_max_f32_e32 v2, v2, v2
	v_max_f32_e32 v3, v119, v119
	v_min_f32_e32 v119, v3, v2
.LBB6_3797:                             ;   in Loop: Header=BB6_3661 Depth=2
	v_and_b32_e32 v2, 0x7f800000, v119
	s_waitcnt vmcnt(28) lgkmcnt(28)
	v_mov_b32_e32 v36, 0x80
	s_mov_b32 s40, exec_lo
	v_cmpx_ne_u32_e32 0x7f800000, v2
	s_cbranch_execz .LBB6_3805
; %bb.3798:                             ;   in Loop: Header=BB6_3661 Depth=2
	v_mov_b32_e32 v36, 0
	s_mov_b32 s41, exec_lo
	v_cmpx_ne_u32_e32 0, v119
	s_cbranch_execz .LBB6_3804
; %bb.3799:                             ;   in Loop: Header=BB6_3661 Depth=2
	v_bfe_u32 v3, v119, 23, 8
	v_and_b32_e32 v2, 0x7fffff, v119
                                        ; implicit-def: $vgpr42
	v_cmp_gt_u32_e64 s13, 0x71, v3
	v_sub_nc_u32_e32 v30, 0x70, v3
	v_cmp_eq_u32_e32 vcc_lo, 0, v3
	v_or_b32_e32 v36, 0x800000, v2
	v_add_nc_u32_e32 v3, 0xffffff91, v3
	v_cndmask_b32_e64 v30, 0, v30, s13
	v_cndmask_b32_e32 v2, v36, v2, vcc_lo
	v_cndmask_b32_e64 v3, v3, 0xffffff92, vcc_lo
	v_cndmask_b32_e64 v30, v30, 0x6f, vcc_lo
	v_lshl_add_u32 v36, 0x200000, v30, -1
	v_lshlrev_b32_e64 v40, v30, 0x100000
	v_and_b32_e32 v36, v36, v2
	v_lshrrev_b32_e32 v2, v30, v2
	v_cmp_eq_u32_e64 s13, v36, v40
	v_add_nc_u32_e32 v36, v30, v3
	v_lshrrev_b32_e32 v3, 23, v2
	v_xor_b32_e32 v30, 1, v3
	v_bfe_u32 v3, v2, 21, 1
	v_add_nc_u32_e32 v3, -1, v3
	v_cndmask_b32_e64 v3, 0, v3, s13
	s_mov_b32 s13, exec_lo
	v_add_nc_u32_e32 v3, v3, v2
	v_and_b32_e32 v3, 0x1fffff, v3
	v_add_nc_u32_e32 v40, v3, v2
	v_cmpx_ne_u32_e64 v36, v30
	s_xor_b32 s13, exec_lo, s13
; %bb.3800:                             ;   in Loop: Header=BB6_3661 Depth=2
	v_cmp_lt_u32_e32 vcc_lo, 0xffffff, v40
	v_sub_nc_u32_e32 v2, v36, v30
	v_cndmask_b32_e64 v3, 0, 1, vcc_lo
	v_add_co_ci_u32_e64 v42, null, 0, v2, vcc_lo
	v_lshrrev_b32_e32 v40, v3, v40
; %bb.3801:                             ;   in Loop: Header=BB6_3661 Depth=2
	s_andn2_saveexec_b32 s13, s13
; %bb.3802:                             ;   in Loop: Header=BB6_3661 Depth=2
	v_bfe_u32 v42, v40, 23, 1
; %bb.3803:                             ;   in Loop: Header=BB6_3661 Depth=2
	s_or_b32 exec_lo, exec_lo, s13
	v_lshrrev_b32_e32 v3, 21, v40
	v_cmp_gt_i32_e32 vcc_lo, 32, v42
	v_min_i32_e32 v30, 31, v42
	v_and_b32_sdwa v2, v119, v58 dst_sel:DWORD dst_unused:UNUSED_PAD src0_sel:BYTE_3 src1_sel:DWORD
	v_cndmask_b32_e32 v3, 3, v3, vcc_lo
	v_lshlrev_b32_e32 v30, 2, v30
	v_or_b32_e32 v36, v42, v3
	v_and_b32_e32 v3, 3, v3
	v_cmp_ne_u32_e32 vcc_lo, 0, v36
	v_or3_b32 v2, v30, v2, v3
	v_cndmask_b32_e32 v36, 0, v2, vcc_lo
.LBB6_3804:                             ;   in Loop: Header=BB6_3661 Depth=2
	s_or_b32 exec_lo, exec_lo, s41
.LBB6_3805:                             ;   in Loop: Header=BB6_3661 Depth=2
	s_or_b32 exec_lo, exec_lo, s40
	v_cmp_gt_i16_sdwa s40, v122, v57 src0_sel:BYTE_0 src1_sel:DWORD
	s_andn2_b32 vcc_lo, exec_lo, s28
	s_mov_b32 s13, -1
                                        ; implicit-def: $vgpr119
	s_cbranch_vccnz .LBB6_3819
; %bb.3806:                             ;   in Loop: Header=BB6_3661 Depth=2
	s_mov_b32 s13, 0
	s_and_saveexec_b32 s41, s40
	s_xor_b32 s40, exec_lo, s41
	s_cbranch_execz .LBB6_4843
; %bb.3807:                             ;   in Loop: Header=BB6_3661 Depth=2
	v_cmp_eq_u16_sdwa s42, v122, v58 src0_sel:BYTE_0 src1_sel:DWORD
	s_mov_b32 s13, -1
	s_and_saveexec_b32 s41, s42
; %bb.3808:                             ;   in Loop: Header=BB6_3661 Depth=2
	s_xor_b32 s13, exec_lo, -1
; %bb.3809:                             ;   in Loop: Header=BB6_3661 Depth=2
	s_or_b32 exec_lo, exec_lo, s41
	s_and_b32 s13, s13, exec_lo
	s_or_saveexec_b32 s40, s40
	v_mov_b32_e32 v119, 0x7f800001
	s_xor_b32 exec_lo, exec_lo, s40
	s_cbranch_execnz .LBB6_4844
.LBB6_3810:                             ;   in Loop: Header=BB6_3661 Depth=2
	s_or_b32 exec_lo, exec_lo, s40
	s_and_saveexec_b32 s40, s13
	s_cbranch_execz .LBB6_3812
.LBB6_3811:                             ;   in Loop: Header=BB6_3661 Depth=2
	v_and_b32_e32 v2, 3, v122
	v_lshrrev_b16 v30, 2, v122
	v_lshlrev_b32_e32 v40, 24, v122
	v_ffbh_u32_e32 v3, v2
	v_and_b32_e32 v30, 31, v30
	v_min_u32_e32 v3, 32, v3
	v_cmp_eq_u32_e32 vcc_lo, 0, v30
	v_subrev_nc_u32_e32 v119, 29, v3
	v_sub_nc_u32_e32 v3, 30, v3
	v_lshlrev_b32_e32 v119, v119, v122
	v_cndmask_b32_e32 v3, v30, v3, vcc_lo
	v_and_b32_e32 v30, 0x80000000, v40
	v_and_b32_e32 v119, 3, v119
	v_lshl_add_u32 v3, v3, 23, 0x37800000
	v_cndmask_b32_e32 v2, v2, v119, vcc_lo
	v_lshlrev_b32_e32 v2, 21, v2
	v_or3_b32 v119, v30, v3, v2
.LBB6_3812:                             ;   in Loop: Header=BB6_3661 Depth=2
	s_or_b32 exec_lo, exec_lo, s40
	s_waitcnt vmcnt(27) lgkmcnt(27)
	v_cmp_gt_i16_sdwa s40, v39, v57 src0_sel:BYTE_0 src1_sel:DWORD
	s_mov_b32 s13, 0
	s_and_saveexec_b32 s41, s40
	s_xor_b32 s40, exec_lo, s41
	s_cbranch_execz .LBB6_4845
; %bb.3813:                             ;   in Loop: Header=BB6_3661 Depth=2
	v_cmp_eq_u16_sdwa s42, v39, v58 src0_sel:BYTE_0 src1_sel:DWORD
	s_mov_b32 s13, -1
	s_and_saveexec_b32 s41, s42
; %bb.3814:                             ;   in Loop: Header=BB6_3661 Depth=2
	s_xor_b32 s13, exec_lo, -1
; %bb.3815:                             ;   in Loop: Header=BB6_3661 Depth=2
	s_or_b32 exec_lo, exec_lo, s41
	s_and_b32 s13, s13, exec_lo
	s_or_saveexec_b32 s40, s40
	v_mov_b32_e32 v2, 0x7f800001
	s_xor_b32 exec_lo, exec_lo, s40
	s_cbranch_execnz .LBB6_4846
.LBB6_3816:                             ;   in Loop: Header=BB6_3661 Depth=2
	s_or_b32 exec_lo, exec_lo, s40
	s_and_saveexec_b32 s40, s13
	s_cbranch_execz .LBB6_3818
.LBB6_3817:                             ;   in Loop: Header=BB6_3661 Depth=2
	v_and_b32_e32 v2, 3, v39
	v_lshrrev_b16 v30, 2, v39
	v_lshlrev_b32_e32 v42, 24, v39
	v_ffbh_u32_e32 v3, v2
	v_and_b32_e32 v30, 31, v30
	v_min_u32_e32 v3, 32, v3
	v_cmp_eq_u32_e32 vcc_lo, 0, v30
	v_subrev_nc_u32_e32 v40, 29, v3
	v_sub_nc_u32_e32 v3, 30, v3
	v_lshlrev_b32_e32 v40, v40, v39
	v_cndmask_b32_e32 v3, v30, v3, vcc_lo
	v_and_b32_e32 v30, 0x80000000, v42
	v_and_b32_e32 v40, 3, v40
	v_lshl_add_u32 v3, v3, 23, 0x37800000
	v_cndmask_b32_e32 v2, v2, v40, vcc_lo
	v_lshlrev_b32_e32 v2, 21, v2
	v_or3_b32 v2, v30, v3, v2
.LBB6_3818:                             ;   in Loop: Header=BB6_3661 Depth=2
	s_or_b32 exec_lo, exec_lo, s40
	v_max_f32_e32 v2, v2, v2
	v_max_f32_e32 v3, v119, v119
	s_mov_b32 s13, 0
	v_max_f32_e32 v119, v3, v2
.LBB6_3819:                             ;   in Loop: Header=BB6_3661 Depth=2
	s_and_b32 vcc_lo, exec_lo, s13
	s_cbranch_vccz .LBB6_3833
; %bb.3820:                             ;   in Loop: Header=BB6_3661 Depth=2
	v_cmp_gt_i16_sdwa s40, v122, v57 src0_sel:BYTE_0 src1_sel:DWORD
	s_mov_b32 s13, 0
	s_and_saveexec_b32 s41, s40
	s_xor_b32 s40, exec_lo, s41
	s_cbranch_execz .LBB6_4847
; %bb.3821:                             ;   in Loop: Header=BB6_3661 Depth=2
	v_cmp_eq_u16_sdwa s42, v122, v58 src0_sel:BYTE_0 src1_sel:DWORD
	s_mov_b32 s13, -1
	s_and_saveexec_b32 s41, s42
; %bb.3822:                             ;   in Loop: Header=BB6_3661 Depth=2
	s_xor_b32 s13, exec_lo, -1
; %bb.3823:                             ;   in Loop: Header=BB6_3661 Depth=2
	s_or_b32 exec_lo, exec_lo, s41
	s_and_b32 s13, s13, exec_lo
	s_or_saveexec_b32 s40, s40
	v_mov_b32_e32 v119, 0x7f800001
	s_xor_b32 exec_lo, exec_lo, s40
	s_cbranch_execnz .LBB6_4848
.LBB6_3824:                             ;   in Loop: Header=BB6_3661 Depth=2
	s_or_b32 exec_lo, exec_lo, s40
	s_and_saveexec_b32 s40, s13
	s_cbranch_execz .LBB6_3826
.LBB6_3825:                             ;   in Loop: Header=BB6_3661 Depth=2
	v_and_b32_e32 v2, 3, v122
	v_lshrrev_b16 v30, 2, v122
	v_lshlrev_b32_e32 v40, 24, v122
	v_ffbh_u32_e32 v3, v2
	v_and_b32_e32 v30, 31, v30
	v_min_u32_e32 v3, 32, v3
	v_cmp_eq_u32_e32 vcc_lo, 0, v30
	v_subrev_nc_u32_e32 v119, 29, v3
	v_sub_nc_u32_e32 v3, 30, v3
	v_lshlrev_b32_e32 v119, v119, v122
	v_cndmask_b32_e32 v3, v30, v3, vcc_lo
	v_and_b32_e32 v30, 0x80000000, v40
	v_and_b32_e32 v119, 3, v119
	v_lshl_add_u32 v3, v3, 23, 0x37800000
	v_cndmask_b32_e32 v2, v2, v119, vcc_lo
	v_lshlrev_b32_e32 v2, 21, v2
	v_or3_b32 v119, v30, v3, v2
.LBB6_3826:                             ;   in Loop: Header=BB6_3661 Depth=2
	s_or_b32 exec_lo, exec_lo, s40
	s_waitcnt vmcnt(27) lgkmcnt(27)
	v_cmp_gt_i16_sdwa s40, v39, v57 src0_sel:BYTE_0 src1_sel:DWORD
	s_mov_b32 s13, 0
	s_and_saveexec_b32 s41, s40
	s_xor_b32 s40, exec_lo, s41
	s_cbranch_execz .LBB6_4849
; %bb.3827:                             ;   in Loop: Header=BB6_3661 Depth=2
	v_cmp_eq_u16_sdwa s42, v39, v58 src0_sel:BYTE_0 src1_sel:DWORD
	s_mov_b32 s13, -1
	s_and_saveexec_b32 s41, s42
; %bb.3828:                             ;   in Loop: Header=BB6_3661 Depth=2
	s_xor_b32 s13, exec_lo, -1
; %bb.3829:                             ;   in Loop: Header=BB6_3661 Depth=2
	s_or_b32 exec_lo, exec_lo, s41
	s_and_b32 s13, s13, exec_lo
	s_or_saveexec_b32 s40, s40
	v_mov_b32_e32 v2, 0x7f800001
	s_xor_b32 exec_lo, exec_lo, s40
	s_cbranch_execnz .LBB6_4850
.LBB6_3830:                             ;   in Loop: Header=BB6_3661 Depth=2
	s_or_b32 exec_lo, exec_lo, s40
	s_and_saveexec_b32 s40, s13
	s_cbranch_execz .LBB6_3832
.LBB6_3831:                             ;   in Loop: Header=BB6_3661 Depth=2
	v_and_b32_e32 v2, 3, v39
	v_lshrrev_b16 v30, 2, v39
	v_ffbh_u32_e32 v3, v2
	v_and_b32_e32 v30, 31, v30
	v_min_u32_e32 v3, 32, v3
	v_cmp_eq_u32_e32 vcc_lo, 0, v30
	v_subrev_nc_u32_e32 v40, 29, v3
	v_sub_nc_u32_e32 v3, 30, v3
	v_lshlrev_b32_e32 v40, v40, v39
	v_lshlrev_b32_e32 v39, 24, v39
	v_cndmask_b32_e32 v3, v30, v3, vcc_lo
	v_and_b32_e32 v40, 3, v40
	v_and_b32_e32 v30, 0x80000000, v39
	v_lshl_add_u32 v3, v3, 23, 0x37800000
	v_cndmask_b32_e32 v2, v2, v40, vcc_lo
	v_lshlrev_b32_e32 v2, 21, v2
	v_or3_b32 v2, v30, v3, v2
.LBB6_3832:                             ;   in Loop: Header=BB6_3661 Depth=2
	s_or_b32 exec_lo, exec_lo, s40
	v_max_f32_e32 v2, v2, v2
	v_max_f32_e32 v3, v119, v119
	v_min_f32_e32 v119, v3, v2
.LBB6_3833:                             ;   in Loop: Header=BB6_3661 Depth=2
	v_and_b32_e32 v2, 0x7f800000, v119
	s_waitcnt vmcnt(27) lgkmcnt(27)
	v_mov_b32_e32 v39, 0x80
	s_mov_b32 s40, exec_lo
	v_cmpx_ne_u32_e32 0x7f800000, v2
	s_cbranch_execz .LBB6_3841
; %bb.3834:                             ;   in Loop: Header=BB6_3661 Depth=2
	v_mov_b32_e32 v39, 0
	s_mov_b32 s41, exec_lo
	v_cmpx_ne_u32_e32 0, v119
	s_cbranch_execz .LBB6_3840
; %bb.3835:                             ;   in Loop: Header=BB6_3661 Depth=2
	v_bfe_u32 v3, v119, 23, 8
	v_and_b32_e32 v2, 0x7fffff, v119
	v_cmp_gt_u32_e64 s13, 0x71, v3
	v_sub_nc_u32_e32 v30, 0x70, v3
	v_cmp_eq_u32_e32 vcc_lo, 0, v3
	v_or_b32_e32 v39, 0x800000, v2
	v_add_nc_u32_e32 v3, 0xffffff91, v3
	v_cndmask_b32_e64 v30, 0, v30, s13
	v_cndmask_b32_e32 v2, v39, v2, vcc_lo
	v_cndmask_b32_e64 v3, v3, 0xffffff92, vcc_lo
	v_cndmask_b32_e64 v30, v30, 0x6f, vcc_lo
	v_lshl_add_u32 v39, 0x200000, v30, -1
	v_lshlrev_b32_e64 v40, v30, 0x100000
	v_and_b32_e32 v39, v39, v2
	v_lshrrev_b32_e32 v2, v30, v2
	v_cmp_eq_u32_e64 s13, v39, v40
	v_add_nc_u32_e32 v39, v30, v3
	v_lshrrev_b32_e32 v3, 23, v2
	v_xor_b32_e32 v30, 1, v3
	v_bfe_u32 v3, v2, 21, 1
	v_add_nc_u32_e32 v3, -1, v3
	v_cndmask_b32_e64 v3, 0, v3, s13
	s_mov_b32 s13, exec_lo
	v_add_nc_u32_e32 v3, v3, v2
	v_and_b32_e32 v3, 0x1fffff, v3
	v_add_nc_u32_e32 v3, v3, v2
                                        ; implicit-def: $vgpr2
	v_cmpx_ne_u32_e64 v39, v30
	s_xor_b32 s13, exec_lo, s13
; %bb.3836:                             ;   in Loop: Header=BB6_3661 Depth=2
	v_cmp_lt_u32_e32 vcc_lo, 0xffffff, v3
	v_sub_nc_u32_e32 v2, v39, v30
	v_cndmask_b32_e64 v30, 0, 1, vcc_lo
	v_add_co_ci_u32_e64 v2, null, 0, v2, vcc_lo
	v_lshrrev_b32_e32 v3, v30, v3
; %bb.3837:                             ;   in Loop: Header=BB6_3661 Depth=2
	s_andn2_saveexec_b32 s13, s13
; %bb.3838:                             ;   in Loop: Header=BB6_3661 Depth=2
	v_bfe_u32 v2, v3, 23, 1
; %bb.3839:                             ;   in Loop: Header=BB6_3661 Depth=2
	s_or_b32 exec_lo, exec_lo, s13
	v_lshrrev_b32_e32 v3, 21, v3
	v_cmp_gt_i32_e32 vcc_lo, 32, v2
	v_min_i32_e32 v30, 31, v2
	v_and_b32_sdwa v39, v119, v58 dst_sel:DWORD dst_unused:UNUSED_PAD src0_sel:BYTE_3 src1_sel:DWORD
	v_cndmask_b32_e32 v3, 3, v3, vcc_lo
	v_lshlrev_b32_e32 v30, 2, v30
	v_and_b32_e32 v119, 3, v3
	v_or_b32_e32 v2, v2, v3
	v_or3_b32 v3, v30, v39, v119
	v_cmp_ne_u32_e32 vcc_lo, 0, v2
	v_cndmask_b32_e32 v39, 0, v3, vcc_lo
.LBB6_3840:                             ;   in Loop: Header=BB6_3661 Depth=2
	s_or_b32 exec_lo, exec_lo, s41
.LBB6_3841:                             ;   in Loop: Header=BB6_3661 Depth=2
	s_or_b32 exec_lo, exec_lo, s40
	v_cmp_gt_i16_sdwa s40, v121, v57 src0_sel:BYTE_0 src1_sel:DWORD
	s_andn2_b32 vcc_lo, exec_lo, s28
	s_mov_b32 s13, -1
                                        ; implicit-def: $vgpr119
	s_cbranch_vccnz .LBB6_3855
; %bb.3842:                             ;   in Loop: Header=BB6_3661 Depth=2
	s_mov_b32 s13, 0
	s_and_saveexec_b32 s41, s40
	s_xor_b32 s40, exec_lo, s41
	s_cbranch_execz .LBB6_4851
; %bb.3843:                             ;   in Loop: Header=BB6_3661 Depth=2
	v_cmp_eq_u16_sdwa s42, v121, v58 src0_sel:BYTE_0 src1_sel:DWORD
	s_mov_b32 s13, -1
	s_and_saveexec_b32 s41, s42
; %bb.3844:                             ;   in Loop: Header=BB6_3661 Depth=2
	s_xor_b32 s13, exec_lo, -1
; %bb.3845:                             ;   in Loop: Header=BB6_3661 Depth=2
	s_or_b32 exec_lo, exec_lo, s41
	s_and_b32 s13, s13, exec_lo
	s_or_saveexec_b32 s40, s40
	v_mov_b32_e32 v119, 0x7f800001
	s_xor_b32 exec_lo, exec_lo, s40
	s_cbranch_execnz .LBB6_4852
.LBB6_3846:                             ;   in Loop: Header=BB6_3661 Depth=2
	s_or_b32 exec_lo, exec_lo, s40
	s_and_saveexec_b32 s40, s13
	s_cbranch_execz .LBB6_3848
.LBB6_3847:                             ;   in Loop: Header=BB6_3661 Depth=2
	v_and_b32_e32 v2, 3, v121
	v_lshrrev_b16 v30, 2, v121
	v_lshlrev_b32_e32 v40, 24, v121
	v_ffbh_u32_e32 v3, v2
	v_and_b32_e32 v30, 31, v30
	v_min_u32_e32 v3, 32, v3
	v_cmp_eq_u32_e32 vcc_lo, 0, v30
	v_subrev_nc_u32_e32 v119, 29, v3
	v_sub_nc_u32_e32 v3, 30, v3
	v_lshlrev_b32_e32 v119, v119, v121
	v_cndmask_b32_e32 v3, v30, v3, vcc_lo
	v_and_b32_e32 v30, 0x80000000, v40
	v_and_b32_e32 v119, 3, v119
	v_lshl_add_u32 v3, v3, 23, 0x37800000
	v_cndmask_b32_e32 v2, v2, v119, vcc_lo
	v_lshlrev_b32_e32 v2, 21, v2
	v_or3_b32 v119, v30, v3, v2
.LBB6_3848:                             ;   in Loop: Header=BB6_3661 Depth=2
	s_or_b32 exec_lo, exec_lo, s40
	s_waitcnt vmcnt(26) lgkmcnt(26)
	v_cmp_gt_i16_sdwa s40, v50, v57 src0_sel:BYTE_0 src1_sel:DWORD
	s_mov_b32 s13, 0
	s_and_saveexec_b32 s41, s40
	s_xor_b32 s40, exec_lo, s41
	s_cbranch_execz .LBB6_4853
; %bb.3849:                             ;   in Loop: Header=BB6_3661 Depth=2
	v_cmp_eq_u16_sdwa s42, v50, v58 src0_sel:BYTE_0 src1_sel:DWORD
	s_mov_b32 s13, -1
	s_and_saveexec_b32 s41, s42
; %bb.3850:                             ;   in Loop: Header=BB6_3661 Depth=2
	s_xor_b32 s13, exec_lo, -1
; %bb.3851:                             ;   in Loop: Header=BB6_3661 Depth=2
	s_or_b32 exec_lo, exec_lo, s41
	s_and_b32 s13, s13, exec_lo
	s_or_saveexec_b32 s40, s40
	v_mov_b32_e32 v2, 0x7f800001
	s_xor_b32 exec_lo, exec_lo, s40
	s_cbranch_execnz .LBB6_4854
.LBB6_3852:                             ;   in Loop: Header=BB6_3661 Depth=2
	s_or_b32 exec_lo, exec_lo, s40
	s_and_saveexec_b32 s40, s13
	s_cbranch_execz .LBB6_3854
.LBB6_3853:                             ;   in Loop: Header=BB6_3661 Depth=2
	v_and_b32_e32 v2, 3, v50
	v_lshrrev_b16 v30, 2, v50
	v_lshlrev_b32_e32 v42, 24, v50
	v_ffbh_u32_e32 v3, v2
	v_and_b32_e32 v30, 31, v30
	v_min_u32_e32 v3, 32, v3
	v_cmp_eq_u32_e32 vcc_lo, 0, v30
	v_subrev_nc_u32_e32 v40, 29, v3
	v_sub_nc_u32_e32 v3, 30, v3
	v_lshlrev_b32_e32 v40, v40, v50
	v_cndmask_b32_e32 v3, v30, v3, vcc_lo
	v_and_b32_e32 v30, 0x80000000, v42
	v_and_b32_e32 v40, 3, v40
	v_lshl_add_u32 v3, v3, 23, 0x37800000
	v_cndmask_b32_e32 v2, v2, v40, vcc_lo
	v_lshlrev_b32_e32 v2, 21, v2
	v_or3_b32 v2, v30, v3, v2
.LBB6_3854:                             ;   in Loop: Header=BB6_3661 Depth=2
	s_or_b32 exec_lo, exec_lo, s40
	v_max_f32_e32 v2, v2, v2
	v_max_f32_e32 v3, v119, v119
	s_mov_b32 s13, 0
	v_max_f32_e32 v119, v3, v2
.LBB6_3855:                             ;   in Loop: Header=BB6_3661 Depth=2
	s_and_b32 vcc_lo, exec_lo, s13
	s_cbranch_vccz .LBB6_3869
; %bb.3856:                             ;   in Loop: Header=BB6_3661 Depth=2
	v_cmp_gt_i16_sdwa s40, v121, v57 src0_sel:BYTE_0 src1_sel:DWORD
	s_mov_b32 s13, 0
	s_and_saveexec_b32 s41, s40
	s_xor_b32 s40, exec_lo, s41
	s_cbranch_execz .LBB6_4855
; %bb.3857:                             ;   in Loop: Header=BB6_3661 Depth=2
	v_cmp_eq_u16_sdwa s42, v121, v58 src0_sel:BYTE_0 src1_sel:DWORD
	s_mov_b32 s13, -1
	s_and_saveexec_b32 s41, s42
; %bb.3858:                             ;   in Loop: Header=BB6_3661 Depth=2
	s_xor_b32 s13, exec_lo, -1
; %bb.3859:                             ;   in Loop: Header=BB6_3661 Depth=2
	s_or_b32 exec_lo, exec_lo, s41
	s_and_b32 s13, s13, exec_lo
	s_or_saveexec_b32 s40, s40
	v_mov_b32_e32 v119, 0x7f800001
	s_xor_b32 exec_lo, exec_lo, s40
	s_cbranch_execnz .LBB6_4856
.LBB6_3860:                             ;   in Loop: Header=BB6_3661 Depth=2
	s_or_b32 exec_lo, exec_lo, s40
	s_and_saveexec_b32 s40, s13
	s_cbranch_execz .LBB6_3862
.LBB6_3861:                             ;   in Loop: Header=BB6_3661 Depth=2
	v_and_b32_e32 v2, 3, v121
	v_lshrrev_b16 v30, 2, v121
	v_lshlrev_b32_e32 v40, 24, v121
	v_ffbh_u32_e32 v3, v2
	v_and_b32_e32 v30, 31, v30
	v_min_u32_e32 v3, 32, v3
	v_cmp_eq_u32_e32 vcc_lo, 0, v30
	v_subrev_nc_u32_e32 v119, 29, v3
	v_sub_nc_u32_e32 v3, 30, v3
	v_lshlrev_b32_e32 v119, v119, v121
	v_cndmask_b32_e32 v3, v30, v3, vcc_lo
	v_and_b32_e32 v30, 0x80000000, v40
	v_and_b32_e32 v119, 3, v119
	v_lshl_add_u32 v3, v3, 23, 0x37800000
	v_cndmask_b32_e32 v2, v2, v119, vcc_lo
	v_lshlrev_b32_e32 v2, 21, v2
	v_or3_b32 v119, v30, v3, v2
.LBB6_3862:                             ;   in Loop: Header=BB6_3661 Depth=2
	s_or_b32 exec_lo, exec_lo, s40
	s_waitcnt vmcnt(26) lgkmcnt(26)
	v_cmp_gt_i16_sdwa s40, v50, v57 src0_sel:BYTE_0 src1_sel:DWORD
	s_mov_b32 s13, 0
	s_and_saveexec_b32 s41, s40
	s_xor_b32 s40, exec_lo, s41
	s_cbranch_execz .LBB6_4857
; %bb.3863:                             ;   in Loop: Header=BB6_3661 Depth=2
	v_cmp_eq_u16_sdwa s42, v50, v58 src0_sel:BYTE_0 src1_sel:DWORD
	s_mov_b32 s13, -1
	s_and_saveexec_b32 s41, s42
; %bb.3864:                             ;   in Loop: Header=BB6_3661 Depth=2
	s_xor_b32 s13, exec_lo, -1
; %bb.3865:                             ;   in Loop: Header=BB6_3661 Depth=2
	s_or_b32 exec_lo, exec_lo, s41
	s_and_b32 s13, s13, exec_lo
	s_or_saveexec_b32 s40, s40
	v_mov_b32_e32 v2, 0x7f800001
	s_xor_b32 exec_lo, exec_lo, s40
	s_cbranch_execnz .LBB6_4858
.LBB6_3866:                             ;   in Loop: Header=BB6_3661 Depth=2
	s_or_b32 exec_lo, exec_lo, s40
	s_and_saveexec_b32 s40, s13
	s_cbranch_execz .LBB6_3868
.LBB6_3867:                             ;   in Loop: Header=BB6_3661 Depth=2
	v_and_b32_e32 v2, 3, v50
	v_lshrrev_b16 v30, 2, v50
	v_ffbh_u32_e32 v3, v2
	v_and_b32_e32 v30, 31, v30
	v_min_u32_e32 v3, 32, v3
	v_cmp_eq_u32_e32 vcc_lo, 0, v30
	v_subrev_nc_u32_e32 v40, 29, v3
	v_sub_nc_u32_e32 v3, 30, v3
	v_lshlrev_b32_e32 v40, v40, v50
	v_lshlrev_b32_e32 v50, 24, v50
	v_cndmask_b32_e32 v3, v30, v3, vcc_lo
	v_and_b32_e32 v40, 3, v40
	v_and_b32_e32 v30, 0x80000000, v50
	v_lshl_add_u32 v3, v3, 23, 0x37800000
	v_cndmask_b32_e32 v2, v2, v40, vcc_lo
	v_lshlrev_b32_e32 v2, 21, v2
	v_or3_b32 v2, v30, v3, v2
.LBB6_3868:                             ;   in Loop: Header=BB6_3661 Depth=2
	s_or_b32 exec_lo, exec_lo, s40
	v_max_f32_e32 v2, v2, v2
	v_max_f32_e32 v3, v119, v119
	v_min_f32_e32 v119, v3, v2
.LBB6_3869:                             ;   in Loop: Header=BB6_3661 Depth=2
	v_and_b32_e32 v2, 0x7f800000, v119
	s_waitcnt vmcnt(26) lgkmcnt(26)
	v_mov_b32_e32 v50, 0x80
	s_mov_b32 s40, exec_lo
	v_cmpx_ne_u32_e32 0x7f800000, v2
	s_cbranch_execz .LBB6_3877
; %bb.3870:                             ;   in Loop: Header=BB6_3661 Depth=2
	v_mov_b32_e32 v50, 0
	s_mov_b32 s41, exec_lo
	v_cmpx_ne_u32_e32 0, v119
	s_cbranch_execz .LBB6_3876
; %bb.3871:                             ;   in Loop: Header=BB6_3661 Depth=2
	v_bfe_u32 v3, v119, 23, 8
	v_and_b32_e32 v2, 0x7fffff, v119
	v_cmp_gt_u32_e64 s13, 0x71, v3
	v_sub_nc_u32_e32 v30, 0x70, v3
	v_cmp_eq_u32_e32 vcc_lo, 0, v3
	v_or_b32_e32 v50, 0x800000, v2
	v_add_nc_u32_e32 v3, 0xffffff91, v3
	v_cndmask_b32_e64 v30, 0, v30, s13
	v_cndmask_b32_e32 v2, v50, v2, vcc_lo
	v_cndmask_b32_e64 v3, v3, 0xffffff92, vcc_lo
	v_cndmask_b32_e64 v30, v30, 0x6f, vcc_lo
	v_lshl_add_u32 v50, 0x200000, v30, -1
	v_lshlrev_b32_e64 v40, v30, 0x100000
	v_and_b32_e32 v50, v50, v2
	v_lshrrev_b32_e32 v2, v30, v2
	v_cmp_eq_u32_e64 s13, v50, v40
	v_add_nc_u32_e32 v50, v30, v3
	v_lshrrev_b32_e32 v3, 23, v2
	v_xor_b32_e32 v30, 1, v3
	v_bfe_u32 v3, v2, 21, 1
	v_add_nc_u32_e32 v3, -1, v3
	v_cndmask_b32_e64 v3, 0, v3, s13
	s_mov_b32 s13, exec_lo
	v_add_nc_u32_e32 v3, v3, v2
	v_and_b32_e32 v3, 0x1fffff, v3
	v_add_nc_u32_e32 v3, v3, v2
                                        ; implicit-def: $vgpr2
	v_cmpx_ne_u32_e64 v50, v30
	s_xor_b32 s13, exec_lo, s13
; %bb.3872:                             ;   in Loop: Header=BB6_3661 Depth=2
	v_cmp_lt_u32_e32 vcc_lo, 0xffffff, v3
	v_sub_nc_u32_e32 v2, v50, v30
	v_cndmask_b32_e64 v30, 0, 1, vcc_lo
	v_add_co_ci_u32_e64 v2, null, 0, v2, vcc_lo
	v_lshrrev_b32_e32 v3, v30, v3
; %bb.3873:                             ;   in Loop: Header=BB6_3661 Depth=2
	s_andn2_saveexec_b32 s13, s13
; %bb.3874:                             ;   in Loop: Header=BB6_3661 Depth=2
	v_bfe_u32 v2, v3, 23, 1
; %bb.3875:                             ;   in Loop: Header=BB6_3661 Depth=2
	s_or_b32 exec_lo, exec_lo, s13
	v_lshrrev_b32_e32 v3, 21, v3
	v_cmp_gt_i32_e32 vcc_lo, 32, v2
	v_min_i32_e32 v30, 31, v2
	v_and_b32_sdwa v50, v119, v58 dst_sel:DWORD dst_unused:UNUSED_PAD src0_sel:BYTE_3 src1_sel:DWORD
	v_cndmask_b32_e32 v3, 3, v3, vcc_lo
	v_lshlrev_b32_e32 v30, 2, v30
	v_and_b32_e32 v119, 3, v3
	v_or_b32_e32 v2, v2, v3
	v_or3_b32 v3, v30, v50, v119
	v_cmp_ne_u32_e32 vcc_lo, 0, v2
	v_cndmask_b32_e32 v50, 0, v3, vcc_lo
.LBB6_3876:                             ;   in Loop: Header=BB6_3661 Depth=2
	s_or_b32 exec_lo, exec_lo, s41
.LBB6_3877:                             ;   in Loop: Header=BB6_3661 Depth=2
	s_or_b32 exec_lo, exec_lo, s40
	v_cmp_gt_i16_sdwa s40, v120, v57 src0_sel:BYTE_0 src1_sel:DWORD
	s_andn2_b32 vcc_lo, exec_lo, s28
	s_mov_b32 s13, -1
                                        ; implicit-def: $vgpr119
	s_cbranch_vccnz .LBB6_3891
; %bb.3878:                             ;   in Loop: Header=BB6_3661 Depth=2
	s_mov_b32 s13, 0
	s_and_saveexec_b32 s41, s40
	s_xor_b32 s40, exec_lo, s41
	s_cbranch_execz .LBB6_4859
; %bb.3879:                             ;   in Loop: Header=BB6_3661 Depth=2
	v_cmp_eq_u16_sdwa s42, v120, v58 src0_sel:BYTE_0 src1_sel:DWORD
	s_mov_b32 s13, -1
	s_and_saveexec_b32 s41, s42
; %bb.3880:                             ;   in Loop: Header=BB6_3661 Depth=2
	s_xor_b32 s13, exec_lo, -1
; %bb.3881:                             ;   in Loop: Header=BB6_3661 Depth=2
	s_or_b32 exec_lo, exec_lo, s41
	s_and_b32 s13, s13, exec_lo
	s_or_saveexec_b32 s40, s40
	v_mov_b32_e32 v119, 0x7f800001
	s_xor_b32 exec_lo, exec_lo, s40
	s_cbranch_execnz .LBB6_4860
.LBB6_3882:                             ;   in Loop: Header=BB6_3661 Depth=2
	s_or_b32 exec_lo, exec_lo, s40
	s_and_saveexec_b32 s40, s13
	s_cbranch_execz .LBB6_3884
.LBB6_3883:                             ;   in Loop: Header=BB6_3661 Depth=2
	v_and_b32_e32 v2, 3, v120
	v_lshrrev_b16 v30, 2, v120
	v_lshlrev_b32_e32 v40, 24, v120
	v_ffbh_u32_e32 v3, v2
	v_and_b32_e32 v30, 31, v30
	v_min_u32_e32 v3, 32, v3
	v_cmp_eq_u32_e32 vcc_lo, 0, v30
	v_subrev_nc_u32_e32 v119, 29, v3
	v_sub_nc_u32_e32 v3, 30, v3
	v_lshlrev_b32_e32 v119, v119, v120
	v_cndmask_b32_e32 v3, v30, v3, vcc_lo
	v_and_b32_e32 v30, 0x80000000, v40
	v_and_b32_e32 v119, 3, v119
	v_lshl_add_u32 v3, v3, 23, 0x37800000
	v_cndmask_b32_e32 v2, v2, v119, vcc_lo
	v_lshlrev_b32_e32 v2, 21, v2
	v_or3_b32 v119, v30, v3, v2
.LBB6_3884:                             ;   in Loop: Header=BB6_3661 Depth=2
	s_or_b32 exec_lo, exec_lo, s40
	s_waitcnt vmcnt(25) lgkmcnt(25)
	v_cmp_gt_i16_sdwa s40, v99, v57 src0_sel:BYTE_0 src1_sel:DWORD
	s_mov_b32 s13, 0
	s_and_saveexec_b32 s41, s40
	s_xor_b32 s40, exec_lo, s41
	s_cbranch_execz .LBB6_4861
; %bb.3885:                             ;   in Loop: Header=BB6_3661 Depth=2
	v_cmp_eq_u16_sdwa s42, v99, v58 src0_sel:BYTE_0 src1_sel:DWORD
	s_mov_b32 s13, -1
	s_and_saveexec_b32 s41, s42
; %bb.3886:                             ;   in Loop: Header=BB6_3661 Depth=2
	s_xor_b32 s13, exec_lo, -1
; %bb.3887:                             ;   in Loop: Header=BB6_3661 Depth=2
	s_or_b32 exec_lo, exec_lo, s41
	s_and_b32 s13, s13, exec_lo
	s_or_saveexec_b32 s40, s40
	v_mov_b32_e32 v2, 0x7f800001
	s_xor_b32 exec_lo, exec_lo, s40
	s_cbranch_execnz .LBB6_4862
.LBB6_3888:                             ;   in Loop: Header=BB6_3661 Depth=2
	s_or_b32 exec_lo, exec_lo, s40
	s_and_saveexec_b32 s40, s13
	s_cbranch_execz .LBB6_3890
.LBB6_3889:                             ;   in Loop: Header=BB6_3661 Depth=2
	v_and_b32_e32 v2, 3, v99
	v_lshrrev_b16 v30, 2, v99
	v_lshlrev_b32_e32 v42, 24, v99
	v_ffbh_u32_e32 v3, v2
	v_and_b32_e32 v30, 31, v30
	v_min_u32_e32 v3, 32, v3
	v_cmp_eq_u32_e32 vcc_lo, 0, v30
	v_subrev_nc_u32_e32 v40, 29, v3
	v_sub_nc_u32_e32 v3, 30, v3
	v_lshlrev_b32_e32 v40, v40, v99
	v_cndmask_b32_e32 v3, v30, v3, vcc_lo
	v_and_b32_e32 v30, 0x80000000, v42
	v_and_b32_e32 v40, 3, v40
	v_lshl_add_u32 v3, v3, 23, 0x37800000
	v_cndmask_b32_e32 v2, v2, v40, vcc_lo
	v_lshlrev_b32_e32 v2, 21, v2
	v_or3_b32 v2, v30, v3, v2
.LBB6_3890:                             ;   in Loop: Header=BB6_3661 Depth=2
	s_or_b32 exec_lo, exec_lo, s40
	v_max_f32_e32 v2, v2, v2
	v_max_f32_e32 v3, v119, v119
	s_mov_b32 s13, 0
	v_max_f32_e32 v119, v3, v2
.LBB6_3891:                             ;   in Loop: Header=BB6_3661 Depth=2
	s_and_b32 vcc_lo, exec_lo, s13
	s_cbranch_vccz .LBB6_3905
; %bb.3892:                             ;   in Loop: Header=BB6_3661 Depth=2
	v_cmp_gt_i16_sdwa s40, v120, v57 src0_sel:BYTE_0 src1_sel:DWORD
	s_mov_b32 s13, 0
	s_and_saveexec_b32 s41, s40
	s_xor_b32 s40, exec_lo, s41
	s_cbranch_execz .LBB6_4863
; %bb.3893:                             ;   in Loop: Header=BB6_3661 Depth=2
	v_cmp_eq_u16_sdwa s42, v120, v58 src0_sel:BYTE_0 src1_sel:DWORD
	s_mov_b32 s13, -1
	s_and_saveexec_b32 s41, s42
; %bb.3894:                             ;   in Loop: Header=BB6_3661 Depth=2
	s_xor_b32 s13, exec_lo, -1
; %bb.3895:                             ;   in Loop: Header=BB6_3661 Depth=2
	s_or_b32 exec_lo, exec_lo, s41
	s_and_b32 s13, s13, exec_lo
	s_or_saveexec_b32 s40, s40
	v_mov_b32_e32 v119, 0x7f800001
	s_xor_b32 exec_lo, exec_lo, s40
	s_cbranch_execnz .LBB6_4864
.LBB6_3896:                             ;   in Loop: Header=BB6_3661 Depth=2
	s_or_b32 exec_lo, exec_lo, s40
	s_and_saveexec_b32 s40, s13
	s_cbranch_execz .LBB6_3898
.LBB6_3897:                             ;   in Loop: Header=BB6_3661 Depth=2
	v_and_b32_e32 v2, 3, v120
	v_lshrrev_b16 v30, 2, v120
	v_lshlrev_b32_e32 v40, 24, v120
	v_ffbh_u32_e32 v3, v2
	v_and_b32_e32 v30, 31, v30
	v_min_u32_e32 v3, 32, v3
	v_cmp_eq_u32_e32 vcc_lo, 0, v30
	v_subrev_nc_u32_e32 v119, 29, v3
	v_sub_nc_u32_e32 v3, 30, v3
	v_lshlrev_b32_e32 v119, v119, v120
	v_cndmask_b32_e32 v3, v30, v3, vcc_lo
	v_and_b32_e32 v30, 0x80000000, v40
	v_and_b32_e32 v119, 3, v119
	v_lshl_add_u32 v3, v3, 23, 0x37800000
	v_cndmask_b32_e32 v2, v2, v119, vcc_lo
	v_lshlrev_b32_e32 v2, 21, v2
	v_or3_b32 v119, v30, v3, v2
.LBB6_3898:                             ;   in Loop: Header=BB6_3661 Depth=2
	s_or_b32 exec_lo, exec_lo, s40
	s_waitcnt vmcnt(25) lgkmcnt(25)
	v_cmp_gt_i16_sdwa s40, v99, v57 src0_sel:BYTE_0 src1_sel:DWORD
	s_mov_b32 s13, 0
	s_and_saveexec_b32 s41, s40
	s_xor_b32 s40, exec_lo, s41
	s_cbranch_execz .LBB6_4865
; %bb.3899:                             ;   in Loop: Header=BB6_3661 Depth=2
	v_cmp_eq_u16_sdwa s42, v99, v58 src0_sel:BYTE_0 src1_sel:DWORD
	s_mov_b32 s13, -1
	s_and_saveexec_b32 s41, s42
; %bb.3900:                             ;   in Loop: Header=BB6_3661 Depth=2
	s_xor_b32 s13, exec_lo, -1
; %bb.3901:                             ;   in Loop: Header=BB6_3661 Depth=2
	s_or_b32 exec_lo, exec_lo, s41
	s_and_b32 s13, s13, exec_lo
	s_or_saveexec_b32 s40, s40
	v_mov_b32_e32 v2, 0x7f800001
	s_xor_b32 exec_lo, exec_lo, s40
	s_cbranch_execnz .LBB6_4866
.LBB6_3902:                             ;   in Loop: Header=BB6_3661 Depth=2
	s_or_b32 exec_lo, exec_lo, s40
	s_and_saveexec_b32 s40, s13
	s_cbranch_execz .LBB6_3904
.LBB6_3903:                             ;   in Loop: Header=BB6_3661 Depth=2
	v_and_b32_e32 v2, 3, v99
	v_lshrrev_b16 v30, 2, v99
	v_ffbh_u32_e32 v3, v2
	v_and_b32_e32 v30, 31, v30
	v_min_u32_e32 v3, 32, v3
	v_cmp_eq_u32_e32 vcc_lo, 0, v30
	v_subrev_nc_u32_e32 v40, 29, v3
	v_sub_nc_u32_e32 v3, 30, v3
	v_lshlrev_b32_e32 v40, v40, v99
	v_lshlrev_b32_e32 v99, 24, v99
	v_cndmask_b32_e32 v3, v30, v3, vcc_lo
	v_and_b32_e32 v40, 3, v40
	v_and_b32_e32 v30, 0x80000000, v99
	v_lshl_add_u32 v3, v3, 23, 0x37800000
	v_cndmask_b32_e32 v2, v2, v40, vcc_lo
	v_lshlrev_b32_e32 v2, 21, v2
	v_or3_b32 v2, v30, v3, v2
.LBB6_3904:                             ;   in Loop: Header=BB6_3661 Depth=2
	s_or_b32 exec_lo, exec_lo, s40
	v_max_f32_e32 v2, v2, v2
	v_max_f32_e32 v3, v119, v119
	v_min_f32_e32 v119, v3, v2
.LBB6_3905:                             ;   in Loop: Header=BB6_3661 Depth=2
	v_and_b32_e32 v2, 0x7f800000, v119
	s_waitcnt vmcnt(25) lgkmcnt(25)
	v_mov_b32_e32 v99, 0x80
	s_mov_b32 s40, exec_lo
	v_cmpx_ne_u32_e32 0x7f800000, v2
	s_cbranch_execz .LBB6_3913
; %bb.3906:                             ;   in Loop: Header=BB6_3661 Depth=2
	v_mov_b32_e32 v99, 0
	s_mov_b32 s41, exec_lo
	v_cmpx_ne_u32_e32 0, v119
	s_cbranch_execz .LBB6_3912
; %bb.3907:                             ;   in Loop: Header=BB6_3661 Depth=2
	v_bfe_u32 v3, v119, 23, 8
	v_and_b32_e32 v2, 0x7fffff, v119
	v_cmp_gt_u32_e64 s13, 0x71, v3
	v_sub_nc_u32_e32 v30, 0x70, v3
	v_cmp_eq_u32_e32 vcc_lo, 0, v3
	v_or_b32_e32 v99, 0x800000, v2
	v_add_nc_u32_e32 v3, 0xffffff91, v3
	v_cndmask_b32_e64 v30, 0, v30, s13
	v_cndmask_b32_e32 v2, v99, v2, vcc_lo
	v_cndmask_b32_e64 v3, v3, 0xffffff92, vcc_lo
	v_cndmask_b32_e64 v30, v30, 0x6f, vcc_lo
	v_lshl_add_u32 v99, 0x200000, v30, -1
	v_lshlrev_b32_e64 v40, v30, 0x100000
	v_and_b32_e32 v99, v99, v2
	v_lshrrev_b32_e32 v2, v30, v2
	v_cmp_eq_u32_e64 s13, v99, v40
	v_add_nc_u32_e32 v99, v30, v3
	v_lshrrev_b32_e32 v3, 23, v2
	v_xor_b32_e32 v30, 1, v3
	v_bfe_u32 v3, v2, 21, 1
	v_add_nc_u32_e32 v3, -1, v3
	v_cndmask_b32_e64 v3, 0, v3, s13
	s_mov_b32 s13, exec_lo
	v_add_nc_u32_e32 v3, v3, v2
	v_and_b32_e32 v3, 0x1fffff, v3
	v_add_nc_u32_e32 v3, v3, v2
                                        ; implicit-def: $vgpr2
	v_cmpx_ne_u32_e64 v99, v30
	s_xor_b32 s13, exec_lo, s13
; %bb.3908:                             ;   in Loop: Header=BB6_3661 Depth=2
	v_cmp_lt_u32_e32 vcc_lo, 0xffffff, v3
	v_sub_nc_u32_e32 v2, v99, v30
	v_cndmask_b32_e64 v30, 0, 1, vcc_lo
	v_add_co_ci_u32_e64 v2, null, 0, v2, vcc_lo
	v_lshrrev_b32_e32 v3, v30, v3
; %bb.3909:                             ;   in Loop: Header=BB6_3661 Depth=2
	s_andn2_saveexec_b32 s13, s13
; %bb.3910:                             ;   in Loop: Header=BB6_3661 Depth=2
	v_bfe_u32 v2, v3, 23, 1
; %bb.3911:                             ;   in Loop: Header=BB6_3661 Depth=2
	s_or_b32 exec_lo, exec_lo, s13
	v_lshrrev_b32_e32 v3, 21, v3
	v_cmp_gt_i32_e32 vcc_lo, 32, v2
	v_min_i32_e32 v30, 31, v2
	v_and_b32_sdwa v99, v119, v58 dst_sel:DWORD dst_unused:UNUSED_PAD src0_sel:BYTE_3 src1_sel:DWORD
	v_cndmask_b32_e32 v3, 3, v3, vcc_lo
	v_lshlrev_b32_e32 v30, 2, v30
	v_and_b32_e32 v119, 3, v3
	v_or_b32_e32 v2, v2, v3
	v_or3_b32 v3, v30, v99, v119
	v_cmp_ne_u32_e32 vcc_lo, 0, v2
	v_cndmask_b32_e32 v99, 0, v3, vcc_lo
.LBB6_3912:                             ;   in Loop: Header=BB6_3661 Depth=2
	s_or_b32 exec_lo, exec_lo, s41
.LBB6_3913:                             ;   in Loop: Header=BB6_3661 Depth=2
	s_or_b32 exec_lo, exec_lo, s40
	v_cmp_gt_i16_sdwa s40, v111, v57 src0_sel:BYTE_0 src1_sel:DWORD
	s_andn2_b32 vcc_lo, exec_lo, s28
	s_mov_b32 s13, -1
                                        ; implicit-def: $vgpr119
	s_cbranch_vccnz .LBB6_3927
; %bb.3914:                             ;   in Loop: Header=BB6_3661 Depth=2
	s_mov_b32 s13, 0
	s_and_saveexec_b32 s41, s40
	s_xor_b32 s40, exec_lo, s41
	s_cbranch_execz .LBB6_4867
; %bb.3915:                             ;   in Loop: Header=BB6_3661 Depth=2
	v_cmp_eq_u16_sdwa s42, v111, v58 src0_sel:BYTE_0 src1_sel:DWORD
	s_mov_b32 s13, -1
	s_and_saveexec_b32 s41, s42
; %bb.3916:                             ;   in Loop: Header=BB6_3661 Depth=2
	s_xor_b32 s13, exec_lo, -1
; %bb.3917:                             ;   in Loop: Header=BB6_3661 Depth=2
	s_or_b32 exec_lo, exec_lo, s41
	s_and_b32 s13, s13, exec_lo
	s_or_saveexec_b32 s40, s40
	v_mov_b32_e32 v119, 0x7f800001
	s_xor_b32 exec_lo, exec_lo, s40
	s_cbranch_execnz .LBB6_4868
.LBB6_3918:                             ;   in Loop: Header=BB6_3661 Depth=2
	s_or_b32 exec_lo, exec_lo, s40
	s_and_saveexec_b32 s40, s13
	s_cbranch_execz .LBB6_3920
.LBB6_3919:                             ;   in Loop: Header=BB6_3661 Depth=2
	v_and_b32_e32 v2, 3, v111
	v_lshrrev_b16 v30, 2, v111
	v_lshlrev_b32_e32 v40, 24, v111
	v_ffbh_u32_e32 v3, v2
	v_and_b32_e32 v30, 31, v30
	v_min_u32_e32 v3, 32, v3
	v_cmp_eq_u32_e32 vcc_lo, 0, v30
	v_subrev_nc_u32_e32 v119, 29, v3
	v_sub_nc_u32_e32 v3, 30, v3
	v_lshlrev_b32_e32 v119, v119, v111
	v_cndmask_b32_e32 v3, v30, v3, vcc_lo
	v_and_b32_e32 v30, 0x80000000, v40
	v_and_b32_e32 v119, 3, v119
	v_lshl_add_u32 v3, v3, 23, 0x37800000
	v_cndmask_b32_e32 v2, v2, v119, vcc_lo
	v_lshlrev_b32_e32 v2, 21, v2
	v_or3_b32 v119, v30, v3, v2
.LBB6_3920:                             ;   in Loop: Header=BB6_3661 Depth=2
	s_or_b32 exec_lo, exec_lo, s40
	s_waitcnt vmcnt(24) lgkmcnt(24)
	v_cmp_gt_i16_sdwa s40, v102, v57 src0_sel:BYTE_0 src1_sel:DWORD
	s_mov_b32 s13, 0
	s_and_saveexec_b32 s41, s40
	s_xor_b32 s40, exec_lo, s41
	s_cbranch_execz .LBB6_4869
; %bb.3921:                             ;   in Loop: Header=BB6_3661 Depth=2
	v_cmp_eq_u16_sdwa s42, v102, v58 src0_sel:BYTE_0 src1_sel:DWORD
	s_mov_b32 s13, -1
	s_and_saveexec_b32 s41, s42
; %bb.3922:                             ;   in Loop: Header=BB6_3661 Depth=2
	s_xor_b32 s13, exec_lo, -1
; %bb.3923:                             ;   in Loop: Header=BB6_3661 Depth=2
	s_or_b32 exec_lo, exec_lo, s41
	s_and_b32 s13, s13, exec_lo
	s_or_saveexec_b32 s40, s40
	v_mov_b32_e32 v2, 0x7f800001
	s_xor_b32 exec_lo, exec_lo, s40
	s_cbranch_execnz .LBB6_4870
.LBB6_3924:                             ;   in Loop: Header=BB6_3661 Depth=2
	s_or_b32 exec_lo, exec_lo, s40
	s_and_saveexec_b32 s40, s13
	s_cbranch_execz .LBB6_3926
.LBB6_3925:                             ;   in Loop: Header=BB6_3661 Depth=2
	v_and_b32_e32 v2, 3, v102
	v_lshrrev_b16 v30, 2, v102
	v_lshlrev_b32_e32 v42, 24, v102
	v_ffbh_u32_e32 v3, v2
	v_and_b32_e32 v30, 31, v30
	v_min_u32_e32 v3, 32, v3
	v_cmp_eq_u32_e32 vcc_lo, 0, v30
	v_subrev_nc_u32_e32 v40, 29, v3
	v_sub_nc_u32_e32 v3, 30, v3
	v_lshlrev_b32_e32 v40, v40, v102
	v_cndmask_b32_e32 v3, v30, v3, vcc_lo
	v_and_b32_e32 v30, 0x80000000, v42
	v_and_b32_e32 v40, 3, v40
	v_lshl_add_u32 v3, v3, 23, 0x37800000
	v_cndmask_b32_e32 v2, v2, v40, vcc_lo
	v_lshlrev_b32_e32 v2, 21, v2
	v_or3_b32 v2, v30, v3, v2
.LBB6_3926:                             ;   in Loop: Header=BB6_3661 Depth=2
	s_or_b32 exec_lo, exec_lo, s40
	v_max_f32_e32 v2, v2, v2
	v_max_f32_e32 v3, v119, v119
	s_mov_b32 s13, 0
	v_max_f32_e32 v119, v3, v2
.LBB6_3927:                             ;   in Loop: Header=BB6_3661 Depth=2
	s_and_b32 vcc_lo, exec_lo, s13
	s_cbranch_vccz .LBB6_3941
; %bb.3928:                             ;   in Loop: Header=BB6_3661 Depth=2
	v_cmp_gt_i16_sdwa s40, v111, v57 src0_sel:BYTE_0 src1_sel:DWORD
	s_mov_b32 s13, 0
	s_and_saveexec_b32 s41, s40
	s_xor_b32 s40, exec_lo, s41
	s_cbranch_execz .LBB6_4871
; %bb.3929:                             ;   in Loop: Header=BB6_3661 Depth=2
	v_cmp_eq_u16_sdwa s42, v111, v58 src0_sel:BYTE_0 src1_sel:DWORD
	s_mov_b32 s13, -1
	s_and_saveexec_b32 s41, s42
; %bb.3930:                             ;   in Loop: Header=BB6_3661 Depth=2
	s_xor_b32 s13, exec_lo, -1
; %bb.3931:                             ;   in Loop: Header=BB6_3661 Depth=2
	s_or_b32 exec_lo, exec_lo, s41
	s_and_b32 s13, s13, exec_lo
	s_or_saveexec_b32 s40, s40
	v_mov_b32_e32 v119, 0x7f800001
	s_xor_b32 exec_lo, exec_lo, s40
	s_cbranch_execnz .LBB6_4872
.LBB6_3932:                             ;   in Loop: Header=BB6_3661 Depth=2
	s_or_b32 exec_lo, exec_lo, s40
	s_and_saveexec_b32 s40, s13
	s_cbranch_execz .LBB6_3934
.LBB6_3933:                             ;   in Loop: Header=BB6_3661 Depth=2
	v_and_b32_e32 v2, 3, v111
	v_lshrrev_b16 v30, 2, v111
	v_lshlrev_b32_e32 v40, 24, v111
	v_ffbh_u32_e32 v3, v2
	v_and_b32_e32 v30, 31, v30
	v_min_u32_e32 v3, 32, v3
	v_cmp_eq_u32_e32 vcc_lo, 0, v30
	v_subrev_nc_u32_e32 v119, 29, v3
	v_sub_nc_u32_e32 v3, 30, v3
	v_lshlrev_b32_e32 v119, v119, v111
	v_cndmask_b32_e32 v3, v30, v3, vcc_lo
	v_and_b32_e32 v30, 0x80000000, v40
	v_and_b32_e32 v119, 3, v119
	v_lshl_add_u32 v3, v3, 23, 0x37800000
	v_cndmask_b32_e32 v2, v2, v119, vcc_lo
	v_lshlrev_b32_e32 v2, 21, v2
	v_or3_b32 v119, v30, v3, v2
.LBB6_3934:                             ;   in Loop: Header=BB6_3661 Depth=2
	s_or_b32 exec_lo, exec_lo, s40
	s_waitcnt vmcnt(24) lgkmcnt(24)
	v_cmp_gt_i16_sdwa s40, v102, v57 src0_sel:BYTE_0 src1_sel:DWORD
	s_mov_b32 s13, 0
	s_and_saveexec_b32 s41, s40
	s_xor_b32 s40, exec_lo, s41
	s_cbranch_execz .LBB6_4873
; %bb.3935:                             ;   in Loop: Header=BB6_3661 Depth=2
	v_cmp_eq_u16_sdwa s42, v102, v58 src0_sel:BYTE_0 src1_sel:DWORD
	s_mov_b32 s13, -1
	s_and_saveexec_b32 s41, s42
; %bb.3936:                             ;   in Loop: Header=BB6_3661 Depth=2
	s_xor_b32 s13, exec_lo, -1
; %bb.3937:                             ;   in Loop: Header=BB6_3661 Depth=2
	s_or_b32 exec_lo, exec_lo, s41
	s_and_b32 s13, s13, exec_lo
	s_or_saveexec_b32 s40, s40
	v_mov_b32_e32 v2, 0x7f800001
	s_xor_b32 exec_lo, exec_lo, s40
	s_cbranch_execnz .LBB6_4874
.LBB6_3938:                             ;   in Loop: Header=BB6_3661 Depth=2
	s_or_b32 exec_lo, exec_lo, s40
	s_and_saveexec_b32 s40, s13
	s_cbranch_execz .LBB6_3940
.LBB6_3939:                             ;   in Loop: Header=BB6_3661 Depth=2
	v_and_b32_e32 v2, 3, v102
	v_lshrrev_b16 v30, 2, v102
	v_ffbh_u32_e32 v3, v2
	v_and_b32_e32 v30, 31, v30
	v_min_u32_e32 v3, 32, v3
	v_cmp_eq_u32_e32 vcc_lo, 0, v30
	v_subrev_nc_u32_e32 v40, 29, v3
	v_sub_nc_u32_e32 v3, 30, v3
	v_lshlrev_b32_e32 v40, v40, v102
	v_lshlrev_b32_e32 v102, 24, v102
	v_cndmask_b32_e32 v3, v30, v3, vcc_lo
	v_and_b32_e32 v40, 3, v40
	v_and_b32_e32 v30, 0x80000000, v102
	v_lshl_add_u32 v3, v3, 23, 0x37800000
	v_cndmask_b32_e32 v2, v2, v40, vcc_lo
	v_lshlrev_b32_e32 v2, 21, v2
	v_or3_b32 v2, v30, v3, v2
.LBB6_3940:                             ;   in Loop: Header=BB6_3661 Depth=2
	s_or_b32 exec_lo, exec_lo, s40
	v_max_f32_e32 v2, v2, v2
	v_max_f32_e32 v3, v119, v119
	v_min_f32_e32 v119, v3, v2
.LBB6_3941:                             ;   in Loop: Header=BB6_3661 Depth=2
	v_and_b32_e32 v2, 0x7f800000, v119
	s_waitcnt vmcnt(24) lgkmcnt(24)
	v_mov_b32_e32 v102, 0x80
	s_mov_b32 s40, exec_lo
	v_cmpx_ne_u32_e32 0x7f800000, v2
	s_cbranch_execz .LBB6_3949
; %bb.3942:                             ;   in Loop: Header=BB6_3661 Depth=2
	v_mov_b32_e32 v102, 0
	s_mov_b32 s41, exec_lo
	v_cmpx_ne_u32_e32 0, v119
	s_cbranch_execz .LBB6_3948
; %bb.3943:                             ;   in Loop: Header=BB6_3661 Depth=2
	v_bfe_u32 v2, v119, 23, 8
	v_and_b32_e32 v3, 0x7fffff, v119
	v_sub_nc_u32_e32 v30, 0x70, v2
	v_cmp_gt_u32_e32 vcc_lo, 0x71, v2
	v_or_b32_e32 v102, 0x800000, v3
	v_cndmask_b32_e32 v30, 0, v30, vcc_lo
	v_cmp_eq_u32_e32 vcc_lo, 0, v2
	v_add_nc_u32_e32 v2, 0xffffff91, v2
	v_cndmask_b32_e64 v30, v30, 0x6f, vcc_lo
	v_cndmask_b32_e32 v3, v102, v3, vcc_lo
	v_cndmask_b32_e64 v2, v2, 0xffffff92, vcc_lo
	v_lshl_add_u32 v102, 0x200000, v30, -1
	v_lshrrev_b32_e32 v40, v30, v3
	v_lshlrev_b32_e64 v111, v30, 0x100000
	v_add_nc_u32_e32 v30, v30, v2
	v_and_b32_e32 v3, v102, v3
	v_bfe_u32 v42, v40, 21, 1
	v_cmp_eq_u32_e64 s13, v3, v111
	v_add_nc_u32_e32 v102, -1, v42
	v_cndmask_b32_e64 v3, 0, v102, s13
	v_lshrrev_b32_e32 v102, 23, v40
	s_mov_b32 s13, exec_lo
	v_add_nc_u32_e32 v3, v3, v40
	v_xor_b32_e32 v102, 1, v102
	v_and_b32_e32 v2, 0x1fffff, v3
	v_add_nc_u32_e32 v3, v2, v40
                                        ; implicit-def: $vgpr2
	v_cmpx_ne_u32_e64 v30, v102
	s_xor_b32 s13, exec_lo, s13
; %bb.3944:                             ;   in Loop: Header=BB6_3661 Depth=2
	v_cmp_lt_u32_e32 vcc_lo, 0xffffff, v3
	v_sub_nc_u32_e32 v2, v30, v102
	v_cndmask_b32_e64 v30, 0, 1, vcc_lo
	v_add_co_ci_u32_e64 v2, null, 0, v2, vcc_lo
	v_lshrrev_b32_e32 v3, v30, v3
; %bb.3945:                             ;   in Loop: Header=BB6_3661 Depth=2
	s_andn2_saveexec_b32 s13, s13
; %bb.3946:                             ;   in Loop: Header=BB6_3661 Depth=2
	v_bfe_u32 v2, v3, 23, 1
; %bb.3947:                             ;   in Loop: Header=BB6_3661 Depth=2
	s_or_b32 exec_lo, exec_lo, s13
	v_lshrrev_b32_e32 v3, 21, v3
	v_cmp_gt_i32_e32 vcc_lo, 32, v2
	v_min_i32_e32 v30, 31, v2
	v_and_b32_sdwa v102, v119, v58 dst_sel:DWORD dst_unused:UNUSED_PAD src0_sel:BYTE_3 src1_sel:DWORD
	v_cndmask_b32_e32 v3, 3, v3, vcc_lo
	v_lshlrev_b32_e32 v30, 2, v30
	v_and_b32_e32 v119, 3, v3
	v_or_b32_e32 v2, v2, v3
	v_or3_b32 v3, v30, v102, v119
	v_cmp_ne_u32_e32 vcc_lo, 0, v2
	v_cndmask_b32_e32 v102, 0, v3, vcc_lo
.LBB6_3948:                             ;   in Loop: Header=BB6_3661 Depth=2
	s_or_b32 exec_lo, exec_lo, s41
.LBB6_3949:                             ;   in Loop: Header=BB6_3661 Depth=2
	s_or_b32 exec_lo, exec_lo, s40
	v_cmp_gt_i16_sdwa s40, v110, v57 src0_sel:BYTE_0 src1_sel:DWORD
	s_andn2_b32 vcc_lo, exec_lo, s28
	s_mov_b32 s13, -1
                                        ; implicit-def: $vgpr119
	s_cbranch_vccnz .LBB6_3963
; %bb.3950:                             ;   in Loop: Header=BB6_3661 Depth=2
	s_mov_b32 s13, 0
	s_and_saveexec_b32 s41, s40
	s_xor_b32 s40, exec_lo, s41
	s_cbranch_execz .LBB6_4875
; %bb.3951:                             ;   in Loop: Header=BB6_3661 Depth=2
	v_cmp_eq_u16_sdwa s42, v110, v58 src0_sel:BYTE_0 src1_sel:DWORD
	s_mov_b32 s13, -1
	s_and_saveexec_b32 s41, s42
; %bb.3952:                             ;   in Loop: Header=BB6_3661 Depth=2
	s_xor_b32 s13, exec_lo, -1
; %bb.3953:                             ;   in Loop: Header=BB6_3661 Depth=2
	s_or_b32 exec_lo, exec_lo, s41
	s_and_b32 s13, s13, exec_lo
	s_or_saveexec_b32 s40, s40
	v_mov_b32_e32 v119, 0x7f800001
	s_xor_b32 exec_lo, exec_lo, s40
	s_cbranch_execnz .LBB6_4876
.LBB6_3954:                             ;   in Loop: Header=BB6_3661 Depth=2
	s_or_b32 exec_lo, exec_lo, s40
	s_and_saveexec_b32 s40, s13
	s_cbranch_execz .LBB6_3956
.LBB6_3955:                             ;   in Loop: Header=BB6_3661 Depth=2
	v_and_b32_e32 v2, 3, v110
	v_lshrrev_b16 v30, 2, v110
	v_lshlrev_b32_e32 v40, 24, v110
	v_ffbh_u32_e32 v3, v2
	v_and_b32_e32 v30, 31, v30
	v_min_u32_e32 v3, 32, v3
	v_cmp_eq_u32_e32 vcc_lo, 0, v30
	v_subrev_nc_u32_e32 v119, 29, v3
	v_sub_nc_u32_e32 v3, 30, v3
	v_lshlrev_b32_e32 v119, v119, v110
	v_cndmask_b32_e32 v3, v30, v3, vcc_lo
	v_and_b32_e32 v30, 0x80000000, v40
	v_and_b32_e32 v119, 3, v119
	v_lshl_add_u32 v3, v3, 23, 0x37800000
	v_cndmask_b32_e32 v2, v2, v119, vcc_lo
	v_lshlrev_b32_e32 v2, 21, v2
	v_or3_b32 v119, v30, v3, v2
.LBB6_3956:                             ;   in Loop: Header=BB6_3661 Depth=2
	s_or_b32 exec_lo, exec_lo, s40
	s_waitcnt vmcnt(23) lgkmcnt(23)
	v_cmp_gt_i16_sdwa s40, v113, v57 src0_sel:BYTE_0 src1_sel:DWORD
	s_mov_b32 s13, 0
	s_and_saveexec_b32 s41, s40
	s_xor_b32 s40, exec_lo, s41
	s_cbranch_execz .LBB6_4877
; %bb.3957:                             ;   in Loop: Header=BB6_3661 Depth=2
	v_cmp_eq_u16_sdwa s42, v113, v58 src0_sel:BYTE_0 src1_sel:DWORD
	s_mov_b32 s13, -1
	s_and_saveexec_b32 s41, s42
; %bb.3958:                             ;   in Loop: Header=BB6_3661 Depth=2
	s_xor_b32 s13, exec_lo, -1
; %bb.3959:                             ;   in Loop: Header=BB6_3661 Depth=2
	s_or_b32 exec_lo, exec_lo, s41
	s_and_b32 s13, s13, exec_lo
	s_or_saveexec_b32 s40, s40
	v_mov_b32_e32 v2, 0x7f800001
	s_xor_b32 exec_lo, exec_lo, s40
	s_cbranch_execnz .LBB6_4878
.LBB6_3960:                             ;   in Loop: Header=BB6_3661 Depth=2
	s_or_b32 exec_lo, exec_lo, s40
	s_and_saveexec_b32 s40, s13
	s_cbranch_execz .LBB6_3962
.LBB6_3961:                             ;   in Loop: Header=BB6_3661 Depth=2
	v_and_b32_e32 v2, 3, v113
	v_lshrrev_b16 v30, 2, v113
	v_lshlrev_b32_e32 v42, 24, v113
	v_ffbh_u32_e32 v3, v2
	v_and_b32_e32 v30, 31, v30
	v_min_u32_e32 v3, 32, v3
	v_cmp_eq_u32_e32 vcc_lo, 0, v30
	v_subrev_nc_u32_e32 v40, 29, v3
	v_sub_nc_u32_e32 v3, 30, v3
	v_lshlrev_b32_e32 v40, v40, v113
	v_cndmask_b32_e32 v3, v30, v3, vcc_lo
	v_and_b32_e32 v30, 0x80000000, v42
	v_and_b32_e32 v40, 3, v40
	v_lshl_add_u32 v3, v3, 23, 0x37800000
	v_cndmask_b32_e32 v2, v2, v40, vcc_lo
	v_lshlrev_b32_e32 v2, 21, v2
	v_or3_b32 v2, v30, v3, v2
.LBB6_3962:                             ;   in Loop: Header=BB6_3661 Depth=2
	s_or_b32 exec_lo, exec_lo, s40
	v_max_f32_e32 v2, v2, v2
	v_max_f32_e32 v3, v119, v119
	s_mov_b32 s13, 0
	v_max_f32_e32 v119, v3, v2
.LBB6_3963:                             ;   in Loop: Header=BB6_3661 Depth=2
	s_and_b32 vcc_lo, exec_lo, s13
	s_cbranch_vccz .LBB6_3977
; %bb.3964:                             ;   in Loop: Header=BB6_3661 Depth=2
	v_cmp_gt_i16_sdwa s40, v110, v57 src0_sel:BYTE_0 src1_sel:DWORD
	s_mov_b32 s13, 0
	s_and_saveexec_b32 s41, s40
	s_xor_b32 s40, exec_lo, s41
	s_cbranch_execz .LBB6_4879
; %bb.3965:                             ;   in Loop: Header=BB6_3661 Depth=2
	v_cmp_eq_u16_sdwa s42, v110, v58 src0_sel:BYTE_0 src1_sel:DWORD
	s_mov_b32 s13, -1
	s_and_saveexec_b32 s41, s42
; %bb.3966:                             ;   in Loop: Header=BB6_3661 Depth=2
	s_xor_b32 s13, exec_lo, -1
; %bb.3967:                             ;   in Loop: Header=BB6_3661 Depth=2
	s_or_b32 exec_lo, exec_lo, s41
	s_and_b32 s13, s13, exec_lo
	s_or_saveexec_b32 s40, s40
	v_mov_b32_e32 v119, 0x7f800001
	s_xor_b32 exec_lo, exec_lo, s40
	s_cbranch_execnz .LBB6_4880
.LBB6_3968:                             ;   in Loop: Header=BB6_3661 Depth=2
	s_or_b32 exec_lo, exec_lo, s40
	s_and_saveexec_b32 s40, s13
	s_cbranch_execz .LBB6_3970
.LBB6_3969:                             ;   in Loop: Header=BB6_3661 Depth=2
	v_and_b32_e32 v2, 3, v110
	v_lshrrev_b16 v30, 2, v110
	v_lshlrev_b32_e32 v40, 24, v110
	v_ffbh_u32_e32 v3, v2
	v_and_b32_e32 v30, 31, v30
	v_min_u32_e32 v3, 32, v3
	v_cmp_eq_u32_e32 vcc_lo, 0, v30
	v_subrev_nc_u32_e32 v119, 29, v3
	v_sub_nc_u32_e32 v3, 30, v3
	v_lshlrev_b32_e32 v119, v119, v110
	v_cndmask_b32_e32 v3, v30, v3, vcc_lo
	v_and_b32_e32 v30, 0x80000000, v40
	v_and_b32_e32 v119, 3, v119
	v_lshl_add_u32 v3, v3, 23, 0x37800000
	v_cndmask_b32_e32 v2, v2, v119, vcc_lo
	v_lshlrev_b32_e32 v2, 21, v2
	v_or3_b32 v119, v30, v3, v2
.LBB6_3970:                             ;   in Loop: Header=BB6_3661 Depth=2
	s_or_b32 exec_lo, exec_lo, s40
	s_waitcnt vmcnt(23) lgkmcnt(23)
	v_cmp_gt_i16_sdwa s40, v113, v57 src0_sel:BYTE_0 src1_sel:DWORD
	s_mov_b32 s13, 0
	s_and_saveexec_b32 s41, s40
	s_xor_b32 s40, exec_lo, s41
	s_cbranch_execz .LBB6_4881
; %bb.3971:                             ;   in Loop: Header=BB6_3661 Depth=2
	v_cmp_eq_u16_sdwa s42, v113, v58 src0_sel:BYTE_0 src1_sel:DWORD
	s_mov_b32 s13, -1
	s_and_saveexec_b32 s41, s42
; %bb.3972:                             ;   in Loop: Header=BB6_3661 Depth=2
	s_xor_b32 s13, exec_lo, -1
; %bb.3973:                             ;   in Loop: Header=BB6_3661 Depth=2
	s_or_b32 exec_lo, exec_lo, s41
	s_and_b32 s13, s13, exec_lo
	s_or_saveexec_b32 s40, s40
	v_mov_b32_e32 v2, 0x7f800001
	s_xor_b32 exec_lo, exec_lo, s40
	s_cbranch_execnz .LBB6_4882
.LBB6_3974:                             ;   in Loop: Header=BB6_3661 Depth=2
	s_or_b32 exec_lo, exec_lo, s40
	s_and_saveexec_b32 s40, s13
	s_cbranch_execz .LBB6_3976
.LBB6_3975:                             ;   in Loop: Header=BB6_3661 Depth=2
	v_and_b32_e32 v2, 3, v113
	v_lshrrev_b16 v30, 2, v113
	v_ffbh_u32_e32 v3, v2
	v_and_b32_e32 v30, 31, v30
	v_min_u32_e32 v3, 32, v3
	v_cmp_eq_u32_e32 vcc_lo, 0, v30
	v_subrev_nc_u32_e32 v40, 29, v3
	v_sub_nc_u32_e32 v3, 30, v3
	v_lshlrev_b32_e32 v40, v40, v113
	v_lshlrev_b32_e32 v113, 24, v113
	v_cndmask_b32_e32 v3, v30, v3, vcc_lo
	v_and_b32_e32 v40, 3, v40
	v_and_b32_e32 v30, 0x80000000, v113
	v_lshl_add_u32 v3, v3, 23, 0x37800000
	v_cndmask_b32_e32 v2, v2, v40, vcc_lo
	v_lshlrev_b32_e32 v2, 21, v2
	v_or3_b32 v2, v30, v3, v2
.LBB6_3976:                             ;   in Loop: Header=BB6_3661 Depth=2
	s_or_b32 exec_lo, exec_lo, s40
	v_max_f32_e32 v2, v2, v2
	v_max_f32_e32 v3, v119, v119
	v_min_f32_e32 v119, v3, v2
.LBB6_3977:                             ;   in Loop: Header=BB6_3661 Depth=2
	v_and_b32_e32 v2, 0x7f800000, v119
	s_waitcnt vmcnt(23) lgkmcnt(23)
	v_mov_b32_e32 v113, 0x80
	s_mov_b32 s40, exec_lo
	v_cmpx_ne_u32_e32 0x7f800000, v2
	s_cbranch_execz .LBB6_3985
; %bb.3978:                             ;   in Loop: Header=BB6_3661 Depth=2
	v_mov_b32_e32 v113, 0
	s_mov_b32 s41, exec_lo
	v_cmpx_ne_u32_e32 0, v119
	s_cbranch_execz .LBB6_3984
; %bb.3979:                             ;   in Loop: Header=BB6_3661 Depth=2
	v_bfe_u32 v2, v119, 23, 8
	v_and_b32_e32 v3, 0x7fffff, v119
	v_sub_nc_u32_e32 v30, 0x70, v2
	v_cmp_gt_u32_e32 vcc_lo, 0x71, v2
	v_or_b32_e32 v113, 0x800000, v3
	v_cndmask_b32_e32 v30, 0, v30, vcc_lo
	v_cmp_eq_u32_e32 vcc_lo, 0, v2
	v_add_nc_u32_e32 v2, 0xffffff91, v2
	v_cndmask_b32_e64 v30, v30, 0x6f, vcc_lo
	v_cndmask_b32_e32 v3, v113, v3, vcc_lo
	v_cndmask_b32_e64 v2, v2, 0xffffff92, vcc_lo
	v_lshl_add_u32 v113, 0x200000, v30, -1
	v_lshrrev_b32_e32 v40, v30, v3
	v_lshlrev_b32_e64 v110, v30, 0x100000
	v_add_nc_u32_e32 v30, v30, v2
	v_and_b32_e32 v3, v113, v3
	v_bfe_u32 v42, v40, 21, 1
	v_cmp_eq_u32_e64 s13, v3, v110
	v_add_nc_u32_e32 v113, -1, v42
	v_cndmask_b32_e64 v3, 0, v113, s13
	v_lshrrev_b32_e32 v113, 23, v40
	s_mov_b32 s13, exec_lo
	v_add_nc_u32_e32 v3, v3, v40
	v_xor_b32_e32 v113, 1, v113
	v_and_b32_e32 v2, 0x1fffff, v3
	v_add_nc_u32_e32 v3, v2, v40
                                        ; implicit-def: $vgpr2
	v_cmpx_ne_u32_e64 v30, v113
	s_xor_b32 s13, exec_lo, s13
; %bb.3980:                             ;   in Loop: Header=BB6_3661 Depth=2
	v_cmp_lt_u32_e32 vcc_lo, 0xffffff, v3
	v_sub_nc_u32_e32 v2, v30, v113
	v_cndmask_b32_e64 v30, 0, 1, vcc_lo
	v_add_co_ci_u32_e64 v2, null, 0, v2, vcc_lo
	v_lshrrev_b32_e32 v3, v30, v3
; %bb.3981:                             ;   in Loop: Header=BB6_3661 Depth=2
	s_andn2_saveexec_b32 s13, s13
; %bb.3982:                             ;   in Loop: Header=BB6_3661 Depth=2
	v_bfe_u32 v2, v3, 23, 1
; %bb.3983:                             ;   in Loop: Header=BB6_3661 Depth=2
	s_or_b32 exec_lo, exec_lo, s13
	v_lshrrev_b32_e32 v3, 21, v3
	v_cmp_gt_i32_e32 vcc_lo, 32, v2
	v_min_i32_e32 v30, 31, v2
	v_and_b32_sdwa v113, v119, v58 dst_sel:DWORD dst_unused:UNUSED_PAD src0_sel:BYTE_3 src1_sel:DWORD
	v_cndmask_b32_e32 v3, 3, v3, vcc_lo
	v_lshlrev_b32_e32 v30, 2, v30
	v_and_b32_e32 v119, 3, v3
	v_or_b32_e32 v2, v2, v3
	v_or3_b32 v3, v30, v113, v119
	v_cmp_ne_u32_e32 vcc_lo, 0, v2
	v_cndmask_b32_e32 v113, 0, v3, vcc_lo
.LBB6_3984:                             ;   in Loop: Header=BB6_3661 Depth=2
	s_or_b32 exec_lo, exec_lo, s41
.LBB6_3985:                             ;   in Loop: Header=BB6_3661 Depth=2
	s_or_b32 exec_lo, exec_lo, s40
	v_cmp_gt_i16_sdwa s40, v109, v57 src0_sel:BYTE_0 src1_sel:DWORD
	s_andn2_b32 vcc_lo, exec_lo, s28
	s_mov_b32 s13, -1
                                        ; implicit-def: $vgpr119
	s_cbranch_vccnz .LBB6_3999
; %bb.3986:                             ;   in Loop: Header=BB6_3661 Depth=2
	s_mov_b32 s13, 0
	s_and_saveexec_b32 s41, s40
	s_xor_b32 s40, exec_lo, s41
	s_cbranch_execz .LBB6_4883
; %bb.3987:                             ;   in Loop: Header=BB6_3661 Depth=2
	v_cmp_eq_u16_sdwa s42, v109, v58 src0_sel:BYTE_0 src1_sel:DWORD
	s_mov_b32 s13, -1
	s_and_saveexec_b32 s41, s42
; %bb.3988:                             ;   in Loop: Header=BB6_3661 Depth=2
	s_xor_b32 s13, exec_lo, -1
; %bb.3989:                             ;   in Loop: Header=BB6_3661 Depth=2
	s_or_b32 exec_lo, exec_lo, s41
	s_and_b32 s13, s13, exec_lo
	s_or_saveexec_b32 s40, s40
	v_mov_b32_e32 v119, 0x7f800001
	s_xor_b32 exec_lo, exec_lo, s40
	s_cbranch_execnz .LBB6_4884
.LBB6_3990:                             ;   in Loop: Header=BB6_3661 Depth=2
	s_or_b32 exec_lo, exec_lo, s40
	s_and_saveexec_b32 s40, s13
	s_cbranch_execz .LBB6_3992
.LBB6_3991:                             ;   in Loop: Header=BB6_3661 Depth=2
	v_and_b32_e32 v2, 3, v109
	v_lshrrev_b16 v30, 2, v109
	v_lshlrev_b32_e32 v40, 24, v109
	v_ffbh_u32_e32 v3, v2
	v_and_b32_e32 v30, 31, v30
	v_min_u32_e32 v3, 32, v3
	v_cmp_eq_u32_e32 vcc_lo, 0, v30
	v_subrev_nc_u32_e32 v119, 29, v3
	v_sub_nc_u32_e32 v3, 30, v3
	v_lshlrev_b32_e32 v119, v119, v109
	v_cndmask_b32_e32 v3, v30, v3, vcc_lo
	v_and_b32_e32 v30, 0x80000000, v40
	v_and_b32_e32 v119, 3, v119
	v_lshl_add_u32 v3, v3, 23, 0x37800000
	v_cndmask_b32_e32 v2, v2, v119, vcc_lo
	v_lshlrev_b32_e32 v2, 21, v2
	v_or3_b32 v119, v30, v3, v2
.LBB6_3992:                             ;   in Loop: Header=BB6_3661 Depth=2
	s_or_b32 exec_lo, exec_lo, s40
	s_waitcnt vmcnt(22) lgkmcnt(22)
	v_cmp_gt_i16_sdwa s40, v62, v57 src0_sel:BYTE_0 src1_sel:DWORD
	s_mov_b32 s13, 0
	s_and_saveexec_b32 s41, s40
	s_xor_b32 s40, exec_lo, s41
	s_cbranch_execz .LBB6_4885
; %bb.3993:                             ;   in Loop: Header=BB6_3661 Depth=2
	v_cmp_eq_u16_sdwa s42, v62, v58 src0_sel:BYTE_0 src1_sel:DWORD
	s_mov_b32 s13, -1
	s_and_saveexec_b32 s41, s42
; %bb.3994:                             ;   in Loop: Header=BB6_3661 Depth=2
	s_xor_b32 s13, exec_lo, -1
; %bb.3995:                             ;   in Loop: Header=BB6_3661 Depth=2
	s_or_b32 exec_lo, exec_lo, s41
	s_and_b32 s13, s13, exec_lo
	s_or_saveexec_b32 s40, s40
	v_mov_b32_e32 v2, 0x7f800001
	s_xor_b32 exec_lo, exec_lo, s40
	s_cbranch_execnz .LBB6_4886
.LBB6_3996:                             ;   in Loop: Header=BB6_3661 Depth=2
	s_or_b32 exec_lo, exec_lo, s40
	s_and_saveexec_b32 s40, s13
	s_cbranch_execz .LBB6_3998
.LBB6_3997:                             ;   in Loop: Header=BB6_3661 Depth=2
	v_and_b32_e32 v2, 3, v62
	v_lshrrev_b16 v30, 2, v62
	v_lshlrev_b32_e32 v42, 24, v62
	v_ffbh_u32_e32 v3, v2
	v_and_b32_e32 v30, 31, v30
	v_min_u32_e32 v3, 32, v3
	v_cmp_eq_u32_e32 vcc_lo, 0, v30
	v_subrev_nc_u32_e32 v40, 29, v3
	v_sub_nc_u32_e32 v3, 30, v3
	v_lshlrev_b32_e32 v40, v40, v62
	v_cndmask_b32_e32 v3, v30, v3, vcc_lo
	v_and_b32_e32 v30, 0x80000000, v42
	v_and_b32_e32 v40, 3, v40
	v_lshl_add_u32 v3, v3, 23, 0x37800000
	v_cndmask_b32_e32 v2, v2, v40, vcc_lo
	v_lshlrev_b32_e32 v2, 21, v2
	v_or3_b32 v2, v30, v3, v2
.LBB6_3998:                             ;   in Loop: Header=BB6_3661 Depth=2
	s_or_b32 exec_lo, exec_lo, s40
	v_max_f32_e32 v2, v2, v2
	v_max_f32_e32 v3, v119, v119
	s_mov_b32 s13, 0
	v_max_f32_e32 v119, v3, v2
.LBB6_3999:                             ;   in Loop: Header=BB6_3661 Depth=2
	s_and_b32 vcc_lo, exec_lo, s13
	s_cbranch_vccz .LBB6_4013
; %bb.4000:                             ;   in Loop: Header=BB6_3661 Depth=2
	v_cmp_gt_i16_sdwa s40, v109, v57 src0_sel:BYTE_0 src1_sel:DWORD
	s_mov_b32 s13, 0
	s_and_saveexec_b32 s41, s40
	s_xor_b32 s40, exec_lo, s41
	s_cbranch_execz .LBB6_4887
; %bb.4001:                             ;   in Loop: Header=BB6_3661 Depth=2
	v_cmp_eq_u16_sdwa s42, v109, v58 src0_sel:BYTE_0 src1_sel:DWORD
	s_mov_b32 s13, -1
	s_and_saveexec_b32 s41, s42
; %bb.4002:                             ;   in Loop: Header=BB6_3661 Depth=2
	s_xor_b32 s13, exec_lo, -1
; %bb.4003:                             ;   in Loop: Header=BB6_3661 Depth=2
	s_or_b32 exec_lo, exec_lo, s41
	s_and_b32 s13, s13, exec_lo
	s_or_saveexec_b32 s40, s40
	v_mov_b32_e32 v119, 0x7f800001
	s_xor_b32 exec_lo, exec_lo, s40
	s_cbranch_execnz .LBB6_4888
.LBB6_4004:                             ;   in Loop: Header=BB6_3661 Depth=2
	s_or_b32 exec_lo, exec_lo, s40
	s_and_saveexec_b32 s40, s13
	s_cbranch_execz .LBB6_4006
.LBB6_4005:                             ;   in Loop: Header=BB6_3661 Depth=2
	v_and_b32_e32 v2, 3, v109
	v_lshrrev_b16 v30, 2, v109
	v_lshlrev_b32_e32 v40, 24, v109
	v_ffbh_u32_e32 v3, v2
	v_and_b32_e32 v30, 31, v30
	v_min_u32_e32 v3, 32, v3
	v_cmp_eq_u32_e32 vcc_lo, 0, v30
	v_subrev_nc_u32_e32 v119, 29, v3
	v_sub_nc_u32_e32 v3, 30, v3
	v_lshlrev_b32_e32 v119, v119, v109
	v_cndmask_b32_e32 v3, v30, v3, vcc_lo
	v_and_b32_e32 v30, 0x80000000, v40
	v_and_b32_e32 v119, 3, v119
	v_lshl_add_u32 v3, v3, 23, 0x37800000
	v_cndmask_b32_e32 v2, v2, v119, vcc_lo
	v_lshlrev_b32_e32 v2, 21, v2
	v_or3_b32 v119, v30, v3, v2
.LBB6_4006:                             ;   in Loop: Header=BB6_3661 Depth=2
	s_or_b32 exec_lo, exec_lo, s40
	s_waitcnt vmcnt(22) lgkmcnt(22)
	v_cmp_gt_i16_sdwa s40, v62, v57 src0_sel:BYTE_0 src1_sel:DWORD
	s_mov_b32 s13, 0
	s_and_saveexec_b32 s41, s40
	s_xor_b32 s40, exec_lo, s41
	s_cbranch_execz .LBB6_4889
; %bb.4007:                             ;   in Loop: Header=BB6_3661 Depth=2
	v_cmp_eq_u16_sdwa s42, v62, v58 src0_sel:BYTE_0 src1_sel:DWORD
	s_mov_b32 s13, -1
	s_and_saveexec_b32 s41, s42
; %bb.4008:                             ;   in Loop: Header=BB6_3661 Depth=2
	s_xor_b32 s13, exec_lo, -1
; %bb.4009:                             ;   in Loop: Header=BB6_3661 Depth=2
	s_or_b32 exec_lo, exec_lo, s41
	s_and_b32 s13, s13, exec_lo
	s_or_saveexec_b32 s40, s40
	v_mov_b32_e32 v2, 0x7f800001
	s_xor_b32 exec_lo, exec_lo, s40
	s_cbranch_execnz .LBB6_4890
.LBB6_4010:                             ;   in Loop: Header=BB6_3661 Depth=2
	s_or_b32 exec_lo, exec_lo, s40
	s_and_saveexec_b32 s40, s13
	s_cbranch_execz .LBB6_4012
.LBB6_4011:                             ;   in Loop: Header=BB6_3661 Depth=2
	v_and_b32_e32 v2, 3, v62
	v_lshrrev_b16 v30, 2, v62
	v_lshlrev_b32_e32 v42, 24, v62
	v_ffbh_u32_e32 v3, v2
	v_and_b32_e32 v30, 31, v30
	v_min_u32_e32 v3, 32, v3
	v_cmp_eq_u32_e32 vcc_lo, 0, v30
	v_subrev_nc_u32_e32 v40, 29, v3
	v_sub_nc_u32_e32 v3, 30, v3
	v_lshlrev_b32_e32 v40, v40, v62
	v_cndmask_b32_e32 v3, v30, v3, vcc_lo
	v_and_b32_e32 v30, 0x80000000, v42
	v_and_b32_e32 v40, 3, v40
	v_lshl_add_u32 v3, v3, 23, 0x37800000
	v_cndmask_b32_e32 v2, v2, v40, vcc_lo
	v_lshlrev_b32_e32 v2, 21, v2
	v_or3_b32 v2, v30, v3, v2
.LBB6_4012:                             ;   in Loop: Header=BB6_3661 Depth=2
	s_or_b32 exec_lo, exec_lo, s40
	v_max_f32_e32 v2, v2, v2
	v_max_f32_e32 v3, v119, v119
	v_min_f32_e32 v119, v3, v2
.LBB6_4013:                             ;   in Loop: Header=BB6_3661 Depth=2
	v_and_b32_e32 v2, 0x7f800000, v119
	s_waitcnt vmcnt(22) lgkmcnt(22)
	v_mov_b32_e32 v62, 0x80
	s_mov_b32 s40, exec_lo
	v_cmpx_ne_u32_e32 0x7f800000, v2
	s_cbranch_execz .LBB6_4021
; %bb.4014:                             ;   in Loop: Header=BB6_3661 Depth=2
	v_mov_b32_e32 v62, 0
	s_mov_b32 s41, exec_lo
	v_cmpx_ne_u32_e32 0, v119
	s_cbranch_execz .LBB6_4020
; %bb.4015:                             ;   in Loop: Header=BB6_3661 Depth=2
	v_bfe_u32 v2, v119, 23, 8
	v_and_b32_e32 v3, 0x7fffff, v119
	v_sub_nc_u32_e32 v30, 0x70, v2
	v_cmp_gt_u32_e32 vcc_lo, 0x71, v2
	v_or_b32_e32 v40, 0x800000, v3
	v_cndmask_b32_e32 v30, 0, v30, vcc_lo
	v_cmp_eq_u32_e32 vcc_lo, 0, v2
	v_add_nc_u32_e32 v2, 0xffffff91, v2
	v_cndmask_b32_e64 v30, v30, 0x6f, vcc_lo
	v_cndmask_b32_e32 v3, v40, v3, vcc_lo
	v_cndmask_b32_e64 v2, v2, 0xffffff92, vcc_lo
	v_lshl_add_u32 v40, 0x200000, v30, -1
	v_lshrrev_b32_e32 v42, v30, v3
	v_lshlrev_b32_e64 v109, v30, 0x100000
	v_add_nc_u32_e32 v30, v30, v2
	v_and_b32_e32 v3, v40, v3
	v_bfe_u32 v62, v42, 21, 1
	v_cmp_eq_u32_e64 s13, v3, v109
	v_add_nc_u32_e32 v40, -1, v62
	v_cndmask_b32_e64 v3, 0, v40, s13
	v_lshrrev_b32_e32 v40, 23, v42
	s_mov_b32 s13, exec_lo
	v_add_nc_u32_e32 v3, v3, v42
	v_xor_b32_e32 v40, 1, v40
	v_and_b32_e32 v2, 0x1fffff, v3
	v_add_nc_u32_e32 v3, v2, v42
                                        ; implicit-def: $vgpr2
	v_cmpx_ne_u32_e64 v30, v40
	s_xor_b32 s13, exec_lo, s13
; %bb.4016:                             ;   in Loop: Header=BB6_3661 Depth=2
	v_cmp_lt_u32_e32 vcc_lo, 0xffffff, v3
	v_sub_nc_u32_e32 v2, v30, v40
	v_cndmask_b32_e64 v30, 0, 1, vcc_lo
	v_add_co_ci_u32_e64 v2, null, 0, v2, vcc_lo
	v_lshrrev_b32_e32 v3, v30, v3
; %bb.4017:                             ;   in Loop: Header=BB6_3661 Depth=2
	s_andn2_saveexec_b32 s13, s13
; %bb.4018:                             ;   in Loop: Header=BB6_3661 Depth=2
	v_bfe_u32 v2, v3, 23, 1
; %bb.4019:                             ;   in Loop: Header=BB6_3661 Depth=2
	s_or_b32 exec_lo, exec_lo, s13
	v_lshrrev_b32_e32 v3, 21, v3
	v_cmp_gt_i32_e32 vcc_lo, 32, v2
	v_min_i32_e32 v30, 31, v2
	v_and_b32_sdwa v119, v119, v58 dst_sel:DWORD dst_unused:UNUSED_PAD src0_sel:BYTE_3 src1_sel:DWORD
	v_cndmask_b32_e32 v3, 3, v3, vcc_lo
	v_lshlrev_b32_e32 v30, 2, v30
	v_and_b32_e32 v40, 3, v3
	v_or_b32_e32 v2, v2, v3
	v_or3_b32 v3, v30, v119, v40
	v_cmp_ne_u32_e32 vcc_lo, 0, v2
	v_cndmask_b32_e32 v62, 0, v3, vcc_lo
.LBB6_4020:                             ;   in Loop: Header=BB6_3661 Depth=2
	s_or_b32 exec_lo, exec_lo, s41
.LBB6_4021:                             ;   in Loop: Header=BB6_3661 Depth=2
	s_or_b32 exec_lo, exec_lo, s40
	v_cmp_gt_i16_sdwa s40, v108, v57 src0_sel:BYTE_0 src1_sel:DWORD
	s_andn2_b32 vcc_lo, exec_lo, s28
	s_mov_b32 s13, -1
                                        ; implicit-def: $vgpr119
	s_cbranch_vccnz .LBB6_4035
; %bb.4022:                             ;   in Loop: Header=BB6_3661 Depth=2
	s_mov_b32 s13, 0
	s_and_saveexec_b32 s41, s40
	s_xor_b32 s40, exec_lo, s41
	s_cbranch_execz .LBB6_4891
; %bb.4023:                             ;   in Loop: Header=BB6_3661 Depth=2
	v_cmp_eq_u16_sdwa s42, v108, v58 src0_sel:BYTE_0 src1_sel:DWORD
	s_mov_b32 s13, -1
	s_and_saveexec_b32 s41, s42
; %bb.4024:                             ;   in Loop: Header=BB6_3661 Depth=2
	s_xor_b32 s13, exec_lo, -1
; %bb.4025:                             ;   in Loop: Header=BB6_3661 Depth=2
	s_or_b32 exec_lo, exec_lo, s41
	s_and_b32 s13, s13, exec_lo
	s_or_saveexec_b32 s40, s40
	v_mov_b32_e32 v119, 0x7f800001
	s_xor_b32 exec_lo, exec_lo, s40
	s_cbranch_execnz .LBB6_4892
.LBB6_4026:                             ;   in Loop: Header=BB6_3661 Depth=2
	s_or_b32 exec_lo, exec_lo, s40
	s_and_saveexec_b32 s40, s13
	s_cbranch_execz .LBB6_4028
.LBB6_4027:                             ;   in Loop: Header=BB6_3661 Depth=2
	v_and_b32_e32 v2, 3, v108
	v_lshrrev_b16 v30, 2, v108
	v_lshlrev_b32_e32 v40, 24, v108
	v_ffbh_u32_e32 v3, v2
	v_and_b32_e32 v30, 31, v30
	v_min_u32_e32 v3, 32, v3
	v_cmp_eq_u32_e32 vcc_lo, 0, v30
	v_subrev_nc_u32_e32 v119, 29, v3
	v_sub_nc_u32_e32 v3, 30, v3
	v_lshlrev_b32_e32 v119, v119, v108
	v_cndmask_b32_e32 v3, v30, v3, vcc_lo
	v_and_b32_e32 v30, 0x80000000, v40
	v_and_b32_e32 v119, 3, v119
	v_lshl_add_u32 v3, v3, 23, 0x37800000
	v_cndmask_b32_e32 v2, v2, v119, vcc_lo
	v_lshlrev_b32_e32 v2, 21, v2
	v_or3_b32 v119, v30, v3, v2
.LBB6_4028:                             ;   in Loop: Header=BB6_3661 Depth=2
	s_or_b32 exec_lo, exec_lo, s40
	s_waitcnt vmcnt(21) lgkmcnt(21)
	v_cmp_gt_i16_sdwa s40, v73, v57 src0_sel:BYTE_0 src1_sel:DWORD
	s_mov_b32 s13, 0
	s_and_saveexec_b32 s41, s40
	s_xor_b32 s40, exec_lo, s41
	s_cbranch_execz .LBB6_4893
; %bb.4029:                             ;   in Loop: Header=BB6_3661 Depth=2
	v_cmp_eq_u16_sdwa s42, v73, v58 src0_sel:BYTE_0 src1_sel:DWORD
	s_mov_b32 s13, -1
	s_and_saveexec_b32 s41, s42
; %bb.4030:                             ;   in Loop: Header=BB6_3661 Depth=2
	s_xor_b32 s13, exec_lo, -1
; %bb.4031:                             ;   in Loop: Header=BB6_3661 Depth=2
	s_or_b32 exec_lo, exec_lo, s41
	s_and_b32 s13, s13, exec_lo
	s_or_saveexec_b32 s40, s40
	v_mov_b32_e32 v2, 0x7f800001
	s_xor_b32 exec_lo, exec_lo, s40
	s_cbranch_execnz .LBB6_4894
.LBB6_4032:                             ;   in Loop: Header=BB6_3661 Depth=2
	s_or_b32 exec_lo, exec_lo, s40
	s_and_saveexec_b32 s40, s13
	s_cbranch_execz .LBB6_4034
.LBB6_4033:                             ;   in Loop: Header=BB6_3661 Depth=2
	v_and_b32_e32 v2, 3, v73
	v_lshrrev_b16 v30, 2, v73
	v_lshlrev_b32_e32 v42, 24, v73
	v_ffbh_u32_e32 v3, v2
	v_and_b32_e32 v30, 31, v30
	v_min_u32_e32 v3, 32, v3
	v_cmp_eq_u32_e32 vcc_lo, 0, v30
	v_subrev_nc_u32_e32 v40, 29, v3
	v_sub_nc_u32_e32 v3, 30, v3
	v_lshlrev_b32_e32 v40, v40, v73
	v_cndmask_b32_e32 v3, v30, v3, vcc_lo
	v_and_b32_e32 v30, 0x80000000, v42
	v_and_b32_e32 v40, 3, v40
	v_lshl_add_u32 v3, v3, 23, 0x37800000
	v_cndmask_b32_e32 v2, v2, v40, vcc_lo
	v_lshlrev_b32_e32 v2, 21, v2
	v_or3_b32 v2, v30, v3, v2
.LBB6_4034:                             ;   in Loop: Header=BB6_3661 Depth=2
	s_or_b32 exec_lo, exec_lo, s40
	v_max_f32_e32 v2, v2, v2
	v_max_f32_e32 v3, v119, v119
	s_mov_b32 s13, 0
	v_max_f32_e32 v119, v3, v2
.LBB6_4035:                             ;   in Loop: Header=BB6_3661 Depth=2
	s_and_b32 vcc_lo, exec_lo, s13
	s_cbranch_vccz .LBB6_4049
; %bb.4036:                             ;   in Loop: Header=BB6_3661 Depth=2
	v_cmp_gt_i16_sdwa s40, v108, v57 src0_sel:BYTE_0 src1_sel:DWORD
	s_mov_b32 s13, 0
	s_and_saveexec_b32 s41, s40
	s_xor_b32 s40, exec_lo, s41
	s_cbranch_execz .LBB6_4895
; %bb.4037:                             ;   in Loop: Header=BB6_3661 Depth=2
	v_cmp_eq_u16_sdwa s42, v108, v58 src0_sel:BYTE_0 src1_sel:DWORD
	s_mov_b32 s13, -1
	s_and_saveexec_b32 s41, s42
; %bb.4038:                             ;   in Loop: Header=BB6_3661 Depth=2
	s_xor_b32 s13, exec_lo, -1
; %bb.4039:                             ;   in Loop: Header=BB6_3661 Depth=2
	s_or_b32 exec_lo, exec_lo, s41
	s_and_b32 s13, s13, exec_lo
	s_or_saveexec_b32 s40, s40
	v_mov_b32_e32 v119, 0x7f800001
	s_xor_b32 exec_lo, exec_lo, s40
	s_cbranch_execnz .LBB6_4896
.LBB6_4040:                             ;   in Loop: Header=BB6_3661 Depth=2
	s_or_b32 exec_lo, exec_lo, s40
	s_and_saveexec_b32 s40, s13
	s_cbranch_execz .LBB6_4042
.LBB6_4041:                             ;   in Loop: Header=BB6_3661 Depth=2
	v_and_b32_e32 v2, 3, v108
	v_lshrrev_b16 v30, 2, v108
	v_lshlrev_b32_e32 v40, 24, v108
	v_ffbh_u32_e32 v3, v2
	v_and_b32_e32 v30, 31, v30
	v_min_u32_e32 v3, 32, v3
	v_cmp_eq_u32_e32 vcc_lo, 0, v30
	v_subrev_nc_u32_e32 v119, 29, v3
	v_sub_nc_u32_e32 v3, 30, v3
	v_lshlrev_b32_e32 v119, v119, v108
	v_cndmask_b32_e32 v3, v30, v3, vcc_lo
	v_and_b32_e32 v30, 0x80000000, v40
	v_and_b32_e32 v119, 3, v119
	v_lshl_add_u32 v3, v3, 23, 0x37800000
	v_cndmask_b32_e32 v2, v2, v119, vcc_lo
	v_lshlrev_b32_e32 v2, 21, v2
	v_or3_b32 v119, v30, v3, v2
.LBB6_4042:                             ;   in Loop: Header=BB6_3661 Depth=2
	s_or_b32 exec_lo, exec_lo, s40
	s_waitcnt vmcnt(21) lgkmcnt(21)
	v_cmp_gt_i16_sdwa s40, v73, v57 src0_sel:BYTE_0 src1_sel:DWORD
	s_mov_b32 s13, 0
	s_and_saveexec_b32 s41, s40
	s_xor_b32 s40, exec_lo, s41
	s_cbranch_execz .LBB6_4897
; %bb.4043:                             ;   in Loop: Header=BB6_3661 Depth=2
	v_cmp_eq_u16_sdwa s42, v73, v58 src0_sel:BYTE_0 src1_sel:DWORD
	s_mov_b32 s13, -1
	s_and_saveexec_b32 s41, s42
; %bb.4044:                             ;   in Loop: Header=BB6_3661 Depth=2
	s_xor_b32 s13, exec_lo, -1
; %bb.4045:                             ;   in Loop: Header=BB6_3661 Depth=2
	s_or_b32 exec_lo, exec_lo, s41
	s_and_b32 s13, s13, exec_lo
	s_or_saveexec_b32 s40, s40
	v_mov_b32_e32 v2, 0x7f800001
	s_xor_b32 exec_lo, exec_lo, s40
	s_cbranch_execnz .LBB6_4898
.LBB6_4046:                             ;   in Loop: Header=BB6_3661 Depth=2
	s_or_b32 exec_lo, exec_lo, s40
	s_and_saveexec_b32 s40, s13
	s_cbranch_execz .LBB6_4048
.LBB6_4047:                             ;   in Loop: Header=BB6_3661 Depth=2
	v_and_b32_e32 v2, 3, v73
	v_lshrrev_b16 v30, 2, v73
	v_lshlrev_b32_e32 v42, 24, v73
	v_ffbh_u32_e32 v3, v2
	v_and_b32_e32 v30, 31, v30
	v_min_u32_e32 v3, 32, v3
	v_cmp_eq_u32_e32 vcc_lo, 0, v30
	v_subrev_nc_u32_e32 v40, 29, v3
	v_sub_nc_u32_e32 v3, 30, v3
	v_lshlrev_b32_e32 v40, v40, v73
	v_cndmask_b32_e32 v3, v30, v3, vcc_lo
	v_and_b32_e32 v30, 0x80000000, v42
	v_and_b32_e32 v40, 3, v40
	v_lshl_add_u32 v3, v3, 23, 0x37800000
	v_cndmask_b32_e32 v2, v2, v40, vcc_lo
	v_lshlrev_b32_e32 v2, 21, v2
	v_or3_b32 v2, v30, v3, v2
.LBB6_4048:                             ;   in Loop: Header=BB6_3661 Depth=2
	s_or_b32 exec_lo, exec_lo, s40
	v_max_f32_e32 v2, v2, v2
	v_max_f32_e32 v3, v119, v119
	v_min_f32_e32 v119, v3, v2
.LBB6_4049:                             ;   in Loop: Header=BB6_3661 Depth=2
	v_and_b32_e32 v2, 0x7f800000, v119
	s_waitcnt vmcnt(21) lgkmcnt(21)
	v_mov_b32_e32 v73, 0x80
	s_mov_b32 s40, exec_lo
	v_cmpx_ne_u32_e32 0x7f800000, v2
	s_cbranch_execz .LBB6_4057
; %bb.4050:                             ;   in Loop: Header=BB6_3661 Depth=2
	v_mov_b32_e32 v73, 0
	s_mov_b32 s41, exec_lo
	v_cmpx_ne_u32_e32 0, v119
	s_cbranch_execz .LBB6_4056
; %bb.4051:                             ;   in Loop: Header=BB6_3661 Depth=2
	v_bfe_u32 v2, v119, 23, 8
	v_and_b32_e32 v3, 0x7fffff, v119
	v_sub_nc_u32_e32 v30, 0x70, v2
	v_cmp_gt_u32_e32 vcc_lo, 0x71, v2
	v_or_b32_e32 v40, 0x800000, v3
	v_cndmask_b32_e32 v30, 0, v30, vcc_lo
	v_cmp_eq_u32_e32 vcc_lo, 0, v2
	v_add_nc_u32_e32 v2, 0xffffff91, v2
	v_cndmask_b32_e64 v30, v30, 0x6f, vcc_lo
	v_cndmask_b32_e32 v3, v40, v3, vcc_lo
	v_cndmask_b32_e64 v2, v2, 0xffffff92, vcc_lo
	v_lshl_add_u32 v40, 0x200000, v30, -1
	v_lshrrev_b32_e32 v42, v30, v3
	v_lshlrev_b32_e64 v108, v30, 0x100000
	v_add_nc_u32_e32 v30, v30, v2
	v_and_b32_e32 v3, v40, v3
	v_bfe_u32 v73, v42, 21, 1
	v_cmp_eq_u32_e64 s13, v3, v108
	v_add_nc_u32_e32 v40, -1, v73
	v_cndmask_b32_e64 v3, 0, v40, s13
	v_lshrrev_b32_e32 v40, 23, v42
	s_mov_b32 s13, exec_lo
	v_add_nc_u32_e32 v3, v3, v42
	v_xor_b32_e32 v40, 1, v40
	v_and_b32_e32 v2, 0x1fffff, v3
	v_add_nc_u32_e32 v3, v2, v42
                                        ; implicit-def: $vgpr2
	v_cmpx_ne_u32_e64 v30, v40
	s_xor_b32 s13, exec_lo, s13
; %bb.4052:                             ;   in Loop: Header=BB6_3661 Depth=2
	v_cmp_lt_u32_e32 vcc_lo, 0xffffff, v3
	v_sub_nc_u32_e32 v2, v30, v40
	v_cndmask_b32_e64 v30, 0, 1, vcc_lo
	v_add_co_ci_u32_e64 v2, null, 0, v2, vcc_lo
	v_lshrrev_b32_e32 v3, v30, v3
; %bb.4053:                             ;   in Loop: Header=BB6_3661 Depth=2
	s_andn2_saveexec_b32 s13, s13
; %bb.4054:                             ;   in Loop: Header=BB6_3661 Depth=2
	v_bfe_u32 v2, v3, 23, 1
; %bb.4055:                             ;   in Loop: Header=BB6_3661 Depth=2
	s_or_b32 exec_lo, exec_lo, s13
	v_lshrrev_b32_e32 v3, 21, v3
	v_cmp_gt_i32_e32 vcc_lo, 32, v2
	v_min_i32_e32 v30, 31, v2
	v_and_b32_sdwa v119, v119, v58 dst_sel:DWORD dst_unused:UNUSED_PAD src0_sel:BYTE_3 src1_sel:DWORD
	v_cndmask_b32_e32 v3, 3, v3, vcc_lo
	v_lshlrev_b32_e32 v30, 2, v30
	v_and_b32_e32 v40, 3, v3
	v_or_b32_e32 v2, v2, v3
	v_or3_b32 v3, v30, v119, v40
	v_cmp_ne_u32_e32 vcc_lo, 0, v2
	v_cndmask_b32_e32 v73, 0, v3, vcc_lo
.LBB6_4056:                             ;   in Loop: Header=BB6_3661 Depth=2
	s_or_b32 exec_lo, exec_lo, s41
.LBB6_4057:                             ;   in Loop: Header=BB6_3661 Depth=2
	s_or_b32 exec_lo, exec_lo, s40
	v_cmp_gt_i16_sdwa s40, v107, v57 src0_sel:BYTE_0 src1_sel:DWORD
	s_andn2_b32 vcc_lo, exec_lo, s28
	s_mov_b32 s13, -1
                                        ; implicit-def: $vgpr119
	s_cbranch_vccnz .LBB6_4071
; %bb.4058:                             ;   in Loop: Header=BB6_3661 Depth=2
	s_mov_b32 s13, 0
	s_and_saveexec_b32 s41, s40
	s_xor_b32 s40, exec_lo, s41
	s_cbranch_execz .LBB6_4899
; %bb.4059:                             ;   in Loop: Header=BB6_3661 Depth=2
	v_cmp_eq_u16_sdwa s42, v107, v58 src0_sel:BYTE_0 src1_sel:DWORD
	s_mov_b32 s13, -1
	s_and_saveexec_b32 s41, s42
; %bb.4060:                             ;   in Loop: Header=BB6_3661 Depth=2
	s_xor_b32 s13, exec_lo, -1
; %bb.4061:                             ;   in Loop: Header=BB6_3661 Depth=2
	s_or_b32 exec_lo, exec_lo, s41
	s_and_b32 s13, s13, exec_lo
	s_or_saveexec_b32 s40, s40
	v_mov_b32_e32 v119, 0x7f800001
	s_xor_b32 exec_lo, exec_lo, s40
	s_cbranch_execnz .LBB6_4900
.LBB6_4062:                             ;   in Loop: Header=BB6_3661 Depth=2
	s_or_b32 exec_lo, exec_lo, s40
	s_and_saveexec_b32 s40, s13
	s_cbranch_execz .LBB6_4064
.LBB6_4063:                             ;   in Loop: Header=BB6_3661 Depth=2
	v_and_b32_e32 v2, 3, v107
	v_lshrrev_b16 v30, 2, v107
	v_lshlrev_b32_e32 v40, 24, v107
	v_ffbh_u32_e32 v3, v2
	v_and_b32_e32 v30, 31, v30
	v_min_u32_e32 v3, 32, v3
	v_cmp_eq_u32_e32 vcc_lo, 0, v30
	v_subrev_nc_u32_e32 v119, 29, v3
	v_sub_nc_u32_e32 v3, 30, v3
	v_lshlrev_b32_e32 v119, v119, v107
	v_cndmask_b32_e32 v3, v30, v3, vcc_lo
	v_and_b32_e32 v30, 0x80000000, v40
	v_and_b32_e32 v119, 3, v119
	v_lshl_add_u32 v3, v3, 23, 0x37800000
	v_cndmask_b32_e32 v2, v2, v119, vcc_lo
	v_lshlrev_b32_e32 v2, 21, v2
	v_or3_b32 v119, v30, v3, v2
.LBB6_4064:                             ;   in Loop: Header=BB6_3661 Depth=2
	s_or_b32 exec_lo, exec_lo, s40
	s_waitcnt vmcnt(20) lgkmcnt(20)
	v_cmp_gt_i16_sdwa s40, v76, v57 src0_sel:BYTE_0 src1_sel:DWORD
	s_mov_b32 s13, 0
	s_and_saveexec_b32 s41, s40
	s_xor_b32 s40, exec_lo, s41
	s_cbranch_execz .LBB6_4901
; %bb.4065:                             ;   in Loop: Header=BB6_3661 Depth=2
	v_cmp_eq_u16_sdwa s42, v76, v58 src0_sel:BYTE_0 src1_sel:DWORD
	s_mov_b32 s13, -1
	s_and_saveexec_b32 s41, s42
; %bb.4066:                             ;   in Loop: Header=BB6_3661 Depth=2
	s_xor_b32 s13, exec_lo, -1
; %bb.4067:                             ;   in Loop: Header=BB6_3661 Depth=2
	s_or_b32 exec_lo, exec_lo, s41
	s_and_b32 s13, s13, exec_lo
	s_or_saveexec_b32 s40, s40
	v_mov_b32_e32 v2, 0x7f800001
	s_xor_b32 exec_lo, exec_lo, s40
	s_cbranch_execnz .LBB6_4902
.LBB6_4068:                             ;   in Loop: Header=BB6_3661 Depth=2
	s_or_b32 exec_lo, exec_lo, s40
	s_and_saveexec_b32 s40, s13
	s_cbranch_execz .LBB6_4070
.LBB6_4069:                             ;   in Loop: Header=BB6_3661 Depth=2
	v_and_b32_e32 v2, 3, v76
	v_lshrrev_b16 v30, 2, v76
	v_lshlrev_b32_e32 v42, 24, v76
	v_ffbh_u32_e32 v3, v2
	v_and_b32_e32 v30, 31, v30
	v_min_u32_e32 v3, 32, v3
	v_cmp_eq_u32_e32 vcc_lo, 0, v30
	v_subrev_nc_u32_e32 v40, 29, v3
	v_sub_nc_u32_e32 v3, 30, v3
	v_lshlrev_b32_e32 v40, v40, v76
	v_cndmask_b32_e32 v3, v30, v3, vcc_lo
	v_and_b32_e32 v30, 0x80000000, v42
	v_and_b32_e32 v40, 3, v40
	v_lshl_add_u32 v3, v3, 23, 0x37800000
	v_cndmask_b32_e32 v2, v2, v40, vcc_lo
	v_lshlrev_b32_e32 v2, 21, v2
	v_or3_b32 v2, v30, v3, v2
.LBB6_4070:                             ;   in Loop: Header=BB6_3661 Depth=2
	s_or_b32 exec_lo, exec_lo, s40
	v_max_f32_e32 v2, v2, v2
	v_max_f32_e32 v3, v119, v119
	s_mov_b32 s13, 0
	v_max_f32_e32 v119, v3, v2
.LBB6_4071:                             ;   in Loop: Header=BB6_3661 Depth=2
	s_and_b32 vcc_lo, exec_lo, s13
	s_cbranch_vccz .LBB6_4085
; %bb.4072:                             ;   in Loop: Header=BB6_3661 Depth=2
	v_cmp_gt_i16_sdwa s40, v107, v57 src0_sel:BYTE_0 src1_sel:DWORD
	s_mov_b32 s13, 0
	s_and_saveexec_b32 s41, s40
	s_xor_b32 s40, exec_lo, s41
	s_cbranch_execz .LBB6_4903
; %bb.4073:                             ;   in Loop: Header=BB6_3661 Depth=2
	v_cmp_eq_u16_sdwa s42, v107, v58 src0_sel:BYTE_0 src1_sel:DWORD
	s_mov_b32 s13, -1
	s_and_saveexec_b32 s41, s42
; %bb.4074:                             ;   in Loop: Header=BB6_3661 Depth=2
	s_xor_b32 s13, exec_lo, -1
; %bb.4075:                             ;   in Loop: Header=BB6_3661 Depth=2
	s_or_b32 exec_lo, exec_lo, s41
	s_and_b32 s13, s13, exec_lo
	s_or_saveexec_b32 s40, s40
	v_mov_b32_e32 v119, 0x7f800001
	s_xor_b32 exec_lo, exec_lo, s40
	s_cbranch_execnz .LBB6_4904
.LBB6_4076:                             ;   in Loop: Header=BB6_3661 Depth=2
	s_or_b32 exec_lo, exec_lo, s40
	s_and_saveexec_b32 s40, s13
	s_cbranch_execz .LBB6_4078
.LBB6_4077:                             ;   in Loop: Header=BB6_3661 Depth=2
	v_and_b32_e32 v2, 3, v107
	v_lshrrev_b16 v30, 2, v107
	v_lshlrev_b32_e32 v40, 24, v107
	v_ffbh_u32_e32 v3, v2
	v_and_b32_e32 v30, 31, v30
	v_min_u32_e32 v3, 32, v3
	v_cmp_eq_u32_e32 vcc_lo, 0, v30
	v_subrev_nc_u32_e32 v119, 29, v3
	v_sub_nc_u32_e32 v3, 30, v3
	v_lshlrev_b32_e32 v119, v119, v107
	v_cndmask_b32_e32 v3, v30, v3, vcc_lo
	v_and_b32_e32 v30, 0x80000000, v40
	v_and_b32_e32 v119, 3, v119
	v_lshl_add_u32 v3, v3, 23, 0x37800000
	v_cndmask_b32_e32 v2, v2, v119, vcc_lo
	v_lshlrev_b32_e32 v2, 21, v2
	v_or3_b32 v119, v30, v3, v2
.LBB6_4078:                             ;   in Loop: Header=BB6_3661 Depth=2
	s_or_b32 exec_lo, exec_lo, s40
	s_waitcnt vmcnt(20) lgkmcnt(20)
	v_cmp_gt_i16_sdwa s40, v76, v57 src0_sel:BYTE_0 src1_sel:DWORD
	s_mov_b32 s13, 0
	s_and_saveexec_b32 s41, s40
	s_xor_b32 s40, exec_lo, s41
	s_cbranch_execz .LBB6_4905
; %bb.4079:                             ;   in Loop: Header=BB6_3661 Depth=2
	v_cmp_eq_u16_sdwa s42, v76, v58 src0_sel:BYTE_0 src1_sel:DWORD
	s_mov_b32 s13, -1
	s_and_saveexec_b32 s41, s42
; %bb.4080:                             ;   in Loop: Header=BB6_3661 Depth=2
	s_xor_b32 s13, exec_lo, -1
; %bb.4081:                             ;   in Loop: Header=BB6_3661 Depth=2
	s_or_b32 exec_lo, exec_lo, s41
	s_and_b32 s13, s13, exec_lo
	s_or_saveexec_b32 s40, s40
	v_mov_b32_e32 v2, 0x7f800001
	s_xor_b32 exec_lo, exec_lo, s40
	s_cbranch_execnz .LBB6_4906
.LBB6_4082:                             ;   in Loop: Header=BB6_3661 Depth=2
	s_or_b32 exec_lo, exec_lo, s40
	s_and_saveexec_b32 s40, s13
	s_cbranch_execz .LBB6_4084
.LBB6_4083:                             ;   in Loop: Header=BB6_3661 Depth=2
	v_and_b32_e32 v2, 3, v76
	v_lshrrev_b16 v30, 2, v76
	v_lshlrev_b32_e32 v42, 24, v76
	v_ffbh_u32_e32 v3, v2
	v_and_b32_e32 v30, 31, v30
	v_min_u32_e32 v3, 32, v3
	v_cmp_eq_u32_e32 vcc_lo, 0, v30
	v_subrev_nc_u32_e32 v40, 29, v3
	v_sub_nc_u32_e32 v3, 30, v3
	v_lshlrev_b32_e32 v40, v40, v76
	v_cndmask_b32_e32 v3, v30, v3, vcc_lo
	v_and_b32_e32 v30, 0x80000000, v42
	v_and_b32_e32 v40, 3, v40
	v_lshl_add_u32 v3, v3, 23, 0x37800000
	v_cndmask_b32_e32 v2, v2, v40, vcc_lo
	v_lshlrev_b32_e32 v2, 21, v2
	v_or3_b32 v2, v30, v3, v2
.LBB6_4084:                             ;   in Loop: Header=BB6_3661 Depth=2
	s_or_b32 exec_lo, exec_lo, s40
	v_max_f32_e32 v2, v2, v2
	v_max_f32_e32 v3, v119, v119
	v_min_f32_e32 v119, v3, v2
.LBB6_4085:                             ;   in Loop: Header=BB6_3661 Depth=2
	v_and_b32_e32 v2, 0x7f800000, v119
	s_waitcnt vmcnt(20) lgkmcnt(20)
	v_mov_b32_e32 v76, 0x80
	s_mov_b32 s40, exec_lo
	v_cmpx_ne_u32_e32 0x7f800000, v2
	s_cbranch_execz .LBB6_4093
; %bb.4086:                             ;   in Loop: Header=BB6_3661 Depth=2
	v_mov_b32_e32 v76, 0
	s_mov_b32 s41, exec_lo
	v_cmpx_ne_u32_e32 0, v119
	s_cbranch_execz .LBB6_4092
; %bb.4087:                             ;   in Loop: Header=BB6_3661 Depth=2
	v_bfe_u32 v2, v119, 23, 8
	v_and_b32_e32 v3, 0x7fffff, v119
	v_sub_nc_u32_e32 v30, 0x70, v2
	v_cmp_gt_u32_e32 vcc_lo, 0x71, v2
	v_or_b32_e32 v40, 0x800000, v3
	v_cndmask_b32_e32 v30, 0, v30, vcc_lo
	v_cmp_eq_u32_e32 vcc_lo, 0, v2
	v_add_nc_u32_e32 v2, 0xffffff91, v2
	v_cndmask_b32_e64 v30, v30, 0x6f, vcc_lo
	v_cndmask_b32_e32 v3, v40, v3, vcc_lo
	v_cndmask_b32_e64 v2, v2, 0xffffff92, vcc_lo
	v_lshl_add_u32 v40, 0x200000, v30, -1
	v_lshrrev_b32_e32 v42, v30, v3
	v_lshlrev_b32_e64 v107, v30, 0x100000
	v_add_nc_u32_e32 v30, v30, v2
	v_and_b32_e32 v3, v40, v3
	v_bfe_u32 v76, v42, 21, 1
	v_cmp_eq_u32_e64 s13, v3, v107
	v_add_nc_u32_e32 v40, -1, v76
	v_cndmask_b32_e64 v3, 0, v40, s13
	v_lshrrev_b32_e32 v40, 23, v42
	s_mov_b32 s13, exec_lo
	v_add_nc_u32_e32 v3, v3, v42
	v_xor_b32_e32 v40, 1, v40
	v_and_b32_e32 v2, 0x1fffff, v3
	v_add_nc_u32_e32 v3, v2, v42
                                        ; implicit-def: $vgpr2
	v_cmpx_ne_u32_e64 v30, v40
	s_xor_b32 s13, exec_lo, s13
; %bb.4088:                             ;   in Loop: Header=BB6_3661 Depth=2
	v_cmp_lt_u32_e32 vcc_lo, 0xffffff, v3
	v_sub_nc_u32_e32 v2, v30, v40
	v_cndmask_b32_e64 v30, 0, 1, vcc_lo
	v_add_co_ci_u32_e64 v2, null, 0, v2, vcc_lo
	v_lshrrev_b32_e32 v3, v30, v3
; %bb.4089:                             ;   in Loop: Header=BB6_3661 Depth=2
	s_andn2_saveexec_b32 s13, s13
; %bb.4090:                             ;   in Loop: Header=BB6_3661 Depth=2
	v_bfe_u32 v2, v3, 23, 1
; %bb.4091:                             ;   in Loop: Header=BB6_3661 Depth=2
	s_or_b32 exec_lo, exec_lo, s13
	v_lshrrev_b32_e32 v3, 21, v3
	v_cmp_gt_i32_e32 vcc_lo, 32, v2
	v_min_i32_e32 v30, 31, v2
	v_and_b32_sdwa v119, v119, v58 dst_sel:DWORD dst_unused:UNUSED_PAD src0_sel:BYTE_3 src1_sel:DWORD
	v_cndmask_b32_e32 v3, 3, v3, vcc_lo
	v_lshlrev_b32_e32 v30, 2, v30
	v_and_b32_e32 v40, 3, v3
	v_or_b32_e32 v2, v2, v3
	v_or3_b32 v3, v30, v119, v40
	v_cmp_ne_u32_e32 vcc_lo, 0, v2
	v_cndmask_b32_e32 v76, 0, v3, vcc_lo
.LBB6_4092:                             ;   in Loop: Header=BB6_3661 Depth=2
	s_or_b32 exec_lo, exec_lo, s41
.LBB6_4093:                             ;   in Loop: Header=BB6_3661 Depth=2
	s_or_b32 exec_lo, exec_lo, s40
	v_cmp_gt_i16_sdwa s40, v106, v57 src0_sel:BYTE_0 src1_sel:DWORD
	s_andn2_b32 vcc_lo, exec_lo, s28
	s_mov_b32 s13, -1
                                        ; implicit-def: $vgpr119
	s_cbranch_vccnz .LBB6_4107
; %bb.4094:                             ;   in Loop: Header=BB6_3661 Depth=2
	s_mov_b32 s13, 0
	s_and_saveexec_b32 s41, s40
	s_xor_b32 s40, exec_lo, s41
	s_cbranch_execz .LBB6_4907
; %bb.4095:                             ;   in Loop: Header=BB6_3661 Depth=2
	v_cmp_eq_u16_sdwa s42, v106, v58 src0_sel:BYTE_0 src1_sel:DWORD
	s_mov_b32 s13, -1
	s_and_saveexec_b32 s41, s42
; %bb.4096:                             ;   in Loop: Header=BB6_3661 Depth=2
	s_xor_b32 s13, exec_lo, -1
; %bb.4097:                             ;   in Loop: Header=BB6_3661 Depth=2
	s_or_b32 exec_lo, exec_lo, s41
	s_and_b32 s13, s13, exec_lo
	s_or_saveexec_b32 s40, s40
	v_mov_b32_e32 v119, 0x7f800001
	s_xor_b32 exec_lo, exec_lo, s40
	s_cbranch_execnz .LBB6_4908
.LBB6_4098:                             ;   in Loop: Header=BB6_3661 Depth=2
	s_or_b32 exec_lo, exec_lo, s40
	s_and_saveexec_b32 s40, s13
	s_cbranch_execz .LBB6_4100
.LBB6_4099:                             ;   in Loop: Header=BB6_3661 Depth=2
	v_and_b32_e32 v2, 3, v106
	v_lshrrev_b16 v30, 2, v106
	v_lshlrev_b32_e32 v40, 24, v106
	v_ffbh_u32_e32 v3, v2
	v_and_b32_e32 v30, 31, v30
	v_min_u32_e32 v3, 32, v3
	v_cmp_eq_u32_e32 vcc_lo, 0, v30
	v_subrev_nc_u32_e32 v119, 29, v3
	v_sub_nc_u32_e32 v3, 30, v3
	v_lshlrev_b32_e32 v119, v119, v106
	v_cndmask_b32_e32 v3, v30, v3, vcc_lo
	v_and_b32_e32 v30, 0x80000000, v40
	v_and_b32_e32 v119, 3, v119
	v_lshl_add_u32 v3, v3, 23, 0x37800000
	v_cndmask_b32_e32 v2, v2, v119, vcc_lo
	v_lshlrev_b32_e32 v2, 21, v2
	v_or3_b32 v119, v30, v3, v2
.LBB6_4100:                             ;   in Loop: Header=BB6_3661 Depth=2
	s_or_b32 exec_lo, exec_lo, s40
	s_waitcnt vmcnt(19) lgkmcnt(19)
	v_cmp_gt_i16_sdwa s40, v79, v57 src0_sel:BYTE_0 src1_sel:DWORD
	s_mov_b32 s13, 0
	s_and_saveexec_b32 s41, s40
	s_xor_b32 s40, exec_lo, s41
	s_cbranch_execz .LBB6_4909
; %bb.4101:                             ;   in Loop: Header=BB6_3661 Depth=2
	v_cmp_eq_u16_sdwa s42, v79, v58 src0_sel:BYTE_0 src1_sel:DWORD
	s_mov_b32 s13, -1
	s_and_saveexec_b32 s41, s42
; %bb.4102:                             ;   in Loop: Header=BB6_3661 Depth=2
	s_xor_b32 s13, exec_lo, -1
; %bb.4103:                             ;   in Loop: Header=BB6_3661 Depth=2
	s_or_b32 exec_lo, exec_lo, s41
	s_and_b32 s13, s13, exec_lo
	s_or_saveexec_b32 s40, s40
	v_mov_b32_e32 v2, 0x7f800001
	s_xor_b32 exec_lo, exec_lo, s40
	s_cbranch_execnz .LBB6_4910
.LBB6_4104:                             ;   in Loop: Header=BB6_3661 Depth=2
	s_or_b32 exec_lo, exec_lo, s40
	s_and_saveexec_b32 s40, s13
	s_cbranch_execz .LBB6_4106
.LBB6_4105:                             ;   in Loop: Header=BB6_3661 Depth=2
	v_and_b32_e32 v2, 3, v79
	v_lshrrev_b16 v30, 2, v79
	v_lshlrev_b32_e32 v42, 24, v79
	v_ffbh_u32_e32 v3, v2
	v_and_b32_e32 v30, 31, v30
	v_min_u32_e32 v3, 32, v3
	v_cmp_eq_u32_e32 vcc_lo, 0, v30
	v_subrev_nc_u32_e32 v40, 29, v3
	v_sub_nc_u32_e32 v3, 30, v3
	v_lshlrev_b32_e32 v40, v40, v79
	v_cndmask_b32_e32 v3, v30, v3, vcc_lo
	v_and_b32_e32 v30, 0x80000000, v42
	v_and_b32_e32 v40, 3, v40
	v_lshl_add_u32 v3, v3, 23, 0x37800000
	v_cndmask_b32_e32 v2, v2, v40, vcc_lo
	v_lshlrev_b32_e32 v2, 21, v2
	v_or3_b32 v2, v30, v3, v2
.LBB6_4106:                             ;   in Loop: Header=BB6_3661 Depth=2
	s_or_b32 exec_lo, exec_lo, s40
	v_max_f32_e32 v2, v2, v2
	v_max_f32_e32 v3, v119, v119
	s_mov_b32 s13, 0
	v_max_f32_e32 v119, v3, v2
.LBB6_4107:                             ;   in Loop: Header=BB6_3661 Depth=2
	s_and_b32 vcc_lo, exec_lo, s13
	s_cbranch_vccz .LBB6_4121
; %bb.4108:                             ;   in Loop: Header=BB6_3661 Depth=2
	v_cmp_gt_i16_sdwa s40, v106, v57 src0_sel:BYTE_0 src1_sel:DWORD
	s_mov_b32 s13, 0
	s_and_saveexec_b32 s41, s40
	s_xor_b32 s40, exec_lo, s41
	s_cbranch_execz .LBB6_4911
; %bb.4109:                             ;   in Loop: Header=BB6_3661 Depth=2
	v_cmp_eq_u16_sdwa s42, v106, v58 src0_sel:BYTE_0 src1_sel:DWORD
	s_mov_b32 s13, -1
	s_and_saveexec_b32 s41, s42
; %bb.4110:                             ;   in Loop: Header=BB6_3661 Depth=2
	s_xor_b32 s13, exec_lo, -1
; %bb.4111:                             ;   in Loop: Header=BB6_3661 Depth=2
	s_or_b32 exec_lo, exec_lo, s41
	s_and_b32 s13, s13, exec_lo
	s_or_saveexec_b32 s40, s40
	v_mov_b32_e32 v119, 0x7f800001
	s_xor_b32 exec_lo, exec_lo, s40
	s_cbranch_execnz .LBB6_4912
.LBB6_4112:                             ;   in Loop: Header=BB6_3661 Depth=2
	s_or_b32 exec_lo, exec_lo, s40
	s_and_saveexec_b32 s40, s13
	s_cbranch_execz .LBB6_4114
.LBB6_4113:                             ;   in Loop: Header=BB6_3661 Depth=2
	v_and_b32_e32 v2, 3, v106
	v_lshrrev_b16 v30, 2, v106
	v_lshlrev_b32_e32 v40, 24, v106
	v_ffbh_u32_e32 v3, v2
	v_and_b32_e32 v30, 31, v30
	v_min_u32_e32 v3, 32, v3
	v_cmp_eq_u32_e32 vcc_lo, 0, v30
	v_subrev_nc_u32_e32 v119, 29, v3
	v_sub_nc_u32_e32 v3, 30, v3
	v_lshlrev_b32_e32 v119, v119, v106
	v_cndmask_b32_e32 v3, v30, v3, vcc_lo
	v_and_b32_e32 v30, 0x80000000, v40
	v_and_b32_e32 v119, 3, v119
	v_lshl_add_u32 v3, v3, 23, 0x37800000
	v_cndmask_b32_e32 v2, v2, v119, vcc_lo
	v_lshlrev_b32_e32 v2, 21, v2
	v_or3_b32 v119, v30, v3, v2
.LBB6_4114:                             ;   in Loop: Header=BB6_3661 Depth=2
	s_or_b32 exec_lo, exec_lo, s40
	s_waitcnt vmcnt(19) lgkmcnt(19)
	v_cmp_gt_i16_sdwa s40, v79, v57 src0_sel:BYTE_0 src1_sel:DWORD
	s_mov_b32 s13, 0
	s_and_saveexec_b32 s41, s40
	s_xor_b32 s40, exec_lo, s41
	s_cbranch_execz .LBB6_4913
; %bb.4115:                             ;   in Loop: Header=BB6_3661 Depth=2
	v_cmp_eq_u16_sdwa s42, v79, v58 src0_sel:BYTE_0 src1_sel:DWORD
	s_mov_b32 s13, -1
	s_and_saveexec_b32 s41, s42
; %bb.4116:                             ;   in Loop: Header=BB6_3661 Depth=2
	s_xor_b32 s13, exec_lo, -1
; %bb.4117:                             ;   in Loop: Header=BB6_3661 Depth=2
	s_or_b32 exec_lo, exec_lo, s41
	s_and_b32 s13, s13, exec_lo
	s_or_saveexec_b32 s40, s40
	v_mov_b32_e32 v2, 0x7f800001
	s_xor_b32 exec_lo, exec_lo, s40
	s_cbranch_execnz .LBB6_4914
.LBB6_4118:                             ;   in Loop: Header=BB6_3661 Depth=2
	s_or_b32 exec_lo, exec_lo, s40
	s_and_saveexec_b32 s40, s13
	s_cbranch_execz .LBB6_4120
.LBB6_4119:                             ;   in Loop: Header=BB6_3661 Depth=2
	v_and_b32_e32 v2, 3, v79
	v_lshrrev_b16 v30, 2, v79
	v_lshlrev_b32_e32 v42, 24, v79
	v_ffbh_u32_e32 v3, v2
	v_and_b32_e32 v30, 31, v30
	v_min_u32_e32 v3, 32, v3
	v_cmp_eq_u32_e32 vcc_lo, 0, v30
	v_subrev_nc_u32_e32 v40, 29, v3
	v_sub_nc_u32_e32 v3, 30, v3
	v_lshlrev_b32_e32 v40, v40, v79
	v_cndmask_b32_e32 v3, v30, v3, vcc_lo
	v_and_b32_e32 v30, 0x80000000, v42
	v_and_b32_e32 v40, 3, v40
	v_lshl_add_u32 v3, v3, 23, 0x37800000
	v_cndmask_b32_e32 v2, v2, v40, vcc_lo
	v_lshlrev_b32_e32 v2, 21, v2
	v_or3_b32 v2, v30, v3, v2
.LBB6_4120:                             ;   in Loop: Header=BB6_3661 Depth=2
	s_or_b32 exec_lo, exec_lo, s40
	v_max_f32_e32 v2, v2, v2
	v_max_f32_e32 v3, v119, v119
	v_min_f32_e32 v119, v3, v2
.LBB6_4121:                             ;   in Loop: Header=BB6_3661 Depth=2
	v_and_b32_e32 v2, 0x7f800000, v119
	s_waitcnt vmcnt(19) lgkmcnt(19)
	v_mov_b32_e32 v79, 0x80
	s_mov_b32 s40, exec_lo
	v_cmpx_ne_u32_e32 0x7f800000, v2
	s_cbranch_execz .LBB6_4129
; %bb.4122:                             ;   in Loop: Header=BB6_3661 Depth=2
	v_mov_b32_e32 v79, 0
	s_mov_b32 s41, exec_lo
	v_cmpx_ne_u32_e32 0, v119
	s_cbranch_execz .LBB6_4128
; %bb.4123:                             ;   in Loop: Header=BB6_3661 Depth=2
	v_bfe_u32 v2, v119, 23, 8
	v_and_b32_e32 v3, 0x7fffff, v119
	v_sub_nc_u32_e32 v30, 0x70, v2
	v_cmp_gt_u32_e32 vcc_lo, 0x71, v2
	v_or_b32_e32 v40, 0x800000, v3
	v_cndmask_b32_e32 v30, 0, v30, vcc_lo
	v_cmp_eq_u32_e32 vcc_lo, 0, v2
	v_add_nc_u32_e32 v2, 0xffffff91, v2
	v_cndmask_b32_e64 v30, v30, 0x6f, vcc_lo
	v_cndmask_b32_e32 v3, v40, v3, vcc_lo
	v_cndmask_b32_e64 v2, v2, 0xffffff92, vcc_lo
	v_lshl_add_u32 v40, 0x200000, v30, -1
	v_lshrrev_b32_e32 v42, v30, v3
	v_lshlrev_b32_e64 v106, v30, 0x100000
	v_add_nc_u32_e32 v30, v30, v2
	v_and_b32_e32 v3, v40, v3
	v_bfe_u32 v79, v42, 21, 1
	v_cmp_eq_u32_e64 s13, v3, v106
	v_add_nc_u32_e32 v40, -1, v79
	v_cndmask_b32_e64 v3, 0, v40, s13
	v_lshrrev_b32_e32 v40, 23, v42
	s_mov_b32 s13, exec_lo
	v_add_nc_u32_e32 v3, v3, v42
	v_xor_b32_e32 v40, 1, v40
	v_and_b32_e32 v2, 0x1fffff, v3
	v_add_nc_u32_e32 v3, v2, v42
                                        ; implicit-def: $vgpr2
	v_cmpx_ne_u32_e64 v30, v40
	s_xor_b32 s13, exec_lo, s13
; %bb.4124:                             ;   in Loop: Header=BB6_3661 Depth=2
	v_cmp_lt_u32_e32 vcc_lo, 0xffffff, v3
	v_sub_nc_u32_e32 v2, v30, v40
	v_cndmask_b32_e64 v30, 0, 1, vcc_lo
	v_add_co_ci_u32_e64 v2, null, 0, v2, vcc_lo
	v_lshrrev_b32_e32 v3, v30, v3
; %bb.4125:                             ;   in Loop: Header=BB6_3661 Depth=2
	s_andn2_saveexec_b32 s13, s13
; %bb.4126:                             ;   in Loop: Header=BB6_3661 Depth=2
	v_bfe_u32 v2, v3, 23, 1
; %bb.4127:                             ;   in Loop: Header=BB6_3661 Depth=2
	s_or_b32 exec_lo, exec_lo, s13
	v_lshrrev_b32_e32 v3, 21, v3
	v_cmp_gt_i32_e32 vcc_lo, 32, v2
	v_min_i32_e32 v30, 31, v2
	v_and_b32_sdwa v119, v119, v58 dst_sel:DWORD dst_unused:UNUSED_PAD src0_sel:BYTE_3 src1_sel:DWORD
	v_cndmask_b32_e32 v3, 3, v3, vcc_lo
	v_lshlrev_b32_e32 v30, 2, v30
	v_and_b32_e32 v40, 3, v3
	v_or_b32_e32 v2, v2, v3
	v_or3_b32 v3, v30, v119, v40
	v_cmp_ne_u32_e32 vcc_lo, 0, v2
	v_cndmask_b32_e32 v79, 0, v3, vcc_lo
.LBB6_4128:                             ;   in Loop: Header=BB6_3661 Depth=2
	s_or_b32 exec_lo, exec_lo, s41
.LBB6_4129:                             ;   in Loop: Header=BB6_3661 Depth=2
	s_or_b32 exec_lo, exec_lo, s40
	v_cmp_gt_i16_sdwa s40, v105, v57 src0_sel:BYTE_0 src1_sel:DWORD
	s_andn2_b32 vcc_lo, exec_lo, s28
	s_mov_b32 s13, -1
                                        ; implicit-def: $vgpr119
	s_cbranch_vccnz .LBB6_4143
; %bb.4130:                             ;   in Loop: Header=BB6_3661 Depth=2
	s_mov_b32 s13, 0
	s_and_saveexec_b32 s41, s40
	s_xor_b32 s40, exec_lo, s41
	s_cbranch_execz .LBB6_4915
; %bb.4131:                             ;   in Loop: Header=BB6_3661 Depth=2
	v_cmp_eq_u16_sdwa s42, v105, v58 src0_sel:BYTE_0 src1_sel:DWORD
	s_mov_b32 s13, -1
	s_and_saveexec_b32 s41, s42
; %bb.4132:                             ;   in Loop: Header=BB6_3661 Depth=2
	s_xor_b32 s13, exec_lo, -1
; %bb.4133:                             ;   in Loop: Header=BB6_3661 Depth=2
	s_or_b32 exec_lo, exec_lo, s41
	s_and_b32 s13, s13, exec_lo
	s_or_saveexec_b32 s40, s40
	v_mov_b32_e32 v119, 0x7f800001
	s_xor_b32 exec_lo, exec_lo, s40
	s_cbranch_execnz .LBB6_4916
.LBB6_4134:                             ;   in Loop: Header=BB6_3661 Depth=2
	s_or_b32 exec_lo, exec_lo, s40
	s_and_saveexec_b32 s40, s13
	s_cbranch_execz .LBB6_4136
.LBB6_4135:                             ;   in Loop: Header=BB6_3661 Depth=2
	v_and_b32_e32 v2, 3, v105
	v_lshrrev_b16 v30, 2, v105
	v_lshlrev_b32_e32 v40, 24, v105
	v_ffbh_u32_e32 v3, v2
	v_and_b32_e32 v30, 31, v30
	v_min_u32_e32 v3, 32, v3
	v_cmp_eq_u32_e32 vcc_lo, 0, v30
	v_subrev_nc_u32_e32 v119, 29, v3
	v_sub_nc_u32_e32 v3, 30, v3
	v_lshlrev_b32_e32 v119, v119, v105
	v_cndmask_b32_e32 v3, v30, v3, vcc_lo
	v_and_b32_e32 v30, 0x80000000, v40
	v_and_b32_e32 v119, 3, v119
	v_lshl_add_u32 v3, v3, 23, 0x37800000
	v_cndmask_b32_e32 v2, v2, v119, vcc_lo
	v_lshlrev_b32_e32 v2, 21, v2
	v_or3_b32 v119, v30, v3, v2
.LBB6_4136:                             ;   in Loop: Header=BB6_3661 Depth=2
	s_or_b32 exec_lo, exec_lo, s40
	s_waitcnt vmcnt(18) lgkmcnt(18)
	v_cmp_gt_i16_sdwa s40, v90, v57 src0_sel:BYTE_0 src1_sel:DWORD
	s_mov_b32 s13, 0
	s_and_saveexec_b32 s41, s40
	s_xor_b32 s40, exec_lo, s41
	s_cbranch_execz .LBB6_4917
; %bb.4137:                             ;   in Loop: Header=BB6_3661 Depth=2
	v_cmp_eq_u16_sdwa s42, v90, v58 src0_sel:BYTE_0 src1_sel:DWORD
	s_mov_b32 s13, -1
	s_and_saveexec_b32 s41, s42
; %bb.4138:                             ;   in Loop: Header=BB6_3661 Depth=2
	s_xor_b32 s13, exec_lo, -1
; %bb.4139:                             ;   in Loop: Header=BB6_3661 Depth=2
	s_or_b32 exec_lo, exec_lo, s41
	s_and_b32 s13, s13, exec_lo
	s_or_saveexec_b32 s40, s40
	v_mov_b32_e32 v2, 0x7f800001
	s_xor_b32 exec_lo, exec_lo, s40
	s_cbranch_execnz .LBB6_4918
.LBB6_4140:                             ;   in Loop: Header=BB6_3661 Depth=2
	s_or_b32 exec_lo, exec_lo, s40
	s_and_saveexec_b32 s40, s13
	s_cbranch_execz .LBB6_4142
.LBB6_4141:                             ;   in Loop: Header=BB6_3661 Depth=2
	v_and_b32_e32 v2, 3, v90
	v_lshrrev_b16 v30, 2, v90
	v_lshlrev_b32_e32 v42, 24, v90
	v_ffbh_u32_e32 v3, v2
	v_and_b32_e32 v30, 31, v30
	v_min_u32_e32 v3, 32, v3
	v_cmp_eq_u32_e32 vcc_lo, 0, v30
	v_subrev_nc_u32_e32 v40, 29, v3
	v_sub_nc_u32_e32 v3, 30, v3
	v_lshlrev_b32_e32 v40, v40, v90
	v_cndmask_b32_e32 v3, v30, v3, vcc_lo
	v_and_b32_e32 v30, 0x80000000, v42
	v_and_b32_e32 v40, 3, v40
	v_lshl_add_u32 v3, v3, 23, 0x37800000
	v_cndmask_b32_e32 v2, v2, v40, vcc_lo
	v_lshlrev_b32_e32 v2, 21, v2
	v_or3_b32 v2, v30, v3, v2
.LBB6_4142:                             ;   in Loop: Header=BB6_3661 Depth=2
	s_or_b32 exec_lo, exec_lo, s40
	v_max_f32_e32 v2, v2, v2
	v_max_f32_e32 v3, v119, v119
	s_mov_b32 s13, 0
	v_max_f32_e32 v119, v3, v2
.LBB6_4143:                             ;   in Loop: Header=BB6_3661 Depth=2
	s_and_b32 vcc_lo, exec_lo, s13
	s_cbranch_vccz .LBB6_4157
; %bb.4144:                             ;   in Loop: Header=BB6_3661 Depth=2
	v_cmp_gt_i16_sdwa s40, v105, v57 src0_sel:BYTE_0 src1_sel:DWORD
	s_mov_b32 s13, 0
	s_and_saveexec_b32 s41, s40
	s_xor_b32 s40, exec_lo, s41
	s_cbranch_execz .LBB6_4919
; %bb.4145:                             ;   in Loop: Header=BB6_3661 Depth=2
	v_cmp_eq_u16_sdwa s42, v105, v58 src0_sel:BYTE_0 src1_sel:DWORD
	s_mov_b32 s13, -1
	s_and_saveexec_b32 s41, s42
; %bb.4146:                             ;   in Loop: Header=BB6_3661 Depth=2
	s_xor_b32 s13, exec_lo, -1
; %bb.4147:                             ;   in Loop: Header=BB6_3661 Depth=2
	s_or_b32 exec_lo, exec_lo, s41
	s_and_b32 s13, s13, exec_lo
	s_or_saveexec_b32 s40, s40
	v_mov_b32_e32 v119, 0x7f800001
	s_xor_b32 exec_lo, exec_lo, s40
	s_cbranch_execnz .LBB6_4920
.LBB6_4148:                             ;   in Loop: Header=BB6_3661 Depth=2
	s_or_b32 exec_lo, exec_lo, s40
	s_and_saveexec_b32 s40, s13
	s_cbranch_execz .LBB6_4150
.LBB6_4149:                             ;   in Loop: Header=BB6_3661 Depth=2
	v_and_b32_e32 v2, 3, v105
	v_lshrrev_b16 v30, 2, v105
	v_lshlrev_b32_e32 v40, 24, v105
	v_ffbh_u32_e32 v3, v2
	v_and_b32_e32 v30, 31, v30
	v_min_u32_e32 v3, 32, v3
	v_cmp_eq_u32_e32 vcc_lo, 0, v30
	v_subrev_nc_u32_e32 v119, 29, v3
	v_sub_nc_u32_e32 v3, 30, v3
	v_lshlrev_b32_e32 v119, v119, v105
	v_cndmask_b32_e32 v3, v30, v3, vcc_lo
	v_and_b32_e32 v30, 0x80000000, v40
	v_and_b32_e32 v119, 3, v119
	v_lshl_add_u32 v3, v3, 23, 0x37800000
	v_cndmask_b32_e32 v2, v2, v119, vcc_lo
	v_lshlrev_b32_e32 v2, 21, v2
	v_or3_b32 v119, v30, v3, v2
.LBB6_4150:                             ;   in Loop: Header=BB6_3661 Depth=2
	s_or_b32 exec_lo, exec_lo, s40
	s_waitcnt vmcnt(18) lgkmcnt(18)
	v_cmp_gt_i16_sdwa s40, v90, v57 src0_sel:BYTE_0 src1_sel:DWORD
	s_mov_b32 s13, 0
	s_and_saveexec_b32 s41, s40
	s_xor_b32 s40, exec_lo, s41
	s_cbranch_execz .LBB6_4921
; %bb.4151:                             ;   in Loop: Header=BB6_3661 Depth=2
	v_cmp_eq_u16_sdwa s42, v90, v58 src0_sel:BYTE_0 src1_sel:DWORD
	s_mov_b32 s13, -1
	s_and_saveexec_b32 s41, s42
; %bb.4152:                             ;   in Loop: Header=BB6_3661 Depth=2
	s_xor_b32 s13, exec_lo, -1
; %bb.4153:                             ;   in Loop: Header=BB6_3661 Depth=2
	s_or_b32 exec_lo, exec_lo, s41
	s_and_b32 s13, s13, exec_lo
	s_or_saveexec_b32 s40, s40
	v_mov_b32_e32 v2, 0x7f800001
	s_xor_b32 exec_lo, exec_lo, s40
	s_cbranch_execnz .LBB6_4922
.LBB6_4154:                             ;   in Loop: Header=BB6_3661 Depth=2
	s_or_b32 exec_lo, exec_lo, s40
	s_and_saveexec_b32 s40, s13
	s_cbranch_execz .LBB6_4156
.LBB6_4155:                             ;   in Loop: Header=BB6_3661 Depth=2
	v_and_b32_e32 v2, 3, v90
	v_lshrrev_b16 v30, 2, v90
	v_lshlrev_b32_e32 v42, 24, v90
	v_ffbh_u32_e32 v3, v2
	v_and_b32_e32 v30, 31, v30
	v_min_u32_e32 v3, 32, v3
	v_cmp_eq_u32_e32 vcc_lo, 0, v30
	v_subrev_nc_u32_e32 v40, 29, v3
	v_sub_nc_u32_e32 v3, 30, v3
	v_lshlrev_b32_e32 v40, v40, v90
	v_cndmask_b32_e32 v3, v30, v3, vcc_lo
	v_and_b32_e32 v30, 0x80000000, v42
	v_and_b32_e32 v40, 3, v40
	v_lshl_add_u32 v3, v3, 23, 0x37800000
	v_cndmask_b32_e32 v2, v2, v40, vcc_lo
	v_lshlrev_b32_e32 v2, 21, v2
	v_or3_b32 v2, v30, v3, v2
.LBB6_4156:                             ;   in Loop: Header=BB6_3661 Depth=2
	s_or_b32 exec_lo, exec_lo, s40
	v_max_f32_e32 v2, v2, v2
	v_max_f32_e32 v3, v119, v119
	v_min_f32_e32 v119, v3, v2
.LBB6_4157:                             ;   in Loop: Header=BB6_3661 Depth=2
	v_and_b32_e32 v2, 0x7f800000, v119
	s_waitcnt vmcnt(18) lgkmcnt(18)
	v_mov_b32_e32 v90, 0x80
	s_mov_b32 s40, exec_lo
	v_cmpx_ne_u32_e32 0x7f800000, v2
	s_cbranch_execz .LBB6_4165
; %bb.4158:                             ;   in Loop: Header=BB6_3661 Depth=2
	v_mov_b32_e32 v90, 0
	s_mov_b32 s41, exec_lo
	v_cmpx_ne_u32_e32 0, v119
	s_cbranch_execz .LBB6_4164
; %bb.4159:                             ;   in Loop: Header=BB6_3661 Depth=2
	v_bfe_u32 v2, v119, 23, 8
	v_and_b32_e32 v3, 0x7fffff, v119
	v_sub_nc_u32_e32 v30, 0x70, v2
	v_cmp_gt_u32_e32 vcc_lo, 0x71, v2
	v_or_b32_e32 v40, 0x800000, v3
	v_cndmask_b32_e32 v30, 0, v30, vcc_lo
	v_cmp_eq_u32_e32 vcc_lo, 0, v2
	v_add_nc_u32_e32 v2, 0xffffff91, v2
	v_cndmask_b32_e64 v30, v30, 0x6f, vcc_lo
	v_cndmask_b32_e32 v3, v40, v3, vcc_lo
	v_cndmask_b32_e64 v2, v2, 0xffffff92, vcc_lo
	v_lshl_add_u32 v40, 0x200000, v30, -1
	v_lshrrev_b32_e32 v42, v30, v3
	v_lshlrev_b32_e64 v105, v30, 0x100000
	v_add_nc_u32_e32 v30, v30, v2
	v_and_b32_e32 v3, v40, v3
	v_bfe_u32 v90, v42, 21, 1
	v_cmp_eq_u32_e64 s13, v3, v105
	v_add_nc_u32_e32 v40, -1, v90
	v_cndmask_b32_e64 v3, 0, v40, s13
	v_lshrrev_b32_e32 v40, 23, v42
	s_mov_b32 s13, exec_lo
	v_add_nc_u32_e32 v3, v3, v42
	v_xor_b32_e32 v40, 1, v40
	v_and_b32_e32 v2, 0x1fffff, v3
	v_add_nc_u32_e32 v3, v2, v42
                                        ; implicit-def: $vgpr2
	v_cmpx_ne_u32_e64 v30, v40
	s_xor_b32 s13, exec_lo, s13
; %bb.4160:                             ;   in Loop: Header=BB6_3661 Depth=2
	v_cmp_lt_u32_e32 vcc_lo, 0xffffff, v3
	v_sub_nc_u32_e32 v2, v30, v40
	v_cndmask_b32_e64 v30, 0, 1, vcc_lo
	v_add_co_ci_u32_e64 v2, null, 0, v2, vcc_lo
	v_lshrrev_b32_e32 v3, v30, v3
; %bb.4161:                             ;   in Loop: Header=BB6_3661 Depth=2
	s_andn2_saveexec_b32 s13, s13
; %bb.4162:                             ;   in Loop: Header=BB6_3661 Depth=2
	v_bfe_u32 v2, v3, 23, 1
; %bb.4163:                             ;   in Loop: Header=BB6_3661 Depth=2
	s_or_b32 exec_lo, exec_lo, s13
	v_lshrrev_b32_e32 v3, 21, v3
	v_cmp_gt_i32_e32 vcc_lo, 32, v2
	v_min_i32_e32 v30, 31, v2
	v_and_b32_sdwa v119, v119, v58 dst_sel:DWORD dst_unused:UNUSED_PAD src0_sel:BYTE_3 src1_sel:DWORD
	v_cndmask_b32_e32 v3, 3, v3, vcc_lo
	v_lshlrev_b32_e32 v30, 2, v30
	v_and_b32_e32 v40, 3, v3
	v_or_b32_e32 v2, v2, v3
	v_or3_b32 v3, v30, v119, v40
	v_cmp_ne_u32_e32 vcc_lo, 0, v2
	v_cndmask_b32_e32 v90, 0, v3, vcc_lo
.LBB6_4164:                             ;   in Loop: Header=BB6_3661 Depth=2
	s_or_b32 exec_lo, exec_lo, s41
.LBB6_4165:                             ;   in Loop: Header=BB6_3661 Depth=2
	s_or_b32 exec_lo, exec_lo, s40
	v_cmp_gt_i16_sdwa s40, v104, v57 src0_sel:BYTE_0 src1_sel:DWORD
	s_andn2_b32 vcc_lo, exec_lo, s28
	s_mov_b32 s13, -1
                                        ; implicit-def: $vgpr119
	s_cbranch_vccnz .LBB6_4179
; %bb.4166:                             ;   in Loop: Header=BB6_3661 Depth=2
	s_mov_b32 s13, 0
	s_and_saveexec_b32 s41, s40
	s_xor_b32 s40, exec_lo, s41
	s_cbranch_execz .LBB6_4923
; %bb.4167:                             ;   in Loop: Header=BB6_3661 Depth=2
	v_cmp_eq_u16_sdwa s42, v104, v58 src0_sel:BYTE_0 src1_sel:DWORD
	s_mov_b32 s13, -1
	s_and_saveexec_b32 s41, s42
; %bb.4168:                             ;   in Loop: Header=BB6_3661 Depth=2
	s_xor_b32 s13, exec_lo, -1
; %bb.4169:                             ;   in Loop: Header=BB6_3661 Depth=2
	s_or_b32 exec_lo, exec_lo, s41
	s_and_b32 s13, s13, exec_lo
	s_or_saveexec_b32 s40, s40
	v_mov_b32_e32 v119, 0x7f800001
	s_xor_b32 exec_lo, exec_lo, s40
	s_cbranch_execnz .LBB6_4924
.LBB6_4170:                             ;   in Loop: Header=BB6_3661 Depth=2
	s_or_b32 exec_lo, exec_lo, s40
	s_and_saveexec_b32 s40, s13
	s_cbranch_execz .LBB6_4172
.LBB6_4171:                             ;   in Loop: Header=BB6_3661 Depth=2
	v_and_b32_e32 v2, 3, v104
	v_lshrrev_b16 v30, 2, v104
	v_lshlrev_b32_e32 v40, 24, v104
	v_ffbh_u32_e32 v3, v2
	v_and_b32_e32 v30, 31, v30
	v_min_u32_e32 v3, 32, v3
	v_cmp_eq_u32_e32 vcc_lo, 0, v30
	v_subrev_nc_u32_e32 v119, 29, v3
	v_sub_nc_u32_e32 v3, 30, v3
	v_lshlrev_b32_e32 v119, v119, v104
	v_cndmask_b32_e32 v3, v30, v3, vcc_lo
	v_and_b32_e32 v30, 0x80000000, v40
	v_and_b32_e32 v119, 3, v119
	v_lshl_add_u32 v3, v3, 23, 0x37800000
	v_cndmask_b32_e32 v2, v2, v119, vcc_lo
	v_lshlrev_b32_e32 v2, 21, v2
	v_or3_b32 v119, v30, v3, v2
.LBB6_4172:                             ;   in Loop: Header=BB6_3661 Depth=2
	s_or_b32 exec_lo, exec_lo, s40
	s_waitcnt vmcnt(17) lgkmcnt(17)
	v_cmp_gt_i16_sdwa s40, v93, v57 src0_sel:BYTE_0 src1_sel:DWORD
	s_mov_b32 s13, 0
	s_and_saveexec_b32 s41, s40
	s_xor_b32 s40, exec_lo, s41
	s_cbranch_execz .LBB6_4925
; %bb.4173:                             ;   in Loop: Header=BB6_3661 Depth=2
	v_cmp_eq_u16_sdwa s42, v93, v58 src0_sel:BYTE_0 src1_sel:DWORD
	s_mov_b32 s13, -1
	s_and_saveexec_b32 s41, s42
; %bb.4174:                             ;   in Loop: Header=BB6_3661 Depth=2
	s_xor_b32 s13, exec_lo, -1
; %bb.4175:                             ;   in Loop: Header=BB6_3661 Depth=2
	s_or_b32 exec_lo, exec_lo, s41
	s_and_b32 s13, s13, exec_lo
	s_or_saveexec_b32 s40, s40
	v_mov_b32_e32 v2, 0x7f800001
	s_xor_b32 exec_lo, exec_lo, s40
	s_cbranch_execnz .LBB6_4926
.LBB6_4176:                             ;   in Loop: Header=BB6_3661 Depth=2
	s_or_b32 exec_lo, exec_lo, s40
	s_and_saveexec_b32 s40, s13
	s_cbranch_execz .LBB6_4178
.LBB6_4177:                             ;   in Loop: Header=BB6_3661 Depth=2
	v_and_b32_e32 v2, 3, v93
	v_lshrrev_b16 v30, 2, v93
	v_lshlrev_b32_e32 v42, 24, v93
	v_ffbh_u32_e32 v3, v2
	v_and_b32_e32 v30, 31, v30
	v_min_u32_e32 v3, 32, v3
	v_cmp_eq_u32_e32 vcc_lo, 0, v30
	v_subrev_nc_u32_e32 v40, 29, v3
	v_sub_nc_u32_e32 v3, 30, v3
	v_lshlrev_b32_e32 v40, v40, v93
	v_cndmask_b32_e32 v3, v30, v3, vcc_lo
	v_and_b32_e32 v30, 0x80000000, v42
	v_and_b32_e32 v40, 3, v40
	v_lshl_add_u32 v3, v3, 23, 0x37800000
	v_cndmask_b32_e32 v2, v2, v40, vcc_lo
	v_lshlrev_b32_e32 v2, 21, v2
	v_or3_b32 v2, v30, v3, v2
.LBB6_4178:                             ;   in Loop: Header=BB6_3661 Depth=2
	s_or_b32 exec_lo, exec_lo, s40
	v_max_f32_e32 v2, v2, v2
	v_max_f32_e32 v3, v119, v119
	s_mov_b32 s13, 0
	v_max_f32_e32 v119, v3, v2
.LBB6_4179:                             ;   in Loop: Header=BB6_3661 Depth=2
	s_and_b32 vcc_lo, exec_lo, s13
	s_cbranch_vccz .LBB6_4193
; %bb.4180:                             ;   in Loop: Header=BB6_3661 Depth=2
	v_cmp_gt_i16_sdwa s40, v104, v57 src0_sel:BYTE_0 src1_sel:DWORD
	s_mov_b32 s13, 0
	s_and_saveexec_b32 s41, s40
	s_xor_b32 s40, exec_lo, s41
	s_cbranch_execz .LBB6_4927
; %bb.4181:                             ;   in Loop: Header=BB6_3661 Depth=2
	v_cmp_eq_u16_sdwa s42, v104, v58 src0_sel:BYTE_0 src1_sel:DWORD
	s_mov_b32 s13, -1
	s_and_saveexec_b32 s41, s42
; %bb.4182:                             ;   in Loop: Header=BB6_3661 Depth=2
	s_xor_b32 s13, exec_lo, -1
; %bb.4183:                             ;   in Loop: Header=BB6_3661 Depth=2
	s_or_b32 exec_lo, exec_lo, s41
	s_and_b32 s13, s13, exec_lo
	s_or_saveexec_b32 s40, s40
	v_mov_b32_e32 v119, 0x7f800001
	s_xor_b32 exec_lo, exec_lo, s40
	s_cbranch_execnz .LBB6_4928
.LBB6_4184:                             ;   in Loop: Header=BB6_3661 Depth=2
	s_or_b32 exec_lo, exec_lo, s40
	s_and_saveexec_b32 s40, s13
	s_cbranch_execz .LBB6_4186
.LBB6_4185:                             ;   in Loop: Header=BB6_3661 Depth=2
	v_and_b32_e32 v2, 3, v104
	v_lshrrev_b16 v30, 2, v104
	v_lshlrev_b32_e32 v40, 24, v104
	v_ffbh_u32_e32 v3, v2
	v_and_b32_e32 v30, 31, v30
	v_min_u32_e32 v3, 32, v3
	v_cmp_eq_u32_e32 vcc_lo, 0, v30
	v_subrev_nc_u32_e32 v119, 29, v3
	v_sub_nc_u32_e32 v3, 30, v3
	v_lshlrev_b32_e32 v119, v119, v104
	v_cndmask_b32_e32 v3, v30, v3, vcc_lo
	v_and_b32_e32 v30, 0x80000000, v40
	v_and_b32_e32 v119, 3, v119
	v_lshl_add_u32 v3, v3, 23, 0x37800000
	v_cndmask_b32_e32 v2, v2, v119, vcc_lo
	v_lshlrev_b32_e32 v2, 21, v2
	v_or3_b32 v119, v30, v3, v2
.LBB6_4186:                             ;   in Loop: Header=BB6_3661 Depth=2
	s_or_b32 exec_lo, exec_lo, s40
	s_waitcnt vmcnt(17) lgkmcnt(17)
	v_cmp_gt_i16_sdwa s40, v93, v57 src0_sel:BYTE_0 src1_sel:DWORD
	s_mov_b32 s13, 0
	s_and_saveexec_b32 s41, s40
	s_xor_b32 s40, exec_lo, s41
	s_cbranch_execz .LBB6_4929
; %bb.4187:                             ;   in Loop: Header=BB6_3661 Depth=2
	v_cmp_eq_u16_sdwa s42, v93, v58 src0_sel:BYTE_0 src1_sel:DWORD
	s_mov_b32 s13, -1
	s_and_saveexec_b32 s41, s42
; %bb.4188:                             ;   in Loop: Header=BB6_3661 Depth=2
	s_xor_b32 s13, exec_lo, -1
; %bb.4189:                             ;   in Loop: Header=BB6_3661 Depth=2
	s_or_b32 exec_lo, exec_lo, s41
	s_and_b32 s13, s13, exec_lo
	s_or_saveexec_b32 s40, s40
	v_mov_b32_e32 v2, 0x7f800001
	s_xor_b32 exec_lo, exec_lo, s40
	s_cbranch_execnz .LBB6_4930
.LBB6_4190:                             ;   in Loop: Header=BB6_3661 Depth=2
	s_or_b32 exec_lo, exec_lo, s40
	s_and_saveexec_b32 s40, s13
	s_cbranch_execz .LBB6_4192
.LBB6_4191:                             ;   in Loop: Header=BB6_3661 Depth=2
	v_and_b32_e32 v2, 3, v93
	v_lshrrev_b16 v30, 2, v93
	v_lshlrev_b32_e32 v42, 24, v93
	v_ffbh_u32_e32 v3, v2
	v_and_b32_e32 v30, 31, v30
	v_min_u32_e32 v3, 32, v3
	v_cmp_eq_u32_e32 vcc_lo, 0, v30
	v_subrev_nc_u32_e32 v40, 29, v3
	v_sub_nc_u32_e32 v3, 30, v3
	v_lshlrev_b32_e32 v40, v40, v93
	v_cndmask_b32_e32 v3, v30, v3, vcc_lo
	v_and_b32_e32 v30, 0x80000000, v42
	v_and_b32_e32 v40, 3, v40
	v_lshl_add_u32 v3, v3, 23, 0x37800000
	v_cndmask_b32_e32 v2, v2, v40, vcc_lo
	v_lshlrev_b32_e32 v2, 21, v2
	v_or3_b32 v2, v30, v3, v2
.LBB6_4192:                             ;   in Loop: Header=BB6_3661 Depth=2
	s_or_b32 exec_lo, exec_lo, s40
	v_max_f32_e32 v2, v2, v2
	v_max_f32_e32 v3, v119, v119
	v_min_f32_e32 v119, v3, v2
.LBB6_4193:                             ;   in Loop: Header=BB6_3661 Depth=2
	v_and_b32_e32 v2, 0x7f800000, v119
	s_waitcnt vmcnt(17) lgkmcnt(17)
	v_mov_b32_e32 v93, 0x80
	s_mov_b32 s40, exec_lo
	v_cmpx_ne_u32_e32 0x7f800000, v2
	s_cbranch_execz .LBB6_4201
; %bb.4194:                             ;   in Loop: Header=BB6_3661 Depth=2
	v_mov_b32_e32 v93, 0
	s_mov_b32 s41, exec_lo
	v_cmpx_ne_u32_e32 0, v119
	s_cbranch_execz .LBB6_4200
; %bb.4195:                             ;   in Loop: Header=BB6_3661 Depth=2
	v_bfe_u32 v2, v119, 23, 8
	v_and_b32_e32 v3, 0x7fffff, v119
	v_sub_nc_u32_e32 v30, 0x70, v2
	v_cmp_gt_u32_e32 vcc_lo, 0x71, v2
	v_or_b32_e32 v40, 0x800000, v3
	v_cndmask_b32_e32 v30, 0, v30, vcc_lo
	v_cmp_eq_u32_e32 vcc_lo, 0, v2
	v_add_nc_u32_e32 v2, 0xffffff91, v2
	v_cndmask_b32_e64 v30, v30, 0x6f, vcc_lo
	v_cndmask_b32_e32 v3, v40, v3, vcc_lo
	v_cndmask_b32_e64 v2, v2, 0xffffff92, vcc_lo
	v_lshl_add_u32 v40, 0x200000, v30, -1
	v_lshrrev_b32_e32 v42, v30, v3
	v_lshlrev_b32_e64 v104, v30, 0x100000
	v_add_nc_u32_e32 v30, v30, v2
	v_and_b32_e32 v3, v40, v3
	v_bfe_u32 v93, v42, 21, 1
	v_cmp_eq_u32_e64 s13, v3, v104
	v_add_nc_u32_e32 v40, -1, v93
	v_cndmask_b32_e64 v3, 0, v40, s13
	v_lshrrev_b32_e32 v40, 23, v42
	s_mov_b32 s13, exec_lo
	v_add_nc_u32_e32 v3, v3, v42
	v_xor_b32_e32 v40, 1, v40
	v_and_b32_e32 v2, 0x1fffff, v3
	v_add_nc_u32_e32 v3, v2, v42
                                        ; implicit-def: $vgpr2
	v_cmpx_ne_u32_e64 v30, v40
	s_xor_b32 s13, exec_lo, s13
; %bb.4196:                             ;   in Loop: Header=BB6_3661 Depth=2
	v_cmp_lt_u32_e32 vcc_lo, 0xffffff, v3
	v_sub_nc_u32_e32 v2, v30, v40
	v_cndmask_b32_e64 v30, 0, 1, vcc_lo
	v_add_co_ci_u32_e64 v2, null, 0, v2, vcc_lo
	v_lshrrev_b32_e32 v3, v30, v3
; %bb.4197:                             ;   in Loop: Header=BB6_3661 Depth=2
	s_andn2_saveexec_b32 s13, s13
; %bb.4198:                             ;   in Loop: Header=BB6_3661 Depth=2
	v_bfe_u32 v2, v3, 23, 1
; %bb.4199:                             ;   in Loop: Header=BB6_3661 Depth=2
	s_or_b32 exec_lo, exec_lo, s13
	v_lshrrev_b32_e32 v3, 21, v3
	v_cmp_gt_i32_e32 vcc_lo, 32, v2
	v_min_i32_e32 v30, 31, v2
	v_and_b32_sdwa v119, v119, v58 dst_sel:DWORD dst_unused:UNUSED_PAD src0_sel:BYTE_3 src1_sel:DWORD
	v_cndmask_b32_e32 v3, 3, v3, vcc_lo
	v_lshlrev_b32_e32 v30, 2, v30
	v_and_b32_e32 v40, 3, v3
	v_or_b32_e32 v2, v2, v3
	v_or3_b32 v3, v30, v119, v40
	v_cmp_ne_u32_e32 vcc_lo, 0, v2
	v_cndmask_b32_e32 v93, 0, v3, vcc_lo
.LBB6_4200:                             ;   in Loop: Header=BB6_3661 Depth=2
	s_or_b32 exec_lo, exec_lo, s41
.LBB6_4201:                             ;   in Loop: Header=BB6_3661 Depth=2
	s_or_b32 exec_lo, exec_lo, s40
	v_cmp_gt_i16_sdwa s40, v95, v57 src0_sel:BYTE_0 src1_sel:DWORD
	s_andn2_b32 vcc_lo, exec_lo, s28
	s_mov_b32 s13, -1
                                        ; implicit-def: $vgpr119
	s_cbranch_vccnz .LBB6_4215
; %bb.4202:                             ;   in Loop: Header=BB6_3661 Depth=2
	s_mov_b32 s13, 0
	s_and_saveexec_b32 s41, s40
	s_xor_b32 s40, exec_lo, s41
	s_cbranch_execz .LBB6_4931
; %bb.4203:                             ;   in Loop: Header=BB6_3661 Depth=2
	v_cmp_eq_u16_sdwa s42, v95, v58 src0_sel:BYTE_0 src1_sel:DWORD
	s_mov_b32 s13, -1
	s_and_saveexec_b32 s41, s42
; %bb.4204:                             ;   in Loop: Header=BB6_3661 Depth=2
	s_xor_b32 s13, exec_lo, -1
; %bb.4205:                             ;   in Loop: Header=BB6_3661 Depth=2
	s_or_b32 exec_lo, exec_lo, s41
	s_and_b32 s13, s13, exec_lo
	s_or_saveexec_b32 s40, s40
	v_mov_b32_e32 v119, 0x7f800001
	s_xor_b32 exec_lo, exec_lo, s40
	s_cbranch_execnz .LBB6_4932
.LBB6_4206:                             ;   in Loop: Header=BB6_3661 Depth=2
	s_or_b32 exec_lo, exec_lo, s40
	s_and_saveexec_b32 s40, s13
	s_cbranch_execz .LBB6_4208
.LBB6_4207:                             ;   in Loop: Header=BB6_3661 Depth=2
	v_and_b32_e32 v2, 3, v95
	v_lshrrev_b16 v30, 2, v95
	v_lshlrev_b32_e32 v40, 24, v95
	v_ffbh_u32_e32 v3, v2
	v_and_b32_e32 v30, 31, v30
	v_min_u32_e32 v3, 32, v3
	v_cmp_eq_u32_e32 vcc_lo, 0, v30
	v_subrev_nc_u32_e32 v119, 29, v3
	v_sub_nc_u32_e32 v3, 30, v3
	v_lshlrev_b32_e32 v119, v119, v95
	v_cndmask_b32_e32 v3, v30, v3, vcc_lo
	v_and_b32_e32 v30, 0x80000000, v40
	v_and_b32_e32 v119, 3, v119
	v_lshl_add_u32 v3, v3, 23, 0x37800000
	v_cndmask_b32_e32 v2, v2, v119, vcc_lo
	v_lshlrev_b32_e32 v2, 21, v2
	v_or3_b32 v119, v30, v3, v2
.LBB6_4208:                             ;   in Loop: Header=BB6_3661 Depth=2
	s_or_b32 exec_lo, exec_lo, s40
	s_waitcnt vmcnt(16) lgkmcnt(16)
	v_cmp_gt_i16_sdwa s40, v94, v57 src0_sel:BYTE_0 src1_sel:DWORD
	s_mov_b32 s13, 0
	s_and_saveexec_b32 s41, s40
	s_xor_b32 s40, exec_lo, s41
	s_cbranch_execz .LBB6_4933
; %bb.4209:                             ;   in Loop: Header=BB6_3661 Depth=2
	v_cmp_eq_u16_sdwa s42, v94, v58 src0_sel:BYTE_0 src1_sel:DWORD
	s_mov_b32 s13, -1
	s_and_saveexec_b32 s41, s42
; %bb.4210:                             ;   in Loop: Header=BB6_3661 Depth=2
	s_xor_b32 s13, exec_lo, -1
; %bb.4211:                             ;   in Loop: Header=BB6_3661 Depth=2
	s_or_b32 exec_lo, exec_lo, s41
	s_and_b32 s13, s13, exec_lo
	s_or_saveexec_b32 s40, s40
	v_mov_b32_e32 v2, 0x7f800001
	s_xor_b32 exec_lo, exec_lo, s40
	s_cbranch_execnz .LBB6_4934
.LBB6_4212:                             ;   in Loop: Header=BB6_3661 Depth=2
	s_or_b32 exec_lo, exec_lo, s40
	s_and_saveexec_b32 s40, s13
	s_cbranch_execz .LBB6_4214
.LBB6_4213:                             ;   in Loop: Header=BB6_3661 Depth=2
	v_and_b32_e32 v2, 3, v94
	v_lshrrev_b16 v30, 2, v94
	v_lshlrev_b32_e32 v42, 24, v94
	v_ffbh_u32_e32 v3, v2
	v_and_b32_e32 v30, 31, v30
	v_min_u32_e32 v3, 32, v3
	v_cmp_eq_u32_e32 vcc_lo, 0, v30
	v_subrev_nc_u32_e32 v40, 29, v3
	v_sub_nc_u32_e32 v3, 30, v3
	v_lshlrev_b32_e32 v40, v40, v94
	v_cndmask_b32_e32 v3, v30, v3, vcc_lo
	v_and_b32_e32 v30, 0x80000000, v42
	v_and_b32_e32 v40, 3, v40
	v_lshl_add_u32 v3, v3, 23, 0x37800000
	v_cndmask_b32_e32 v2, v2, v40, vcc_lo
	v_lshlrev_b32_e32 v2, 21, v2
	v_or3_b32 v2, v30, v3, v2
.LBB6_4214:                             ;   in Loop: Header=BB6_3661 Depth=2
	s_or_b32 exec_lo, exec_lo, s40
	v_max_f32_e32 v2, v2, v2
	v_max_f32_e32 v3, v119, v119
	s_mov_b32 s13, 0
	v_max_f32_e32 v119, v3, v2
.LBB6_4215:                             ;   in Loop: Header=BB6_3661 Depth=2
	s_and_b32 vcc_lo, exec_lo, s13
	s_cbranch_vccz .LBB6_4229
; %bb.4216:                             ;   in Loop: Header=BB6_3661 Depth=2
	v_cmp_gt_i16_sdwa s40, v95, v57 src0_sel:BYTE_0 src1_sel:DWORD
	s_mov_b32 s13, 0
	s_and_saveexec_b32 s41, s40
	s_xor_b32 s40, exec_lo, s41
	s_cbranch_execz .LBB6_4935
; %bb.4217:                             ;   in Loop: Header=BB6_3661 Depth=2
	v_cmp_eq_u16_sdwa s42, v95, v58 src0_sel:BYTE_0 src1_sel:DWORD
	s_mov_b32 s13, -1
	s_and_saveexec_b32 s41, s42
; %bb.4218:                             ;   in Loop: Header=BB6_3661 Depth=2
	s_xor_b32 s13, exec_lo, -1
; %bb.4219:                             ;   in Loop: Header=BB6_3661 Depth=2
	s_or_b32 exec_lo, exec_lo, s41
	s_and_b32 s13, s13, exec_lo
	s_or_saveexec_b32 s40, s40
	v_mov_b32_e32 v119, 0x7f800001
	s_xor_b32 exec_lo, exec_lo, s40
	s_cbranch_execnz .LBB6_4936
.LBB6_4220:                             ;   in Loop: Header=BB6_3661 Depth=2
	s_or_b32 exec_lo, exec_lo, s40
	s_and_saveexec_b32 s40, s13
	s_cbranch_execz .LBB6_4222
.LBB6_4221:                             ;   in Loop: Header=BB6_3661 Depth=2
	v_and_b32_e32 v2, 3, v95
	v_lshrrev_b16 v30, 2, v95
	v_lshlrev_b32_e32 v40, 24, v95
	v_ffbh_u32_e32 v3, v2
	v_and_b32_e32 v30, 31, v30
	v_min_u32_e32 v3, 32, v3
	v_cmp_eq_u32_e32 vcc_lo, 0, v30
	v_subrev_nc_u32_e32 v119, 29, v3
	v_sub_nc_u32_e32 v3, 30, v3
	v_lshlrev_b32_e32 v119, v119, v95
	v_cndmask_b32_e32 v3, v30, v3, vcc_lo
	v_and_b32_e32 v30, 0x80000000, v40
	v_and_b32_e32 v119, 3, v119
	v_lshl_add_u32 v3, v3, 23, 0x37800000
	v_cndmask_b32_e32 v2, v2, v119, vcc_lo
	v_lshlrev_b32_e32 v2, 21, v2
	v_or3_b32 v119, v30, v3, v2
.LBB6_4222:                             ;   in Loop: Header=BB6_3661 Depth=2
	s_or_b32 exec_lo, exec_lo, s40
	s_waitcnt vmcnt(16) lgkmcnt(16)
	v_cmp_gt_i16_sdwa s40, v94, v57 src0_sel:BYTE_0 src1_sel:DWORD
	s_mov_b32 s13, 0
	s_and_saveexec_b32 s41, s40
	s_xor_b32 s40, exec_lo, s41
	s_cbranch_execz .LBB6_4937
; %bb.4223:                             ;   in Loop: Header=BB6_3661 Depth=2
	v_cmp_eq_u16_sdwa s42, v94, v58 src0_sel:BYTE_0 src1_sel:DWORD
	s_mov_b32 s13, -1
	s_and_saveexec_b32 s41, s42
; %bb.4224:                             ;   in Loop: Header=BB6_3661 Depth=2
	s_xor_b32 s13, exec_lo, -1
; %bb.4225:                             ;   in Loop: Header=BB6_3661 Depth=2
	s_or_b32 exec_lo, exec_lo, s41
	s_and_b32 s13, s13, exec_lo
	s_or_saveexec_b32 s40, s40
	v_mov_b32_e32 v2, 0x7f800001
	s_xor_b32 exec_lo, exec_lo, s40
	s_cbranch_execnz .LBB6_4938
.LBB6_4226:                             ;   in Loop: Header=BB6_3661 Depth=2
	s_or_b32 exec_lo, exec_lo, s40
	s_and_saveexec_b32 s40, s13
	s_cbranch_execz .LBB6_4228
.LBB6_4227:                             ;   in Loop: Header=BB6_3661 Depth=2
	v_and_b32_e32 v2, 3, v94
	v_lshrrev_b16 v30, 2, v94
	v_lshlrev_b32_e32 v42, 24, v94
	v_ffbh_u32_e32 v3, v2
	v_and_b32_e32 v30, 31, v30
	v_min_u32_e32 v3, 32, v3
	v_cmp_eq_u32_e32 vcc_lo, 0, v30
	v_subrev_nc_u32_e32 v40, 29, v3
	v_sub_nc_u32_e32 v3, 30, v3
	v_lshlrev_b32_e32 v40, v40, v94
	v_cndmask_b32_e32 v3, v30, v3, vcc_lo
	v_and_b32_e32 v30, 0x80000000, v42
	v_and_b32_e32 v40, 3, v40
	v_lshl_add_u32 v3, v3, 23, 0x37800000
	v_cndmask_b32_e32 v2, v2, v40, vcc_lo
	v_lshlrev_b32_e32 v2, 21, v2
	v_or3_b32 v2, v30, v3, v2
.LBB6_4228:                             ;   in Loop: Header=BB6_3661 Depth=2
	s_or_b32 exec_lo, exec_lo, s40
	v_max_f32_e32 v2, v2, v2
	v_max_f32_e32 v3, v119, v119
	v_min_f32_e32 v119, v3, v2
.LBB6_4229:                             ;   in Loop: Header=BB6_3661 Depth=2
	v_and_b32_e32 v2, 0x7f800000, v119
	s_waitcnt vmcnt(16) lgkmcnt(16)
	v_mov_b32_e32 v94, 0x80
	s_mov_b32 s40, exec_lo
	v_cmpx_ne_u32_e32 0x7f800000, v2
	s_cbranch_execz .LBB6_4237
; %bb.4230:                             ;   in Loop: Header=BB6_3661 Depth=2
	v_mov_b32_e32 v94, 0
	s_mov_b32 s41, exec_lo
	v_cmpx_ne_u32_e32 0, v119
	s_cbranch_execz .LBB6_4236
; %bb.4231:                             ;   in Loop: Header=BB6_3661 Depth=2
	v_bfe_u32 v2, v119, 23, 8
	v_and_b32_e32 v3, 0x7fffff, v119
	v_sub_nc_u32_e32 v30, 0x70, v2
	v_cmp_gt_u32_e32 vcc_lo, 0x71, v2
	v_or_b32_e32 v40, 0x800000, v3
	v_cndmask_b32_e32 v30, 0, v30, vcc_lo
	v_cmp_eq_u32_e32 vcc_lo, 0, v2
	v_add_nc_u32_e32 v2, 0xffffff91, v2
	v_cndmask_b32_e64 v30, v30, 0x6f, vcc_lo
	v_cndmask_b32_e32 v3, v40, v3, vcc_lo
	v_cndmask_b32_e64 v2, v2, 0xffffff92, vcc_lo
	v_lshl_add_u32 v40, 0x200000, v30, -1
	v_lshrrev_b32_e32 v42, v30, v3
	v_lshlrev_b32_e64 v95, v30, 0x100000
	v_add_nc_u32_e32 v30, v30, v2
	v_and_b32_e32 v3, v40, v3
	v_bfe_u32 v94, v42, 21, 1
	v_cmp_eq_u32_e64 s13, v3, v95
	v_add_nc_u32_e32 v40, -1, v94
	v_cndmask_b32_e64 v3, 0, v40, s13
	v_lshrrev_b32_e32 v40, 23, v42
	s_mov_b32 s13, exec_lo
	v_add_nc_u32_e32 v3, v3, v42
	v_xor_b32_e32 v40, 1, v40
	v_and_b32_e32 v2, 0x1fffff, v3
	v_add_nc_u32_e32 v3, v2, v42
                                        ; implicit-def: $vgpr2
	v_cmpx_ne_u32_e64 v30, v40
	s_xor_b32 s13, exec_lo, s13
; %bb.4232:                             ;   in Loop: Header=BB6_3661 Depth=2
	v_cmp_lt_u32_e32 vcc_lo, 0xffffff, v3
	v_sub_nc_u32_e32 v2, v30, v40
	v_cndmask_b32_e64 v30, 0, 1, vcc_lo
	v_add_co_ci_u32_e64 v2, null, 0, v2, vcc_lo
	v_lshrrev_b32_e32 v3, v30, v3
; %bb.4233:                             ;   in Loop: Header=BB6_3661 Depth=2
	s_andn2_saveexec_b32 s13, s13
; %bb.4234:                             ;   in Loop: Header=BB6_3661 Depth=2
	v_bfe_u32 v2, v3, 23, 1
; %bb.4235:                             ;   in Loop: Header=BB6_3661 Depth=2
	s_or_b32 exec_lo, exec_lo, s13
	v_lshrrev_b32_e32 v3, 21, v3
	v_cmp_gt_i32_e32 vcc_lo, 32, v2
	v_min_i32_e32 v30, 31, v2
	v_and_b32_sdwa v119, v119, v58 dst_sel:DWORD dst_unused:UNUSED_PAD src0_sel:BYTE_3 src1_sel:DWORD
	v_cndmask_b32_e32 v3, 3, v3, vcc_lo
	v_lshlrev_b32_e32 v30, 2, v30
	v_and_b32_e32 v40, 3, v3
	v_or_b32_e32 v2, v2, v3
	v_or3_b32 v3, v30, v119, v40
	v_cmp_ne_u32_e32 vcc_lo, 0, v2
	v_cndmask_b32_e32 v94, 0, v3, vcc_lo
.LBB6_4236:                             ;   in Loop: Header=BB6_3661 Depth=2
	s_or_b32 exec_lo, exec_lo, s41
.LBB6_4237:                             ;   in Loop: Header=BB6_3661 Depth=2
	s_or_b32 exec_lo, exec_lo, s40
	v_cmp_gt_i16_sdwa s40, v92, v57 src0_sel:BYTE_0 src1_sel:DWORD
	s_andn2_b32 vcc_lo, exec_lo, s28
	s_mov_b32 s13, -1
                                        ; implicit-def: $vgpr119
	s_cbranch_vccnz .LBB6_4251
; %bb.4238:                             ;   in Loop: Header=BB6_3661 Depth=2
	s_mov_b32 s13, 0
	s_and_saveexec_b32 s41, s40
	s_xor_b32 s40, exec_lo, s41
	s_cbranch_execz .LBB6_4939
; %bb.4239:                             ;   in Loop: Header=BB6_3661 Depth=2
	v_cmp_eq_u16_sdwa s42, v92, v58 src0_sel:BYTE_0 src1_sel:DWORD
	s_mov_b32 s13, -1
	s_and_saveexec_b32 s41, s42
; %bb.4240:                             ;   in Loop: Header=BB6_3661 Depth=2
	s_xor_b32 s13, exec_lo, -1
; %bb.4241:                             ;   in Loop: Header=BB6_3661 Depth=2
	s_or_b32 exec_lo, exec_lo, s41
	s_and_b32 s13, s13, exec_lo
	s_or_saveexec_b32 s40, s40
	v_mov_b32_e32 v119, 0x7f800001
	s_xor_b32 exec_lo, exec_lo, s40
	s_cbranch_execnz .LBB6_4940
.LBB6_4242:                             ;   in Loop: Header=BB6_3661 Depth=2
	s_or_b32 exec_lo, exec_lo, s40
	s_and_saveexec_b32 s40, s13
	s_cbranch_execz .LBB6_4244
.LBB6_4243:                             ;   in Loop: Header=BB6_3661 Depth=2
	v_and_b32_e32 v2, 3, v92
	v_lshrrev_b16 v30, 2, v92
	v_lshlrev_b32_e32 v40, 24, v92
	v_ffbh_u32_e32 v3, v2
	v_and_b32_e32 v30, 31, v30
	v_min_u32_e32 v3, 32, v3
	v_cmp_eq_u32_e32 vcc_lo, 0, v30
	v_subrev_nc_u32_e32 v119, 29, v3
	v_sub_nc_u32_e32 v3, 30, v3
	v_lshlrev_b32_e32 v119, v119, v92
	v_cndmask_b32_e32 v3, v30, v3, vcc_lo
	v_and_b32_e32 v30, 0x80000000, v40
	v_and_b32_e32 v119, 3, v119
	v_lshl_add_u32 v3, v3, 23, 0x37800000
	v_cndmask_b32_e32 v2, v2, v119, vcc_lo
	v_lshlrev_b32_e32 v2, 21, v2
	v_or3_b32 v119, v30, v3, v2
.LBB6_4244:                             ;   in Loop: Header=BB6_3661 Depth=2
	s_or_b32 exec_lo, exec_lo, s40
	s_waitcnt vmcnt(15) lgkmcnt(15)
	v_cmp_gt_i16_sdwa s40, v91, v57 src0_sel:BYTE_0 src1_sel:DWORD
	s_mov_b32 s13, 0
	s_and_saveexec_b32 s41, s40
	s_xor_b32 s40, exec_lo, s41
	s_cbranch_execz .LBB6_4941
; %bb.4245:                             ;   in Loop: Header=BB6_3661 Depth=2
	v_cmp_eq_u16_sdwa s42, v91, v58 src0_sel:BYTE_0 src1_sel:DWORD
	s_mov_b32 s13, -1
	s_and_saveexec_b32 s41, s42
; %bb.4246:                             ;   in Loop: Header=BB6_3661 Depth=2
	s_xor_b32 s13, exec_lo, -1
; %bb.4247:                             ;   in Loop: Header=BB6_3661 Depth=2
	s_or_b32 exec_lo, exec_lo, s41
	s_and_b32 s13, s13, exec_lo
	s_or_saveexec_b32 s40, s40
	v_mov_b32_e32 v2, 0x7f800001
	s_xor_b32 exec_lo, exec_lo, s40
	s_cbranch_execnz .LBB6_4942
.LBB6_4248:                             ;   in Loop: Header=BB6_3661 Depth=2
	s_or_b32 exec_lo, exec_lo, s40
	s_and_saveexec_b32 s40, s13
	s_cbranch_execz .LBB6_4250
.LBB6_4249:                             ;   in Loop: Header=BB6_3661 Depth=2
	v_and_b32_e32 v2, 3, v91
	v_lshrrev_b16 v30, 2, v91
	v_lshlrev_b32_e32 v42, 24, v91
	v_ffbh_u32_e32 v3, v2
	v_and_b32_e32 v30, 31, v30
	v_min_u32_e32 v3, 32, v3
	v_cmp_eq_u32_e32 vcc_lo, 0, v30
	v_subrev_nc_u32_e32 v40, 29, v3
	v_sub_nc_u32_e32 v3, 30, v3
	v_lshlrev_b32_e32 v40, v40, v91
	v_cndmask_b32_e32 v3, v30, v3, vcc_lo
	v_and_b32_e32 v30, 0x80000000, v42
	v_and_b32_e32 v40, 3, v40
	v_lshl_add_u32 v3, v3, 23, 0x37800000
	v_cndmask_b32_e32 v2, v2, v40, vcc_lo
	v_lshlrev_b32_e32 v2, 21, v2
	v_or3_b32 v2, v30, v3, v2
.LBB6_4250:                             ;   in Loop: Header=BB6_3661 Depth=2
	s_or_b32 exec_lo, exec_lo, s40
	v_max_f32_e32 v2, v2, v2
	v_max_f32_e32 v3, v119, v119
	s_mov_b32 s13, 0
	v_max_f32_e32 v119, v3, v2
.LBB6_4251:                             ;   in Loop: Header=BB6_3661 Depth=2
	s_and_b32 vcc_lo, exec_lo, s13
	s_cbranch_vccz .LBB6_4265
; %bb.4252:                             ;   in Loop: Header=BB6_3661 Depth=2
	v_cmp_gt_i16_sdwa s40, v92, v57 src0_sel:BYTE_0 src1_sel:DWORD
	s_mov_b32 s13, 0
	s_and_saveexec_b32 s41, s40
	s_xor_b32 s40, exec_lo, s41
	s_cbranch_execz .LBB6_4943
; %bb.4253:                             ;   in Loop: Header=BB6_3661 Depth=2
	v_cmp_eq_u16_sdwa s42, v92, v58 src0_sel:BYTE_0 src1_sel:DWORD
	s_mov_b32 s13, -1
	s_and_saveexec_b32 s41, s42
; %bb.4254:                             ;   in Loop: Header=BB6_3661 Depth=2
	s_xor_b32 s13, exec_lo, -1
; %bb.4255:                             ;   in Loop: Header=BB6_3661 Depth=2
	s_or_b32 exec_lo, exec_lo, s41
	s_and_b32 s13, s13, exec_lo
	s_or_saveexec_b32 s40, s40
	v_mov_b32_e32 v119, 0x7f800001
	s_xor_b32 exec_lo, exec_lo, s40
	s_cbranch_execnz .LBB6_4944
.LBB6_4256:                             ;   in Loop: Header=BB6_3661 Depth=2
	s_or_b32 exec_lo, exec_lo, s40
	s_and_saveexec_b32 s40, s13
	s_cbranch_execz .LBB6_4258
.LBB6_4257:                             ;   in Loop: Header=BB6_3661 Depth=2
	v_and_b32_e32 v2, 3, v92
	v_lshrrev_b16 v30, 2, v92
	v_lshlrev_b32_e32 v40, 24, v92
	v_ffbh_u32_e32 v3, v2
	v_and_b32_e32 v30, 31, v30
	v_min_u32_e32 v3, 32, v3
	v_cmp_eq_u32_e32 vcc_lo, 0, v30
	v_subrev_nc_u32_e32 v119, 29, v3
	v_sub_nc_u32_e32 v3, 30, v3
	v_lshlrev_b32_e32 v119, v119, v92
	v_cndmask_b32_e32 v3, v30, v3, vcc_lo
	v_and_b32_e32 v30, 0x80000000, v40
	v_and_b32_e32 v119, 3, v119
	v_lshl_add_u32 v3, v3, 23, 0x37800000
	v_cndmask_b32_e32 v2, v2, v119, vcc_lo
	v_lshlrev_b32_e32 v2, 21, v2
	v_or3_b32 v119, v30, v3, v2
.LBB6_4258:                             ;   in Loop: Header=BB6_3661 Depth=2
	s_or_b32 exec_lo, exec_lo, s40
	s_waitcnt vmcnt(15) lgkmcnt(15)
	v_cmp_gt_i16_sdwa s40, v91, v57 src0_sel:BYTE_0 src1_sel:DWORD
	s_mov_b32 s13, 0
	s_and_saveexec_b32 s41, s40
	s_xor_b32 s40, exec_lo, s41
	s_cbranch_execz .LBB6_4945
; %bb.4259:                             ;   in Loop: Header=BB6_3661 Depth=2
	v_cmp_eq_u16_sdwa s42, v91, v58 src0_sel:BYTE_0 src1_sel:DWORD
	s_mov_b32 s13, -1
	s_and_saveexec_b32 s41, s42
; %bb.4260:                             ;   in Loop: Header=BB6_3661 Depth=2
	s_xor_b32 s13, exec_lo, -1
; %bb.4261:                             ;   in Loop: Header=BB6_3661 Depth=2
	s_or_b32 exec_lo, exec_lo, s41
	s_and_b32 s13, s13, exec_lo
	s_or_saveexec_b32 s40, s40
	v_mov_b32_e32 v2, 0x7f800001
	s_xor_b32 exec_lo, exec_lo, s40
	s_cbranch_execnz .LBB6_4946
.LBB6_4262:                             ;   in Loop: Header=BB6_3661 Depth=2
	s_or_b32 exec_lo, exec_lo, s40
	s_and_saveexec_b32 s40, s13
	s_cbranch_execz .LBB6_4264
.LBB6_4263:                             ;   in Loop: Header=BB6_3661 Depth=2
	v_and_b32_e32 v2, 3, v91
	v_lshrrev_b16 v30, 2, v91
	v_lshlrev_b32_e32 v42, 24, v91
	v_ffbh_u32_e32 v3, v2
	v_and_b32_e32 v30, 31, v30
	v_min_u32_e32 v3, 32, v3
	v_cmp_eq_u32_e32 vcc_lo, 0, v30
	v_subrev_nc_u32_e32 v40, 29, v3
	v_sub_nc_u32_e32 v3, 30, v3
	v_lshlrev_b32_e32 v40, v40, v91
	v_cndmask_b32_e32 v3, v30, v3, vcc_lo
	v_and_b32_e32 v30, 0x80000000, v42
	v_and_b32_e32 v40, 3, v40
	v_lshl_add_u32 v3, v3, 23, 0x37800000
	v_cndmask_b32_e32 v2, v2, v40, vcc_lo
	v_lshlrev_b32_e32 v2, 21, v2
	v_or3_b32 v2, v30, v3, v2
.LBB6_4264:                             ;   in Loop: Header=BB6_3661 Depth=2
	s_or_b32 exec_lo, exec_lo, s40
	v_max_f32_e32 v2, v2, v2
	v_max_f32_e32 v3, v119, v119
	v_min_f32_e32 v119, v3, v2
.LBB6_4265:                             ;   in Loop: Header=BB6_3661 Depth=2
	v_and_b32_e32 v2, 0x7f800000, v119
	s_waitcnt vmcnt(15) lgkmcnt(15)
	v_mov_b32_e32 v91, 0x80
	s_mov_b32 s40, exec_lo
	v_cmpx_ne_u32_e32 0x7f800000, v2
	s_cbranch_execz .LBB6_4273
; %bb.4266:                             ;   in Loop: Header=BB6_3661 Depth=2
	v_mov_b32_e32 v91, 0
	s_mov_b32 s41, exec_lo
	v_cmpx_ne_u32_e32 0, v119
	s_cbranch_execz .LBB6_4272
; %bb.4267:                             ;   in Loop: Header=BB6_3661 Depth=2
	v_bfe_u32 v2, v119, 23, 8
	v_and_b32_e32 v3, 0x7fffff, v119
	v_sub_nc_u32_e32 v30, 0x70, v2
	v_cmp_gt_u32_e32 vcc_lo, 0x71, v2
	v_or_b32_e32 v40, 0x800000, v3
	v_cndmask_b32_e32 v30, 0, v30, vcc_lo
	v_cmp_eq_u32_e32 vcc_lo, 0, v2
	v_add_nc_u32_e32 v2, 0xffffff91, v2
	v_cndmask_b32_e64 v30, v30, 0x6f, vcc_lo
	v_cndmask_b32_e32 v3, v40, v3, vcc_lo
	v_cndmask_b32_e64 v2, v2, 0xffffff92, vcc_lo
	v_lshl_add_u32 v40, 0x200000, v30, -1
	v_lshrrev_b32_e32 v42, v30, v3
	v_lshlrev_b32_e64 v92, v30, 0x100000
	v_add_nc_u32_e32 v30, v30, v2
	v_and_b32_e32 v3, v40, v3
	v_bfe_u32 v91, v42, 21, 1
	v_cmp_eq_u32_e64 s13, v3, v92
	v_add_nc_u32_e32 v40, -1, v91
	v_cndmask_b32_e64 v3, 0, v40, s13
	v_lshrrev_b32_e32 v40, 23, v42
	s_mov_b32 s13, exec_lo
	v_add_nc_u32_e32 v3, v3, v42
	v_xor_b32_e32 v40, 1, v40
	v_and_b32_e32 v2, 0x1fffff, v3
	v_add_nc_u32_e32 v3, v2, v42
                                        ; implicit-def: $vgpr2
	v_cmpx_ne_u32_e64 v30, v40
	s_xor_b32 s13, exec_lo, s13
; %bb.4268:                             ;   in Loop: Header=BB6_3661 Depth=2
	v_cmp_lt_u32_e32 vcc_lo, 0xffffff, v3
	v_sub_nc_u32_e32 v2, v30, v40
	v_cndmask_b32_e64 v30, 0, 1, vcc_lo
	v_add_co_ci_u32_e64 v2, null, 0, v2, vcc_lo
	v_lshrrev_b32_e32 v3, v30, v3
; %bb.4269:                             ;   in Loop: Header=BB6_3661 Depth=2
	s_andn2_saveexec_b32 s13, s13
; %bb.4270:                             ;   in Loop: Header=BB6_3661 Depth=2
	v_bfe_u32 v2, v3, 23, 1
; %bb.4271:                             ;   in Loop: Header=BB6_3661 Depth=2
	s_or_b32 exec_lo, exec_lo, s13
	v_lshrrev_b32_e32 v3, 21, v3
	v_cmp_gt_i32_e32 vcc_lo, 32, v2
	v_min_i32_e32 v30, 31, v2
	v_and_b32_sdwa v119, v119, v58 dst_sel:DWORD dst_unused:UNUSED_PAD src0_sel:BYTE_3 src1_sel:DWORD
	v_cndmask_b32_e32 v3, 3, v3, vcc_lo
	v_lshlrev_b32_e32 v30, 2, v30
	v_and_b32_e32 v40, 3, v3
	v_or_b32_e32 v2, v2, v3
	v_or3_b32 v3, v30, v119, v40
	v_cmp_ne_u32_e32 vcc_lo, 0, v2
	v_cndmask_b32_e32 v91, 0, v3, vcc_lo
.LBB6_4272:                             ;   in Loop: Header=BB6_3661 Depth=2
	s_or_b32 exec_lo, exec_lo, s41
.LBB6_4273:                             ;   in Loop: Header=BB6_3661 Depth=2
	s_or_b32 exec_lo, exec_lo, s40
	v_cmp_gt_i16_sdwa s40, v89, v57 src0_sel:BYTE_0 src1_sel:DWORD
	s_andn2_b32 vcc_lo, exec_lo, s28
	s_mov_b32 s13, -1
                                        ; implicit-def: $vgpr119
	s_cbranch_vccnz .LBB6_4287
; %bb.4274:                             ;   in Loop: Header=BB6_3661 Depth=2
	s_mov_b32 s13, 0
	s_and_saveexec_b32 s41, s40
	s_xor_b32 s40, exec_lo, s41
	s_cbranch_execz .LBB6_4947
; %bb.4275:                             ;   in Loop: Header=BB6_3661 Depth=2
	v_cmp_eq_u16_sdwa s42, v89, v58 src0_sel:BYTE_0 src1_sel:DWORD
	s_mov_b32 s13, -1
	s_and_saveexec_b32 s41, s42
; %bb.4276:                             ;   in Loop: Header=BB6_3661 Depth=2
	s_xor_b32 s13, exec_lo, -1
; %bb.4277:                             ;   in Loop: Header=BB6_3661 Depth=2
	s_or_b32 exec_lo, exec_lo, s41
	s_and_b32 s13, s13, exec_lo
	s_or_saveexec_b32 s40, s40
	v_mov_b32_e32 v119, 0x7f800001
	s_xor_b32 exec_lo, exec_lo, s40
	s_cbranch_execnz .LBB6_4948
.LBB6_4278:                             ;   in Loop: Header=BB6_3661 Depth=2
	s_or_b32 exec_lo, exec_lo, s40
	s_and_saveexec_b32 s40, s13
	s_cbranch_execz .LBB6_4280
.LBB6_4279:                             ;   in Loop: Header=BB6_3661 Depth=2
	v_and_b32_e32 v2, 3, v89
	v_lshrrev_b16 v30, 2, v89
	v_lshlrev_b32_e32 v40, 24, v89
	v_ffbh_u32_e32 v3, v2
	v_and_b32_e32 v30, 31, v30
	v_min_u32_e32 v3, 32, v3
	v_cmp_eq_u32_e32 vcc_lo, 0, v30
	v_subrev_nc_u32_e32 v119, 29, v3
	v_sub_nc_u32_e32 v3, 30, v3
	v_lshlrev_b32_e32 v119, v119, v89
	v_cndmask_b32_e32 v3, v30, v3, vcc_lo
	v_and_b32_e32 v30, 0x80000000, v40
	v_and_b32_e32 v119, 3, v119
	v_lshl_add_u32 v3, v3, 23, 0x37800000
	v_cndmask_b32_e32 v2, v2, v119, vcc_lo
	v_lshlrev_b32_e32 v2, 21, v2
	v_or3_b32 v119, v30, v3, v2
.LBB6_4280:                             ;   in Loop: Header=BB6_3661 Depth=2
	s_or_b32 exec_lo, exec_lo, s40
	s_waitcnt vmcnt(14) lgkmcnt(14)
	v_cmp_gt_i16_sdwa s40, v88, v57 src0_sel:BYTE_0 src1_sel:DWORD
	s_mov_b32 s13, 0
	s_and_saveexec_b32 s41, s40
	s_xor_b32 s40, exec_lo, s41
	s_cbranch_execz .LBB6_4949
; %bb.4281:                             ;   in Loop: Header=BB6_3661 Depth=2
	v_cmp_eq_u16_sdwa s42, v88, v58 src0_sel:BYTE_0 src1_sel:DWORD
	s_mov_b32 s13, -1
	s_and_saveexec_b32 s41, s42
; %bb.4282:                             ;   in Loop: Header=BB6_3661 Depth=2
	s_xor_b32 s13, exec_lo, -1
; %bb.4283:                             ;   in Loop: Header=BB6_3661 Depth=2
	s_or_b32 exec_lo, exec_lo, s41
	s_and_b32 s13, s13, exec_lo
	s_or_saveexec_b32 s40, s40
	v_mov_b32_e32 v2, 0x7f800001
	s_xor_b32 exec_lo, exec_lo, s40
	s_cbranch_execnz .LBB6_4950
.LBB6_4284:                             ;   in Loop: Header=BB6_3661 Depth=2
	s_or_b32 exec_lo, exec_lo, s40
	s_and_saveexec_b32 s40, s13
	s_cbranch_execz .LBB6_4286
.LBB6_4285:                             ;   in Loop: Header=BB6_3661 Depth=2
	v_and_b32_e32 v2, 3, v88
	v_lshrrev_b16 v30, 2, v88
	v_lshlrev_b32_e32 v42, 24, v88
	v_ffbh_u32_e32 v3, v2
	v_and_b32_e32 v30, 31, v30
	v_min_u32_e32 v3, 32, v3
	v_cmp_eq_u32_e32 vcc_lo, 0, v30
	v_subrev_nc_u32_e32 v40, 29, v3
	v_sub_nc_u32_e32 v3, 30, v3
	v_lshlrev_b32_e32 v40, v40, v88
	v_cndmask_b32_e32 v3, v30, v3, vcc_lo
	v_and_b32_e32 v30, 0x80000000, v42
	v_and_b32_e32 v40, 3, v40
	v_lshl_add_u32 v3, v3, 23, 0x37800000
	v_cndmask_b32_e32 v2, v2, v40, vcc_lo
	v_lshlrev_b32_e32 v2, 21, v2
	v_or3_b32 v2, v30, v3, v2
.LBB6_4286:                             ;   in Loop: Header=BB6_3661 Depth=2
	s_or_b32 exec_lo, exec_lo, s40
	v_max_f32_e32 v2, v2, v2
	v_max_f32_e32 v3, v119, v119
	s_mov_b32 s13, 0
	v_max_f32_e32 v119, v3, v2
.LBB6_4287:                             ;   in Loop: Header=BB6_3661 Depth=2
	s_and_b32 vcc_lo, exec_lo, s13
	s_cbranch_vccz .LBB6_4301
; %bb.4288:                             ;   in Loop: Header=BB6_3661 Depth=2
	v_cmp_gt_i16_sdwa s40, v89, v57 src0_sel:BYTE_0 src1_sel:DWORD
	s_mov_b32 s13, 0
	s_and_saveexec_b32 s41, s40
	s_xor_b32 s40, exec_lo, s41
	s_cbranch_execz .LBB6_4951
; %bb.4289:                             ;   in Loop: Header=BB6_3661 Depth=2
	v_cmp_eq_u16_sdwa s42, v89, v58 src0_sel:BYTE_0 src1_sel:DWORD
	s_mov_b32 s13, -1
	s_and_saveexec_b32 s41, s42
; %bb.4290:                             ;   in Loop: Header=BB6_3661 Depth=2
	s_xor_b32 s13, exec_lo, -1
; %bb.4291:                             ;   in Loop: Header=BB6_3661 Depth=2
	s_or_b32 exec_lo, exec_lo, s41
	s_and_b32 s13, s13, exec_lo
	s_or_saveexec_b32 s40, s40
	v_mov_b32_e32 v119, 0x7f800001
	s_xor_b32 exec_lo, exec_lo, s40
	s_cbranch_execnz .LBB6_4952
.LBB6_4292:                             ;   in Loop: Header=BB6_3661 Depth=2
	s_or_b32 exec_lo, exec_lo, s40
	s_and_saveexec_b32 s40, s13
	s_cbranch_execz .LBB6_4294
.LBB6_4293:                             ;   in Loop: Header=BB6_3661 Depth=2
	v_and_b32_e32 v2, 3, v89
	v_lshrrev_b16 v30, 2, v89
	v_lshlrev_b32_e32 v40, 24, v89
	v_ffbh_u32_e32 v3, v2
	v_and_b32_e32 v30, 31, v30
	v_min_u32_e32 v3, 32, v3
	v_cmp_eq_u32_e32 vcc_lo, 0, v30
	v_subrev_nc_u32_e32 v119, 29, v3
	v_sub_nc_u32_e32 v3, 30, v3
	v_lshlrev_b32_e32 v119, v119, v89
	v_cndmask_b32_e32 v3, v30, v3, vcc_lo
	v_and_b32_e32 v30, 0x80000000, v40
	v_and_b32_e32 v119, 3, v119
	v_lshl_add_u32 v3, v3, 23, 0x37800000
	v_cndmask_b32_e32 v2, v2, v119, vcc_lo
	v_lshlrev_b32_e32 v2, 21, v2
	v_or3_b32 v119, v30, v3, v2
.LBB6_4294:                             ;   in Loop: Header=BB6_3661 Depth=2
	s_or_b32 exec_lo, exec_lo, s40
	s_waitcnt vmcnt(14) lgkmcnt(14)
	v_cmp_gt_i16_sdwa s40, v88, v57 src0_sel:BYTE_0 src1_sel:DWORD
	s_mov_b32 s13, 0
	s_and_saveexec_b32 s41, s40
	s_xor_b32 s40, exec_lo, s41
	s_cbranch_execz .LBB6_4953
; %bb.4295:                             ;   in Loop: Header=BB6_3661 Depth=2
	v_cmp_eq_u16_sdwa s42, v88, v58 src0_sel:BYTE_0 src1_sel:DWORD
	s_mov_b32 s13, -1
	s_and_saveexec_b32 s41, s42
; %bb.4296:                             ;   in Loop: Header=BB6_3661 Depth=2
	s_xor_b32 s13, exec_lo, -1
; %bb.4297:                             ;   in Loop: Header=BB6_3661 Depth=2
	s_or_b32 exec_lo, exec_lo, s41
	s_and_b32 s13, s13, exec_lo
	s_or_saveexec_b32 s40, s40
	v_mov_b32_e32 v2, 0x7f800001
	s_xor_b32 exec_lo, exec_lo, s40
	s_cbranch_execnz .LBB6_4954
.LBB6_4298:                             ;   in Loop: Header=BB6_3661 Depth=2
	s_or_b32 exec_lo, exec_lo, s40
	s_and_saveexec_b32 s40, s13
	s_cbranch_execz .LBB6_4300
.LBB6_4299:                             ;   in Loop: Header=BB6_3661 Depth=2
	v_and_b32_e32 v2, 3, v88
	v_lshrrev_b16 v30, 2, v88
	v_lshlrev_b32_e32 v42, 24, v88
	v_ffbh_u32_e32 v3, v2
	v_and_b32_e32 v30, 31, v30
	v_min_u32_e32 v3, 32, v3
	v_cmp_eq_u32_e32 vcc_lo, 0, v30
	v_subrev_nc_u32_e32 v40, 29, v3
	v_sub_nc_u32_e32 v3, 30, v3
	v_lshlrev_b32_e32 v40, v40, v88
	v_cndmask_b32_e32 v3, v30, v3, vcc_lo
	v_and_b32_e32 v30, 0x80000000, v42
	v_and_b32_e32 v40, 3, v40
	v_lshl_add_u32 v3, v3, 23, 0x37800000
	v_cndmask_b32_e32 v2, v2, v40, vcc_lo
	v_lshlrev_b32_e32 v2, 21, v2
	v_or3_b32 v2, v30, v3, v2
.LBB6_4300:                             ;   in Loop: Header=BB6_3661 Depth=2
	s_or_b32 exec_lo, exec_lo, s40
	v_max_f32_e32 v2, v2, v2
	v_max_f32_e32 v3, v119, v119
	v_min_f32_e32 v119, v3, v2
.LBB6_4301:                             ;   in Loop: Header=BB6_3661 Depth=2
	v_and_b32_e32 v2, 0x7f800000, v119
	s_waitcnt vmcnt(14) lgkmcnt(14)
	v_mov_b32_e32 v88, 0x80
	s_mov_b32 s40, exec_lo
	v_cmpx_ne_u32_e32 0x7f800000, v2
	s_cbranch_execz .LBB6_4309
; %bb.4302:                             ;   in Loop: Header=BB6_3661 Depth=2
	v_mov_b32_e32 v88, 0
	s_mov_b32 s41, exec_lo
	v_cmpx_ne_u32_e32 0, v119
	s_cbranch_execz .LBB6_4308
; %bb.4303:                             ;   in Loop: Header=BB6_3661 Depth=2
	v_bfe_u32 v2, v119, 23, 8
	v_and_b32_e32 v3, 0x7fffff, v119
	v_sub_nc_u32_e32 v30, 0x70, v2
	v_cmp_gt_u32_e32 vcc_lo, 0x71, v2
	v_or_b32_e32 v40, 0x800000, v3
	v_cndmask_b32_e32 v30, 0, v30, vcc_lo
	v_cmp_eq_u32_e32 vcc_lo, 0, v2
	v_add_nc_u32_e32 v2, 0xffffff91, v2
	v_cndmask_b32_e64 v30, v30, 0x6f, vcc_lo
	v_cndmask_b32_e32 v3, v40, v3, vcc_lo
	v_cndmask_b32_e64 v2, v2, 0xffffff92, vcc_lo
	v_lshl_add_u32 v40, 0x200000, v30, -1
	v_lshrrev_b32_e32 v42, v30, v3
	v_lshlrev_b32_e64 v89, v30, 0x100000
	v_add_nc_u32_e32 v30, v30, v2
	v_and_b32_e32 v3, v40, v3
	v_bfe_u32 v88, v42, 21, 1
	v_cmp_eq_u32_e64 s13, v3, v89
	v_add_nc_u32_e32 v40, -1, v88
	v_cndmask_b32_e64 v3, 0, v40, s13
	v_lshrrev_b32_e32 v40, 23, v42
	s_mov_b32 s13, exec_lo
	v_add_nc_u32_e32 v3, v3, v42
	v_xor_b32_e32 v40, 1, v40
	v_and_b32_e32 v2, 0x1fffff, v3
	v_add_nc_u32_e32 v3, v2, v42
                                        ; implicit-def: $vgpr2
	v_cmpx_ne_u32_e64 v30, v40
	s_xor_b32 s13, exec_lo, s13
; %bb.4304:                             ;   in Loop: Header=BB6_3661 Depth=2
	v_cmp_lt_u32_e32 vcc_lo, 0xffffff, v3
	v_sub_nc_u32_e32 v2, v30, v40
	v_cndmask_b32_e64 v30, 0, 1, vcc_lo
	v_add_co_ci_u32_e64 v2, null, 0, v2, vcc_lo
	v_lshrrev_b32_e32 v3, v30, v3
; %bb.4305:                             ;   in Loop: Header=BB6_3661 Depth=2
	s_andn2_saveexec_b32 s13, s13
; %bb.4306:                             ;   in Loop: Header=BB6_3661 Depth=2
	v_bfe_u32 v2, v3, 23, 1
; %bb.4307:                             ;   in Loop: Header=BB6_3661 Depth=2
	s_or_b32 exec_lo, exec_lo, s13
	v_lshrrev_b32_e32 v3, 21, v3
	v_cmp_gt_i32_e32 vcc_lo, 32, v2
	v_min_i32_e32 v30, 31, v2
	v_and_b32_sdwa v119, v119, v58 dst_sel:DWORD dst_unused:UNUSED_PAD src0_sel:BYTE_3 src1_sel:DWORD
	v_cndmask_b32_e32 v3, 3, v3, vcc_lo
	v_lshlrev_b32_e32 v30, 2, v30
	v_and_b32_e32 v40, 3, v3
	v_or_b32_e32 v2, v2, v3
	v_or3_b32 v3, v30, v119, v40
	v_cmp_ne_u32_e32 vcc_lo, 0, v2
	v_cndmask_b32_e32 v88, 0, v3, vcc_lo
.LBB6_4308:                             ;   in Loop: Header=BB6_3661 Depth=2
	s_or_b32 exec_lo, exec_lo, s41
.LBB6_4309:                             ;   in Loop: Header=BB6_3661 Depth=2
	s_or_b32 exec_lo, exec_lo, s40
	v_cmp_gt_i16_sdwa s40, v78, v57 src0_sel:BYTE_0 src1_sel:DWORD
	s_andn2_b32 vcc_lo, exec_lo, s28
	s_mov_b32 s13, -1
                                        ; implicit-def: $vgpr119
	s_cbranch_vccnz .LBB6_4323
; %bb.4310:                             ;   in Loop: Header=BB6_3661 Depth=2
	s_mov_b32 s13, 0
	s_and_saveexec_b32 s41, s40
	s_xor_b32 s40, exec_lo, s41
	s_cbranch_execz .LBB6_4955
; %bb.4311:                             ;   in Loop: Header=BB6_3661 Depth=2
	v_cmp_eq_u16_sdwa s42, v78, v58 src0_sel:BYTE_0 src1_sel:DWORD
	s_mov_b32 s13, -1
	s_and_saveexec_b32 s41, s42
; %bb.4312:                             ;   in Loop: Header=BB6_3661 Depth=2
	s_xor_b32 s13, exec_lo, -1
; %bb.4313:                             ;   in Loop: Header=BB6_3661 Depth=2
	s_or_b32 exec_lo, exec_lo, s41
	s_and_b32 s13, s13, exec_lo
	s_or_saveexec_b32 s40, s40
	v_mov_b32_e32 v119, 0x7f800001
	s_xor_b32 exec_lo, exec_lo, s40
	s_cbranch_execnz .LBB6_4956
.LBB6_4314:                             ;   in Loop: Header=BB6_3661 Depth=2
	s_or_b32 exec_lo, exec_lo, s40
	s_and_saveexec_b32 s40, s13
	s_cbranch_execz .LBB6_4316
.LBB6_4315:                             ;   in Loop: Header=BB6_3661 Depth=2
	v_and_b32_e32 v2, 3, v78
	v_lshrrev_b16 v30, 2, v78
	v_lshlrev_b32_e32 v40, 24, v78
	v_ffbh_u32_e32 v3, v2
	v_and_b32_e32 v30, 31, v30
	v_min_u32_e32 v3, 32, v3
	v_cmp_eq_u32_e32 vcc_lo, 0, v30
	v_subrev_nc_u32_e32 v119, 29, v3
	v_sub_nc_u32_e32 v3, 30, v3
	v_lshlrev_b32_e32 v119, v119, v78
	v_cndmask_b32_e32 v3, v30, v3, vcc_lo
	v_and_b32_e32 v30, 0x80000000, v40
	v_and_b32_e32 v119, 3, v119
	v_lshl_add_u32 v3, v3, 23, 0x37800000
	v_cndmask_b32_e32 v2, v2, v119, vcc_lo
	v_lshlrev_b32_e32 v2, 21, v2
	v_or3_b32 v119, v30, v3, v2
.LBB6_4316:                             ;   in Loop: Header=BB6_3661 Depth=2
	s_or_b32 exec_lo, exec_lo, s40
	s_waitcnt vmcnt(13) lgkmcnt(13)
	v_cmp_gt_i16_sdwa s40, v77, v57 src0_sel:BYTE_0 src1_sel:DWORD
	s_mov_b32 s13, 0
	s_and_saveexec_b32 s41, s40
	s_xor_b32 s40, exec_lo, s41
	s_cbranch_execz .LBB6_4957
; %bb.4317:                             ;   in Loop: Header=BB6_3661 Depth=2
	v_cmp_eq_u16_sdwa s42, v77, v58 src0_sel:BYTE_0 src1_sel:DWORD
	s_mov_b32 s13, -1
	s_and_saveexec_b32 s41, s42
; %bb.4318:                             ;   in Loop: Header=BB6_3661 Depth=2
	s_xor_b32 s13, exec_lo, -1
; %bb.4319:                             ;   in Loop: Header=BB6_3661 Depth=2
	s_or_b32 exec_lo, exec_lo, s41
	s_and_b32 s13, s13, exec_lo
	s_or_saveexec_b32 s40, s40
	v_mov_b32_e32 v2, 0x7f800001
	s_xor_b32 exec_lo, exec_lo, s40
	s_cbranch_execnz .LBB6_4958
.LBB6_4320:                             ;   in Loop: Header=BB6_3661 Depth=2
	s_or_b32 exec_lo, exec_lo, s40
	s_and_saveexec_b32 s40, s13
	s_cbranch_execz .LBB6_4322
.LBB6_4321:                             ;   in Loop: Header=BB6_3661 Depth=2
	v_and_b32_e32 v2, 3, v77
	v_lshrrev_b16 v30, 2, v77
	v_lshlrev_b32_e32 v42, 24, v77
	v_ffbh_u32_e32 v3, v2
	v_and_b32_e32 v30, 31, v30
	v_min_u32_e32 v3, 32, v3
	v_cmp_eq_u32_e32 vcc_lo, 0, v30
	v_subrev_nc_u32_e32 v40, 29, v3
	v_sub_nc_u32_e32 v3, 30, v3
	v_lshlrev_b32_e32 v40, v40, v77
	v_cndmask_b32_e32 v3, v30, v3, vcc_lo
	v_and_b32_e32 v30, 0x80000000, v42
	v_and_b32_e32 v40, 3, v40
	v_lshl_add_u32 v3, v3, 23, 0x37800000
	v_cndmask_b32_e32 v2, v2, v40, vcc_lo
	v_lshlrev_b32_e32 v2, 21, v2
	v_or3_b32 v2, v30, v3, v2
.LBB6_4322:                             ;   in Loop: Header=BB6_3661 Depth=2
	s_or_b32 exec_lo, exec_lo, s40
	v_max_f32_e32 v2, v2, v2
	v_max_f32_e32 v3, v119, v119
	s_mov_b32 s13, 0
	v_max_f32_e32 v119, v3, v2
.LBB6_4323:                             ;   in Loop: Header=BB6_3661 Depth=2
	s_and_b32 vcc_lo, exec_lo, s13
	s_cbranch_vccz .LBB6_4337
; %bb.4324:                             ;   in Loop: Header=BB6_3661 Depth=2
	v_cmp_gt_i16_sdwa s40, v78, v57 src0_sel:BYTE_0 src1_sel:DWORD
	s_mov_b32 s13, 0
	s_and_saveexec_b32 s41, s40
	s_xor_b32 s40, exec_lo, s41
	s_cbranch_execz .LBB6_4959
; %bb.4325:                             ;   in Loop: Header=BB6_3661 Depth=2
	v_cmp_eq_u16_sdwa s42, v78, v58 src0_sel:BYTE_0 src1_sel:DWORD
	s_mov_b32 s13, -1
	s_and_saveexec_b32 s41, s42
; %bb.4326:                             ;   in Loop: Header=BB6_3661 Depth=2
	s_xor_b32 s13, exec_lo, -1
; %bb.4327:                             ;   in Loop: Header=BB6_3661 Depth=2
	s_or_b32 exec_lo, exec_lo, s41
	s_and_b32 s13, s13, exec_lo
	s_or_saveexec_b32 s40, s40
	v_mov_b32_e32 v119, 0x7f800001
	s_xor_b32 exec_lo, exec_lo, s40
	s_cbranch_execnz .LBB6_4960
.LBB6_4328:                             ;   in Loop: Header=BB6_3661 Depth=2
	s_or_b32 exec_lo, exec_lo, s40
	s_and_saveexec_b32 s40, s13
	s_cbranch_execz .LBB6_4330
.LBB6_4329:                             ;   in Loop: Header=BB6_3661 Depth=2
	v_and_b32_e32 v2, 3, v78
	v_lshrrev_b16 v30, 2, v78
	v_lshlrev_b32_e32 v40, 24, v78
	v_ffbh_u32_e32 v3, v2
	v_and_b32_e32 v30, 31, v30
	v_min_u32_e32 v3, 32, v3
	v_cmp_eq_u32_e32 vcc_lo, 0, v30
	v_subrev_nc_u32_e32 v119, 29, v3
	v_sub_nc_u32_e32 v3, 30, v3
	v_lshlrev_b32_e32 v119, v119, v78
	v_cndmask_b32_e32 v3, v30, v3, vcc_lo
	v_and_b32_e32 v30, 0x80000000, v40
	v_and_b32_e32 v119, 3, v119
	v_lshl_add_u32 v3, v3, 23, 0x37800000
	v_cndmask_b32_e32 v2, v2, v119, vcc_lo
	v_lshlrev_b32_e32 v2, 21, v2
	v_or3_b32 v119, v30, v3, v2
.LBB6_4330:                             ;   in Loop: Header=BB6_3661 Depth=2
	s_or_b32 exec_lo, exec_lo, s40
	s_waitcnt vmcnt(13) lgkmcnt(13)
	v_cmp_gt_i16_sdwa s40, v77, v57 src0_sel:BYTE_0 src1_sel:DWORD
	s_mov_b32 s13, 0
	s_and_saveexec_b32 s41, s40
	s_xor_b32 s40, exec_lo, s41
	s_cbranch_execz .LBB6_4961
; %bb.4331:                             ;   in Loop: Header=BB6_3661 Depth=2
	v_cmp_eq_u16_sdwa s42, v77, v58 src0_sel:BYTE_0 src1_sel:DWORD
	s_mov_b32 s13, -1
	s_and_saveexec_b32 s41, s42
; %bb.4332:                             ;   in Loop: Header=BB6_3661 Depth=2
	s_xor_b32 s13, exec_lo, -1
; %bb.4333:                             ;   in Loop: Header=BB6_3661 Depth=2
	s_or_b32 exec_lo, exec_lo, s41
	s_and_b32 s13, s13, exec_lo
	s_or_saveexec_b32 s40, s40
	v_mov_b32_e32 v2, 0x7f800001
	s_xor_b32 exec_lo, exec_lo, s40
	s_cbranch_execnz .LBB6_4962
.LBB6_4334:                             ;   in Loop: Header=BB6_3661 Depth=2
	s_or_b32 exec_lo, exec_lo, s40
	s_and_saveexec_b32 s40, s13
	s_cbranch_execz .LBB6_4336
.LBB6_4335:                             ;   in Loop: Header=BB6_3661 Depth=2
	v_and_b32_e32 v2, 3, v77
	v_lshrrev_b16 v30, 2, v77
	v_lshlrev_b32_e32 v42, 24, v77
	v_ffbh_u32_e32 v3, v2
	v_and_b32_e32 v30, 31, v30
	v_min_u32_e32 v3, 32, v3
	v_cmp_eq_u32_e32 vcc_lo, 0, v30
	v_subrev_nc_u32_e32 v40, 29, v3
	v_sub_nc_u32_e32 v3, 30, v3
	v_lshlrev_b32_e32 v40, v40, v77
	v_cndmask_b32_e32 v3, v30, v3, vcc_lo
	v_and_b32_e32 v30, 0x80000000, v42
	v_and_b32_e32 v40, 3, v40
	v_lshl_add_u32 v3, v3, 23, 0x37800000
	v_cndmask_b32_e32 v2, v2, v40, vcc_lo
	v_lshlrev_b32_e32 v2, 21, v2
	v_or3_b32 v2, v30, v3, v2
.LBB6_4336:                             ;   in Loop: Header=BB6_3661 Depth=2
	s_or_b32 exec_lo, exec_lo, s40
	v_max_f32_e32 v2, v2, v2
	v_max_f32_e32 v3, v119, v119
	v_min_f32_e32 v119, v3, v2
.LBB6_4337:                             ;   in Loop: Header=BB6_3661 Depth=2
	v_and_b32_e32 v2, 0x7f800000, v119
	s_waitcnt vmcnt(13) lgkmcnt(13)
	v_mov_b32_e32 v77, 0x80
	s_mov_b32 s40, exec_lo
	v_cmpx_ne_u32_e32 0x7f800000, v2
	s_cbranch_execz .LBB6_4345
; %bb.4338:                             ;   in Loop: Header=BB6_3661 Depth=2
	v_mov_b32_e32 v77, 0
	s_mov_b32 s41, exec_lo
	v_cmpx_ne_u32_e32 0, v119
	s_cbranch_execz .LBB6_4344
; %bb.4339:                             ;   in Loop: Header=BB6_3661 Depth=2
	v_bfe_u32 v2, v119, 23, 8
	v_and_b32_e32 v3, 0x7fffff, v119
	v_sub_nc_u32_e32 v30, 0x70, v2
	v_cmp_gt_u32_e32 vcc_lo, 0x71, v2
	v_or_b32_e32 v40, 0x800000, v3
	v_cndmask_b32_e32 v30, 0, v30, vcc_lo
	v_cmp_eq_u32_e32 vcc_lo, 0, v2
	v_add_nc_u32_e32 v2, 0xffffff91, v2
	v_cndmask_b32_e64 v30, v30, 0x6f, vcc_lo
	v_cndmask_b32_e32 v3, v40, v3, vcc_lo
	v_cndmask_b32_e64 v2, v2, 0xffffff92, vcc_lo
	v_lshl_add_u32 v40, 0x200000, v30, -1
	v_lshrrev_b32_e32 v42, v30, v3
	v_lshlrev_b32_e64 v78, v30, 0x100000
	v_add_nc_u32_e32 v30, v30, v2
	v_and_b32_e32 v3, v40, v3
	v_bfe_u32 v77, v42, 21, 1
	v_cmp_eq_u32_e64 s13, v3, v78
	v_add_nc_u32_e32 v40, -1, v77
	v_cndmask_b32_e64 v3, 0, v40, s13
	v_lshrrev_b32_e32 v40, 23, v42
	s_mov_b32 s13, exec_lo
	v_add_nc_u32_e32 v3, v3, v42
	v_xor_b32_e32 v40, 1, v40
	v_and_b32_e32 v2, 0x1fffff, v3
	v_add_nc_u32_e32 v3, v2, v42
                                        ; implicit-def: $vgpr2
	v_cmpx_ne_u32_e64 v30, v40
	s_xor_b32 s13, exec_lo, s13
; %bb.4340:                             ;   in Loop: Header=BB6_3661 Depth=2
	v_cmp_lt_u32_e32 vcc_lo, 0xffffff, v3
	v_sub_nc_u32_e32 v2, v30, v40
	v_cndmask_b32_e64 v30, 0, 1, vcc_lo
	v_add_co_ci_u32_e64 v2, null, 0, v2, vcc_lo
	v_lshrrev_b32_e32 v3, v30, v3
; %bb.4341:                             ;   in Loop: Header=BB6_3661 Depth=2
	s_andn2_saveexec_b32 s13, s13
; %bb.4342:                             ;   in Loop: Header=BB6_3661 Depth=2
	v_bfe_u32 v2, v3, 23, 1
; %bb.4343:                             ;   in Loop: Header=BB6_3661 Depth=2
	s_or_b32 exec_lo, exec_lo, s13
	v_lshrrev_b32_e32 v3, 21, v3
	v_cmp_gt_i32_e32 vcc_lo, 32, v2
	v_min_i32_e32 v30, 31, v2
	v_and_b32_sdwa v119, v119, v58 dst_sel:DWORD dst_unused:UNUSED_PAD src0_sel:BYTE_3 src1_sel:DWORD
	v_cndmask_b32_e32 v3, 3, v3, vcc_lo
	v_lshlrev_b32_e32 v30, 2, v30
	v_and_b32_e32 v40, 3, v3
	v_or_b32_e32 v2, v2, v3
	v_or3_b32 v3, v30, v119, v40
	v_cmp_ne_u32_e32 vcc_lo, 0, v2
	v_cndmask_b32_e32 v77, 0, v3, vcc_lo
.LBB6_4344:                             ;   in Loop: Header=BB6_3661 Depth=2
	s_or_b32 exec_lo, exec_lo, s41
.LBB6_4345:                             ;   in Loop: Header=BB6_3661 Depth=2
	s_or_b32 exec_lo, exec_lo, s40
	v_cmp_gt_i16_sdwa s40, v75, v57 src0_sel:BYTE_0 src1_sel:DWORD
	s_andn2_b32 vcc_lo, exec_lo, s28
	s_mov_b32 s13, -1
                                        ; implicit-def: $vgpr119
	s_cbranch_vccnz .LBB6_4359
; %bb.4346:                             ;   in Loop: Header=BB6_3661 Depth=2
	s_mov_b32 s13, 0
	s_and_saveexec_b32 s41, s40
	s_xor_b32 s40, exec_lo, s41
	s_cbranch_execz .LBB6_4963
; %bb.4347:                             ;   in Loop: Header=BB6_3661 Depth=2
	v_cmp_eq_u16_sdwa s42, v75, v58 src0_sel:BYTE_0 src1_sel:DWORD
	s_mov_b32 s13, -1
	s_and_saveexec_b32 s41, s42
; %bb.4348:                             ;   in Loop: Header=BB6_3661 Depth=2
	s_xor_b32 s13, exec_lo, -1
; %bb.4349:                             ;   in Loop: Header=BB6_3661 Depth=2
	s_or_b32 exec_lo, exec_lo, s41
	s_and_b32 s13, s13, exec_lo
	s_or_saveexec_b32 s40, s40
	v_mov_b32_e32 v119, 0x7f800001
	s_xor_b32 exec_lo, exec_lo, s40
	s_cbranch_execnz .LBB6_4964
.LBB6_4350:                             ;   in Loop: Header=BB6_3661 Depth=2
	s_or_b32 exec_lo, exec_lo, s40
	s_and_saveexec_b32 s40, s13
	s_cbranch_execz .LBB6_4352
.LBB6_4351:                             ;   in Loop: Header=BB6_3661 Depth=2
	v_and_b32_e32 v2, 3, v75
	v_lshrrev_b16 v30, 2, v75
	v_lshlrev_b32_e32 v40, 24, v75
	v_ffbh_u32_e32 v3, v2
	v_and_b32_e32 v30, 31, v30
	v_min_u32_e32 v3, 32, v3
	v_cmp_eq_u32_e32 vcc_lo, 0, v30
	v_subrev_nc_u32_e32 v119, 29, v3
	v_sub_nc_u32_e32 v3, 30, v3
	v_lshlrev_b32_e32 v119, v119, v75
	v_cndmask_b32_e32 v3, v30, v3, vcc_lo
	v_and_b32_e32 v30, 0x80000000, v40
	v_and_b32_e32 v119, 3, v119
	v_lshl_add_u32 v3, v3, 23, 0x37800000
	v_cndmask_b32_e32 v2, v2, v119, vcc_lo
	v_lshlrev_b32_e32 v2, 21, v2
	v_or3_b32 v119, v30, v3, v2
.LBB6_4352:                             ;   in Loop: Header=BB6_3661 Depth=2
	s_or_b32 exec_lo, exec_lo, s40
	s_waitcnt vmcnt(12) lgkmcnt(12)
	v_cmp_gt_i16_sdwa s40, v74, v57 src0_sel:BYTE_0 src1_sel:DWORD
	s_mov_b32 s13, 0
	s_and_saveexec_b32 s41, s40
	s_xor_b32 s40, exec_lo, s41
	s_cbranch_execz .LBB6_4965
; %bb.4353:                             ;   in Loop: Header=BB6_3661 Depth=2
	v_cmp_eq_u16_sdwa s42, v74, v58 src0_sel:BYTE_0 src1_sel:DWORD
	s_mov_b32 s13, -1
	s_and_saveexec_b32 s41, s42
; %bb.4354:                             ;   in Loop: Header=BB6_3661 Depth=2
	s_xor_b32 s13, exec_lo, -1
; %bb.4355:                             ;   in Loop: Header=BB6_3661 Depth=2
	s_or_b32 exec_lo, exec_lo, s41
	s_and_b32 s13, s13, exec_lo
	s_or_saveexec_b32 s40, s40
	v_mov_b32_e32 v2, 0x7f800001
	s_xor_b32 exec_lo, exec_lo, s40
	s_cbranch_execnz .LBB6_4966
.LBB6_4356:                             ;   in Loop: Header=BB6_3661 Depth=2
	s_or_b32 exec_lo, exec_lo, s40
	s_and_saveexec_b32 s40, s13
	s_cbranch_execz .LBB6_4358
.LBB6_4357:                             ;   in Loop: Header=BB6_3661 Depth=2
	v_and_b32_e32 v2, 3, v74
	v_lshrrev_b16 v30, 2, v74
	v_lshlrev_b32_e32 v42, 24, v74
	v_ffbh_u32_e32 v3, v2
	v_and_b32_e32 v30, 31, v30
	v_min_u32_e32 v3, 32, v3
	v_cmp_eq_u32_e32 vcc_lo, 0, v30
	v_subrev_nc_u32_e32 v40, 29, v3
	v_sub_nc_u32_e32 v3, 30, v3
	v_lshlrev_b32_e32 v40, v40, v74
	v_cndmask_b32_e32 v3, v30, v3, vcc_lo
	v_and_b32_e32 v30, 0x80000000, v42
	v_and_b32_e32 v40, 3, v40
	v_lshl_add_u32 v3, v3, 23, 0x37800000
	v_cndmask_b32_e32 v2, v2, v40, vcc_lo
	v_lshlrev_b32_e32 v2, 21, v2
	v_or3_b32 v2, v30, v3, v2
.LBB6_4358:                             ;   in Loop: Header=BB6_3661 Depth=2
	s_or_b32 exec_lo, exec_lo, s40
	v_max_f32_e32 v2, v2, v2
	v_max_f32_e32 v3, v119, v119
	s_mov_b32 s13, 0
	v_max_f32_e32 v119, v3, v2
.LBB6_4359:                             ;   in Loop: Header=BB6_3661 Depth=2
	s_and_b32 vcc_lo, exec_lo, s13
	s_cbranch_vccz .LBB6_4373
; %bb.4360:                             ;   in Loop: Header=BB6_3661 Depth=2
	v_cmp_gt_i16_sdwa s40, v75, v57 src0_sel:BYTE_0 src1_sel:DWORD
	s_mov_b32 s13, 0
	s_and_saveexec_b32 s41, s40
	s_xor_b32 s40, exec_lo, s41
	s_cbranch_execz .LBB6_4967
; %bb.4361:                             ;   in Loop: Header=BB6_3661 Depth=2
	v_cmp_eq_u16_sdwa s42, v75, v58 src0_sel:BYTE_0 src1_sel:DWORD
	s_mov_b32 s13, -1
	s_and_saveexec_b32 s41, s42
; %bb.4362:                             ;   in Loop: Header=BB6_3661 Depth=2
	s_xor_b32 s13, exec_lo, -1
; %bb.4363:                             ;   in Loop: Header=BB6_3661 Depth=2
	s_or_b32 exec_lo, exec_lo, s41
	s_and_b32 s13, s13, exec_lo
	s_or_saveexec_b32 s40, s40
	v_mov_b32_e32 v119, 0x7f800001
	s_xor_b32 exec_lo, exec_lo, s40
	s_cbranch_execnz .LBB6_4968
.LBB6_4364:                             ;   in Loop: Header=BB6_3661 Depth=2
	s_or_b32 exec_lo, exec_lo, s40
	s_and_saveexec_b32 s40, s13
	s_cbranch_execz .LBB6_4366
.LBB6_4365:                             ;   in Loop: Header=BB6_3661 Depth=2
	v_and_b32_e32 v2, 3, v75
	v_lshrrev_b16 v30, 2, v75
	v_lshlrev_b32_e32 v40, 24, v75
	v_ffbh_u32_e32 v3, v2
	v_and_b32_e32 v30, 31, v30
	v_min_u32_e32 v3, 32, v3
	v_cmp_eq_u32_e32 vcc_lo, 0, v30
	v_subrev_nc_u32_e32 v119, 29, v3
	v_sub_nc_u32_e32 v3, 30, v3
	v_lshlrev_b32_e32 v119, v119, v75
	v_cndmask_b32_e32 v3, v30, v3, vcc_lo
	v_and_b32_e32 v30, 0x80000000, v40
	v_and_b32_e32 v119, 3, v119
	v_lshl_add_u32 v3, v3, 23, 0x37800000
	v_cndmask_b32_e32 v2, v2, v119, vcc_lo
	v_lshlrev_b32_e32 v2, 21, v2
	v_or3_b32 v119, v30, v3, v2
.LBB6_4366:                             ;   in Loop: Header=BB6_3661 Depth=2
	s_or_b32 exec_lo, exec_lo, s40
	s_waitcnt vmcnt(12) lgkmcnt(12)
	v_cmp_gt_i16_sdwa s40, v74, v57 src0_sel:BYTE_0 src1_sel:DWORD
	s_mov_b32 s13, 0
	s_and_saveexec_b32 s41, s40
	s_xor_b32 s40, exec_lo, s41
	s_cbranch_execz .LBB6_4969
; %bb.4367:                             ;   in Loop: Header=BB6_3661 Depth=2
	v_cmp_eq_u16_sdwa s42, v74, v58 src0_sel:BYTE_0 src1_sel:DWORD
	s_mov_b32 s13, -1
	s_and_saveexec_b32 s41, s42
; %bb.4368:                             ;   in Loop: Header=BB6_3661 Depth=2
	s_xor_b32 s13, exec_lo, -1
; %bb.4369:                             ;   in Loop: Header=BB6_3661 Depth=2
	s_or_b32 exec_lo, exec_lo, s41
	s_and_b32 s13, s13, exec_lo
	s_or_saveexec_b32 s40, s40
	v_mov_b32_e32 v2, 0x7f800001
	s_xor_b32 exec_lo, exec_lo, s40
	s_cbranch_execnz .LBB6_4970
.LBB6_4370:                             ;   in Loop: Header=BB6_3661 Depth=2
	s_or_b32 exec_lo, exec_lo, s40
	s_and_saveexec_b32 s40, s13
	s_cbranch_execz .LBB6_4372
.LBB6_4371:                             ;   in Loop: Header=BB6_3661 Depth=2
	v_and_b32_e32 v2, 3, v74
	v_lshrrev_b16 v30, 2, v74
	v_lshlrev_b32_e32 v42, 24, v74
	v_ffbh_u32_e32 v3, v2
	v_and_b32_e32 v30, 31, v30
	v_min_u32_e32 v3, 32, v3
	v_cmp_eq_u32_e32 vcc_lo, 0, v30
	v_subrev_nc_u32_e32 v40, 29, v3
	v_sub_nc_u32_e32 v3, 30, v3
	v_lshlrev_b32_e32 v40, v40, v74
	v_cndmask_b32_e32 v3, v30, v3, vcc_lo
	v_and_b32_e32 v30, 0x80000000, v42
	v_and_b32_e32 v40, 3, v40
	v_lshl_add_u32 v3, v3, 23, 0x37800000
	v_cndmask_b32_e32 v2, v2, v40, vcc_lo
	v_lshlrev_b32_e32 v2, 21, v2
	v_or3_b32 v2, v30, v3, v2
.LBB6_4372:                             ;   in Loop: Header=BB6_3661 Depth=2
	s_or_b32 exec_lo, exec_lo, s40
	v_max_f32_e32 v2, v2, v2
	v_max_f32_e32 v3, v119, v119
	v_min_f32_e32 v119, v3, v2
.LBB6_4373:                             ;   in Loop: Header=BB6_3661 Depth=2
	v_and_b32_e32 v2, 0x7f800000, v119
	s_waitcnt vmcnt(12) lgkmcnt(12)
	v_mov_b32_e32 v74, 0x80
	s_mov_b32 s40, exec_lo
	v_cmpx_ne_u32_e32 0x7f800000, v2
	s_cbranch_execz .LBB6_4381
; %bb.4374:                             ;   in Loop: Header=BB6_3661 Depth=2
	v_mov_b32_e32 v74, 0
	s_mov_b32 s41, exec_lo
	v_cmpx_ne_u32_e32 0, v119
	s_cbranch_execz .LBB6_4380
; %bb.4375:                             ;   in Loop: Header=BB6_3661 Depth=2
	v_bfe_u32 v2, v119, 23, 8
	v_and_b32_e32 v3, 0x7fffff, v119
	v_sub_nc_u32_e32 v30, 0x70, v2
	v_cmp_gt_u32_e32 vcc_lo, 0x71, v2
	v_or_b32_e32 v40, 0x800000, v3
	v_cndmask_b32_e32 v30, 0, v30, vcc_lo
	v_cmp_eq_u32_e32 vcc_lo, 0, v2
	v_add_nc_u32_e32 v2, 0xffffff91, v2
	v_cndmask_b32_e64 v30, v30, 0x6f, vcc_lo
	v_cndmask_b32_e32 v3, v40, v3, vcc_lo
	v_cndmask_b32_e64 v2, v2, 0xffffff92, vcc_lo
	v_lshl_add_u32 v40, 0x200000, v30, -1
	v_lshrrev_b32_e32 v42, v30, v3
	v_lshlrev_b32_e64 v75, v30, 0x100000
	v_add_nc_u32_e32 v30, v30, v2
	v_and_b32_e32 v3, v40, v3
	v_bfe_u32 v74, v42, 21, 1
	v_cmp_eq_u32_e64 s13, v3, v75
	v_add_nc_u32_e32 v40, -1, v74
	v_cndmask_b32_e64 v3, 0, v40, s13
	v_lshrrev_b32_e32 v40, 23, v42
	s_mov_b32 s13, exec_lo
	v_add_nc_u32_e32 v3, v3, v42
	v_xor_b32_e32 v40, 1, v40
	v_and_b32_e32 v2, 0x1fffff, v3
	v_add_nc_u32_e32 v3, v2, v42
                                        ; implicit-def: $vgpr2
	v_cmpx_ne_u32_e64 v30, v40
	s_xor_b32 s13, exec_lo, s13
; %bb.4376:                             ;   in Loop: Header=BB6_3661 Depth=2
	v_cmp_lt_u32_e32 vcc_lo, 0xffffff, v3
	v_sub_nc_u32_e32 v2, v30, v40
	v_cndmask_b32_e64 v30, 0, 1, vcc_lo
	v_add_co_ci_u32_e64 v2, null, 0, v2, vcc_lo
	v_lshrrev_b32_e32 v3, v30, v3
; %bb.4377:                             ;   in Loop: Header=BB6_3661 Depth=2
	s_andn2_saveexec_b32 s13, s13
; %bb.4378:                             ;   in Loop: Header=BB6_3661 Depth=2
	v_bfe_u32 v2, v3, 23, 1
; %bb.4379:                             ;   in Loop: Header=BB6_3661 Depth=2
	s_or_b32 exec_lo, exec_lo, s13
	v_lshrrev_b32_e32 v3, 21, v3
	v_cmp_gt_i32_e32 vcc_lo, 32, v2
	v_min_i32_e32 v30, 31, v2
	v_and_b32_sdwa v119, v119, v58 dst_sel:DWORD dst_unused:UNUSED_PAD src0_sel:BYTE_3 src1_sel:DWORD
	v_cndmask_b32_e32 v3, 3, v3, vcc_lo
	v_lshlrev_b32_e32 v30, 2, v30
	v_and_b32_e32 v40, 3, v3
	v_or_b32_e32 v2, v2, v3
	v_or3_b32 v3, v30, v119, v40
	v_cmp_ne_u32_e32 vcc_lo, 0, v2
	v_cndmask_b32_e32 v74, 0, v3, vcc_lo
.LBB6_4380:                             ;   in Loop: Header=BB6_3661 Depth=2
	s_or_b32 exec_lo, exec_lo, s41
.LBB6_4381:                             ;   in Loop: Header=BB6_3661 Depth=2
	s_or_b32 exec_lo, exec_lo, s40
	v_cmp_gt_i16_sdwa s40, v72, v57 src0_sel:BYTE_0 src1_sel:DWORD
	s_andn2_b32 vcc_lo, exec_lo, s28
	s_mov_b32 s13, -1
                                        ; implicit-def: $vgpr119
	s_cbranch_vccnz .LBB6_4395
; %bb.4382:                             ;   in Loop: Header=BB6_3661 Depth=2
	s_mov_b32 s13, 0
	s_and_saveexec_b32 s41, s40
	s_xor_b32 s40, exec_lo, s41
	s_cbranch_execz .LBB6_4971
; %bb.4383:                             ;   in Loop: Header=BB6_3661 Depth=2
	v_cmp_eq_u16_sdwa s42, v72, v58 src0_sel:BYTE_0 src1_sel:DWORD
	s_mov_b32 s13, -1
	s_and_saveexec_b32 s41, s42
; %bb.4384:                             ;   in Loop: Header=BB6_3661 Depth=2
	s_xor_b32 s13, exec_lo, -1
; %bb.4385:                             ;   in Loop: Header=BB6_3661 Depth=2
	s_or_b32 exec_lo, exec_lo, s41
	s_and_b32 s13, s13, exec_lo
	s_or_saveexec_b32 s40, s40
	v_mov_b32_e32 v119, 0x7f800001
	s_xor_b32 exec_lo, exec_lo, s40
	s_cbranch_execnz .LBB6_4972
.LBB6_4386:                             ;   in Loop: Header=BB6_3661 Depth=2
	s_or_b32 exec_lo, exec_lo, s40
	s_and_saveexec_b32 s40, s13
	s_cbranch_execz .LBB6_4388
.LBB6_4387:                             ;   in Loop: Header=BB6_3661 Depth=2
	v_and_b32_e32 v2, 3, v72
	v_lshrrev_b16 v30, 2, v72
	v_lshlrev_b32_e32 v40, 24, v72
	v_ffbh_u32_e32 v3, v2
	v_and_b32_e32 v30, 31, v30
	v_min_u32_e32 v3, 32, v3
	v_cmp_eq_u32_e32 vcc_lo, 0, v30
	v_subrev_nc_u32_e32 v119, 29, v3
	v_sub_nc_u32_e32 v3, 30, v3
	v_lshlrev_b32_e32 v119, v119, v72
	v_cndmask_b32_e32 v3, v30, v3, vcc_lo
	v_and_b32_e32 v30, 0x80000000, v40
	v_and_b32_e32 v119, 3, v119
	v_lshl_add_u32 v3, v3, 23, 0x37800000
	v_cndmask_b32_e32 v2, v2, v119, vcc_lo
	v_lshlrev_b32_e32 v2, 21, v2
	v_or3_b32 v119, v30, v3, v2
.LBB6_4388:                             ;   in Loop: Header=BB6_3661 Depth=2
	s_or_b32 exec_lo, exec_lo, s40
	s_waitcnt vmcnt(11) lgkmcnt(11)
	v_cmp_gt_i16_sdwa s40, v63, v57 src0_sel:BYTE_0 src1_sel:DWORD
	s_mov_b32 s13, 0
	s_and_saveexec_b32 s41, s40
	s_xor_b32 s40, exec_lo, s41
	s_cbranch_execz .LBB6_4973
; %bb.4389:                             ;   in Loop: Header=BB6_3661 Depth=2
	v_cmp_eq_u16_sdwa s42, v63, v58 src0_sel:BYTE_0 src1_sel:DWORD
	s_mov_b32 s13, -1
	s_and_saveexec_b32 s41, s42
; %bb.4390:                             ;   in Loop: Header=BB6_3661 Depth=2
	s_xor_b32 s13, exec_lo, -1
; %bb.4391:                             ;   in Loop: Header=BB6_3661 Depth=2
	s_or_b32 exec_lo, exec_lo, s41
	s_and_b32 s13, s13, exec_lo
	s_or_saveexec_b32 s40, s40
	v_mov_b32_e32 v2, 0x7f800001
	s_xor_b32 exec_lo, exec_lo, s40
	s_cbranch_execnz .LBB6_4974
.LBB6_4392:                             ;   in Loop: Header=BB6_3661 Depth=2
	s_or_b32 exec_lo, exec_lo, s40
	s_and_saveexec_b32 s40, s13
	s_cbranch_execz .LBB6_4394
.LBB6_4393:                             ;   in Loop: Header=BB6_3661 Depth=2
	v_and_b32_e32 v2, 3, v63
	v_lshrrev_b16 v30, 2, v63
	v_lshlrev_b32_e32 v42, 24, v63
	v_ffbh_u32_e32 v3, v2
	v_and_b32_e32 v30, 31, v30
	v_min_u32_e32 v3, 32, v3
	v_cmp_eq_u32_e32 vcc_lo, 0, v30
	v_subrev_nc_u32_e32 v40, 29, v3
	v_sub_nc_u32_e32 v3, 30, v3
	v_lshlrev_b32_e32 v40, v40, v63
	v_cndmask_b32_e32 v3, v30, v3, vcc_lo
	v_and_b32_e32 v30, 0x80000000, v42
	v_and_b32_e32 v40, 3, v40
	v_lshl_add_u32 v3, v3, 23, 0x37800000
	v_cndmask_b32_e32 v2, v2, v40, vcc_lo
	v_lshlrev_b32_e32 v2, 21, v2
	v_or3_b32 v2, v30, v3, v2
.LBB6_4394:                             ;   in Loop: Header=BB6_3661 Depth=2
	s_or_b32 exec_lo, exec_lo, s40
	v_max_f32_e32 v2, v2, v2
	v_max_f32_e32 v3, v119, v119
	s_mov_b32 s13, 0
	v_max_f32_e32 v119, v3, v2
.LBB6_4395:                             ;   in Loop: Header=BB6_3661 Depth=2
	s_and_b32 vcc_lo, exec_lo, s13
	s_cbranch_vccz .LBB6_4409
; %bb.4396:                             ;   in Loop: Header=BB6_3661 Depth=2
	v_cmp_gt_i16_sdwa s40, v72, v57 src0_sel:BYTE_0 src1_sel:DWORD
	s_mov_b32 s13, 0
	s_and_saveexec_b32 s41, s40
	s_xor_b32 s40, exec_lo, s41
	s_cbranch_execz .LBB6_4975
; %bb.4397:                             ;   in Loop: Header=BB6_3661 Depth=2
	v_cmp_eq_u16_sdwa s42, v72, v58 src0_sel:BYTE_0 src1_sel:DWORD
	s_mov_b32 s13, -1
	s_and_saveexec_b32 s41, s42
; %bb.4398:                             ;   in Loop: Header=BB6_3661 Depth=2
	s_xor_b32 s13, exec_lo, -1
; %bb.4399:                             ;   in Loop: Header=BB6_3661 Depth=2
	s_or_b32 exec_lo, exec_lo, s41
	s_and_b32 s13, s13, exec_lo
	s_or_saveexec_b32 s40, s40
	v_mov_b32_e32 v119, 0x7f800001
	s_xor_b32 exec_lo, exec_lo, s40
	s_cbranch_execnz .LBB6_4976
.LBB6_4400:                             ;   in Loop: Header=BB6_3661 Depth=2
	s_or_b32 exec_lo, exec_lo, s40
	s_and_saveexec_b32 s40, s13
	s_cbranch_execz .LBB6_4402
.LBB6_4401:                             ;   in Loop: Header=BB6_3661 Depth=2
	v_and_b32_e32 v2, 3, v72
	v_lshrrev_b16 v30, 2, v72
	v_lshlrev_b32_e32 v40, 24, v72
	v_ffbh_u32_e32 v3, v2
	v_and_b32_e32 v30, 31, v30
	v_min_u32_e32 v3, 32, v3
	v_cmp_eq_u32_e32 vcc_lo, 0, v30
	v_subrev_nc_u32_e32 v119, 29, v3
	v_sub_nc_u32_e32 v3, 30, v3
	v_lshlrev_b32_e32 v119, v119, v72
	v_cndmask_b32_e32 v3, v30, v3, vcc_lo
	v_and_b32_e32 v30, 0x80000000, v40
	v_and_b32_e32 v119, 3, v119
	v_lshl_add_u32 v3, v3, 23, 0x37800000
	v_cndmask_b32_e32 v2, v2, v119, vcc_lo
	v_lshlrev_b32_e32 v2, 21, v2
	v_or3_b32 v119, v30, v3, v2
.LBB6_4402:                             ;   in Loop: Header=BB6_3661 Depth=2
	s_or_b32 exec_lo, exec_lo, s40
	s_waitcnt vmcnt(11) lgkmcnt(11)
	v_cmp_gt_i16_sdwa s40, v63, v57 src0_sel:BYTE_0 src1_sel:DWORD
	s_mov_b32 s13, 0
	s_and_saveexec_b32 s41, s40
	s_xor_b32 s40, exec_lo, s41
	s_cbranch_execz .LBB6_4977
; %bb.4403:                             ;   in Loop: Header=BB6_3661 Depth=2
	v_cmp_eq_u16_sdwa s42, v63, v58 src0_sel:BYTE_0 src1_sel:DWORD
	s_mov_b32 s13, -1
	s_and_saveexec_b32 s41, s42
; %bb.4404:                             ;   in Loop: Header=BB6_3661 Depth=2
	s_xor_b32 s13, exec_lo, -1
; %bb.4405:                             ;   in Loop: Header=BB6_3661 Depth=2
	s_or_b32 exec_lo, exec_lo, s41
	s_and_b32 s13, s13, exec_lo
	s_or_saveexec_b32 s40, s40
	v_mov_b32_e32 v2, 0x7f800001
	s_xor_b32 exec_lo, exec_lo, s40
	s_cbranch_execnz .LBB6_4978
.LBB6_4406:                             ;   in Loop: Header=BB6_3661 Depth=2
	s_or_b32 exec_lo, exec_lo, s40
	s_and_saveexec_b32 s40, s13
	s_cbranch_execz .LBB6_4408
.LBB6_4407:                             ;   in Loop: Header=BB6_3661 Depth=2
	v_and_b32_e32 v2, 3, v63
	v_lshrrev_b16 v30, 2, v63
	v_lshlrev_b32_e32 v42, 24, v63
	v_ffbh_u32_e32 v3, v2
	v_and_b32_e32 v30, 31, v30
	v_min_u32_e32 v3, 32, v3
	v_cmp_eq_u32_e32 vcc_lo, 0, v30
	v_subrev_nc_u32_e32 v40, 29, v3
	v_sub_nc_u32_e32 v3, 30, v3
	v_lshlrev_b32_e32 v40, v40, v63
	v_cndmask_b32_e32 v3, v30, v3, vcc_lo
	v_and_b32_e32 v30, 0x80000000, v42
	v_and_b32_e32 v40, 3, v40
	v_lshl_add_u32 v3, v3, 23, 0x37800000
	v_cndmask_b32_e32 v2, v2, v40, vcc_lo
	v_lshlrev_b32_e32 v2, 21, v2
	v_or3_b32 v2, v30, v3, v2
.LBB6_4408:                             ;   in Loop: Header=BB6_3661 Depth=2
	s_or_b32 exec_lo, exec_lo, s40
	v_max_f32_e32 v2, v2, v2
	v_max_f32_e32 v3, v119, v119
	v_min_f32_e32 v119, v3, v2
.LBB6_4409:                             ;   in Loop: Header=BB6_3661 Depth=2
	v_and_b32_e32 v2, 0x7f800000, v119
	s_waitcnt vmcnt(11) lgkmcnt(11)
	v_mov_b32_e32 v63, 0x80
	s_mov_b32 s40, exec_lo
	v_cmpx_ne_u32_e32 0x7f800000, v2
	s_cbranch_execz .LBB6_4417
; %bb.4410:                             ;   in Loop: Header=BB6_3661 Depth=2
	v_mov_b32_e32 v63, 0
	s_mov_b32 s41, exec_lo
	v_cmpx_ne_u32_e32 0, v119
	s_cbranch_execz .LBB6_4416
; %bb.4411:                             ;   in Loop: Header=BB6_3661 Depth=2
	v_bfe_u32 v2, v119, 23, 8
	v_and_b32_e32 v3, 0x7fffff, v119
	v_sub_nc_u32_e32 v30, 0x70, v2
	v_cmp_gt_u32_e32 vcc_lo, 0x71, v2
	v_or_b32_e32 v40, 0x800000, v3
	v_cndmask_b32_e32 v30, 0, v30, vcc_lo
	v_cmp_eq_u32_e32 vcc_lo, 0, v2
	v_add_nc_u32_e32 v2, 0xffffff91, v2
	v_cndmask_b32_e64 v30, v30, 0x6f, vcc_lo
	v_cndmask_b32_e32 v3, v40, v3, vcc_lo
	v_cndmask_b32_e64 v2, v2, 0xffffff92, vcc_lo
	v_lshl_add_u32 v40, 0x200000, v30, -1
	v_lshrrev_b32_e32 v42, v30, v3
	v_lshlrev_b32_e64 v72, v30, 0x100000
	v_add_nc_u32_e32 v30, v30, v2
	v_and_b32_e32 v3, v40, v3
	v_bfe_u32 v63, v42, 21, 1
	v_cmp_eq_u32_e64 s13, v3, v72
	v_add_nc_u32_e32 v40, -1, v63
	v_cndmask_b32_e64 v3, 0, v40, s13
	v_lshrrev_b32_e32 v40, 23, v42
	s_mov_b32 s13, exec_lo
	v_add_nc_u32_e32 v3, v3, v42
	v_xor_b32_e32 v40, 1, v40
	v_and_b32_e32 v2, 0x1fffff, v3
	v_add_nc_u32_e32 v3, v2, v42
                                        ; implicit-def: $vgpr2
	v_cmpx_ne_u32_e64 v30, v40
	s_xor_b32 s13, exec_lo, s13
; %bb.4412:                             ;   in Loop: Header=BB6_3661 Depth=2
	v_cmp_lt_u32_e32 vcc_lo, 0xffffff, v3
	v_sub_nc_u32_e32 v2, v30, v40
	v_cndmask_b32_e64 v30, 0, 1, vcc_lo
	v_add_co_ci_u32_e64 v2, null, 0, v2, vcc_lo
	v_lshrrev_b32_e32 v3, v30, v3
; %bb.4413:                             ;   in Loop: Header=BB6_3661 Depth=2
	s_andn2_saveexec_b32 s13, s13
; %bb.4414:                             ;   in Loop: Header=BB6_3661 Depth=2
	v_bfe_u32 v2, v3, 23, 1
; %bb.4415:                             ;   in Loop: Header=BB6_3661 Depth=2
	s_or_b32 exec_lo, exec_lo, s13
	v_lshrrev_b32_e32 v3, 21, v3
	v_cmp_gt_i32_e32 vcc_lo, 32, v2
	v_min_i32_e32 v30, 31, v2
	v_and_b32_sdwa v119, v119, v58 dst_sel:DWORD dst_unused:UNUSED_PAD src0_sel:BYTE_3 src1_sel:DWORD
	v_cndmask_b32_e32 v3, 3, v3, vcc_lo
	v_lshlrev_b32_e32 v30, 2, v30
	v_and_b32_e32 v40, 3, v3
	v_or_b32_e32 v2, v2, v3
	v_or3_b32 v3, v30, v119, v40
	v_cmp_ne_u32_e32 vcc_lo, 0, v2
	v_cndmask_b32_e32 v63, 0, v3, vcc_lo
.LBB6_4416:                             ;   in Loop: Header=BB6_3661 Depth=2
	s_or_b32 exec_lo, exec_lo, s41
.LBB6_4417:                             ;   in Loop: Header=BB6_3661 Depth=2
	s_or_b32 exec_lo, exec_lo, s40
	v_cmp_gt_i16_sdwa s40, v115, v57 src0_sel:BYTE_0 src1_sel:DWORD
	s_andn2_b32 vcc_lo, exec_lo, s28
	s_mov_b32 s13, -1
                                        ; implicit-def: $vgpr119
	s_cbranch_vccnz .LBB6_4431
; %bb.4418:                             ;   in Loop: Header=BB6_3661 Depth=2
	s_mov_b32 s13, 0
	s_and_saveexec_b32 s41, s40
	s_xor_b32 s40, exec_lo, s41
	s_cbranch_execz .LBB6_4979
; %bb.4419:                             ;   in Loop: Header=BB6_3661 Depth=2
	v_cmp_eq_u16_sdwa s42, v115, v58 src0_sel:BYTE_0 src1_sel:DWORD
	s_mov_b32 s13, -1
	s_and_saveexec_b32 s41, s42
; %bb.4420:                             ;   in Loop: Header=BB6_3661 Depth=2
	s_xor_b32 s13, exec_lo, -1
; %bb.4421:                             ;   in Loop: Header=BB6_3661 Depth=2
	s_or_b32 exec_lo, exec_lo, s41
	s_and_b32 s13, s13, exec_lo
	s_or_saveexec_b32 s40, s40
	v_mov_b32_e32 v119, 0x7f800001
	s_xor_b32 exec_lo, exec_lo, s40
	s_cbranch_execnz .LBB6_4980
.LBB6_4422:                             ;   in Loop: Header=BB6_3661 Depth=2
	s_or_b32 exec_lo, exec_lo, s40
	s_and_saveexec_b32 s40, s13
	s_cbranch_execz .LBB6_4424
.LBB6_4423:                             ;   in Loop: Header=BB6_3661 Depth=2
	v_and_b32_e32 v2, 3, v115
	v_lshrrev_b16 v30, 2, v115
	v_lshlrev_b32_e32 v40, 24, v115
	v_ffbh_u32_e32 v3, v2
	v_and_b32_e32 v30, 31, v30
	v_min_u32_e32 v3, 32, v3
	v_cmp_eq_u32_e32 vcc_lo, 0, v30
	v_subrev_nc_u32_e32 v119, 29, v3
	v_sub_nc_u32_e32 v3, 30, v3
	v_lshlrev_b32_e32 v119, v119, v115
	v_cndmask_b32_e32 v3, v30, v3, vcc_lo
	v_and_b32_e32 v30, 0x80000000, v40
	v_and_b32_e32 v119, 3, v119
	v_lshl_add_u32 v3, v3, 23, 0x37800000
	v_cndmask_b32_e32 v2, v2, v119, vcc_lo
	v_lshlrev_b32_e32 v2, 21, v2
	v_or3_b32 v119, v30, v3, v2
.LBB6_4424:                             ;   in Loop: Header=BB6_3661 Depth=2
	s_or_b32 exec_lo, exec_lo, s40
	s_waitcnt vmcnt(10) lgkmcnt(10)
	v_cmp_gt_i16_sdwa s40, v114, v57 src0_sel:BYTE_0 src1_sel:DWORD
	s_mov_b32 s13, 0
	s_and_saveexec_b32 s41, s40
	s_xor_b32 s40, exec_lo, s41
	s_cbranch_execz .LBB6_4981
; %bb.4425:                             ;   in Loop: Header=BB6_3661 Depth=2
	v_cmp_eq_u16_sdwa s42, v114, v58 src0_sel:BYTE_0 src1_sel:DWORD
	s_mov_b32 s13, -1
	s_and_saveexec_b32 s41, s42
; %bb.4426:                             ;   in Loop: Header=BB6_3661 Depth=2
	s_xor_b32 s13, exec_lo, -1
; %bb.4427:                             ;   in Loop: Header=BB6_3661 Depth=2
	s_or_b32 exec_lo, exec_lo, s41
	s_and_b32 s13, s13, exec_lo
	s_or_saveexec_b32 s40, s40
	v_mov_b32_e32 v2, 0x7f800001
	s_xor_b32 exec_lo, exec_lo, s40
	s_cbranch_execnz .LBB6_4982
.LBB6_4428:                             ;   in Loop: Header=BB6_3661 Depth=2
	s_or_b32 exec_lo, exec_lo, s40
	s_and_saveexec_b32 s40, s13
	s_cbranch_execz .LBB6_4430
.LBB6_4429:                             ;   in Loop: Header=BB6_3661 Depth=2
	v_and_b32_e32 v2, 3, v114
	v_lshrrev_b16 v30, 2, v114
	v_lshlrev_b32_e32 v42, 24, v114
	v_ffbh_u32_e32 v3, v2
	v_and_b32_e32 v30, 31, v30
	v_min_u32_e32 v3, 32, v3
	v_cmp_eq_u32_e32 vcc_lo, 0, v30
	v_subrev_nc_u32_e32 v40, 29, v3
	v_sub_nc_u32_e32 v3, 30, v3
	v_lshlrev_b32_e32 v40, v40, v114
	v_cndmask_b32_e32 v3, v30, v3, vcc_lo
	v_and_b32_e32 v30, 0x80000000, v42
	v_and_b32_e32 v40, 3, v40
	v_lshl_add_u32 v3, v3, 23, 0x37800000
	v_cndmask_b32_e32 v2, v2, v40, vcc_lo
	v_lshlrev_b32_e32 v2, 21, v2
	v_or3_b32 v2, v30, v3, v2
.LBB6_4430:                             ;   in Loop: Header=BB6_3661 Depth=2
	s_or_b32 exec_lo, exec_lo, s40
	v_max_f32_e32 v2, v2, v2
	v_max_f32_e32 v3, v119, v119
	s_mov_b32 s13, 0
	v_max_f32_e32 v119, v3, v2
.LBB6_4431:                             ;   in Loop: Header=BB6_3661 Depth=2
	s_and_b32 vcc_lo, exec_lo, s13
	s_cbranch_vccz .LBB6_4445
; %bb.4432:                             ;   in Loop: Header=BB6_3661 Depth=2
	v_cmp_gt_i16_sdwa s40, v115, v57 src0_sel:BYTE_0 src1_sel:DWORD
	s_mov_b32 s13, 0
	s_and_saveexec_b32 s41, s40
	s_xor_b32 s40, exec_lo, s41
	s_cbranch_execz .LBB6_4983
; %bb.4433:                             ;   in Loop: Header=BB6_3661 Depth=2
	v_cmp_eq_u16_sdwa s42, v115, v58 src0_sel:BYTE_0 src1_sel:DWORD
	s_mov_b32 s13, -1
	s_and_saveexec_b32 s41, s42
; %bb.4434:                             ;   in Loop: Header=BB6_3661 Depth=2
	s_xor_b32 s13, exec_lo, -1
; %bb.4435:                             ;   in Loop: Header=BB6_3661 Depth=2
	s_or_b32 exec_lo, exec_lo, s41
	s_and_b32 s13, s13, exec_lo
	s_or_saveexec_b32 s40, s40
	v_mov_b32_e32 v119, 0x7f800001
	s_xor_b32 exec_lo, exec_lo, s40
	s_cbranch_execnz .LBB6_4984
.LBB6_4436:                             ;   in Loop: Header=BB6_3661 Depth=2
	s_or_b32 exec_lo, exec_lo, s40
	s_and_saveexec_b32 s40, s13
	s_cbranch_execz .LBB6_4438
.LBB6_4437:                             ;   in Loop: Header=BB6_3661 Depth=2
	v_and_b32_e32 v2, 3, v115
	v_lshrrev_b16 v30, 2, v115
	v_ffbh_u32_e32 v3, v2
	v_and_b32_e32 v30, 31, v30
	v_min_u32_e32 v3, 32, v3
	v_cmp_eq_u32_e32 vcc_lo, 0, v30
	v_subrev_nc_u32_e32 v119, 29, v3
	v_sub_nc_u32_e32 v3, 30, v3
	v_lshlrev_b32_e32 v119, v119, v115
	v_lshlrev_b32_e32 v115, 24, v115
	v_cndmask_b32_e32 v3, v30, v3, vcc_lo
	v_and_b32_e32 v119, 3, v119
	v_and_b32_e32 v30, 0x80000000, v115
	v_lshl_add_u32 v3, v3, 23, 0x37800000
	v_cndmask_b32_e32 v2, v2, v119, vcc_lo
	v_lshlrev_b32_e32 v2, 21, v2
	v_or3_b32 v119, v30, v3, v2
.LBB6_4438:                             ;   in Loop: Header=BB6_3661 Depth=2
	s_or_b32 exec_lo, exec_lo, s40
	s_waitcnt vmcnt(10) lgkmcnt(10)
	v_cmp_gt_i16_sdwa s40, v114, v57 src0_sel:BYTE_0 src1_sel:DWORD
	s_mov_b32 s13, 0
	s_and_saveexec_b32 s41, s40
	s_xor_b32 s40, exec_lo, s41
	s_cbranch_execz .LBB6_4985
; %bb.4439:                             ;   in Loop: Header=BB6_3661 Depth=2
	v_cmp_eq_u16_sdwa s42, v114, v58 src0_sel:BYTE_0 src1_sel:DWORD
	s_mov_b32 s13, -1
	s_and_saveexec_b32 s41, s42
; %bb.4440:                             ;   in Loop: Header=BB6_3661 Depth=2
	s_xor_b32 s13, exec_lo, -1
; %bb.4441:                             ;   in Loop: Header=BB6_3661 Depth=2
	s_or_b32 exec_lo, exec_lo, s41
	s_and_b32 s13, s13, exec_lo
	s_or_saveexec_b32 s40, s40
	v_mov_b32_e32 v2, 0x7f800001
	s_xor_b32 exec_lo, exec_lo, s40
	s_cbranch_execnz .LBB6_4986
.LBB6_4442:                             ;   in Loop: Header=BB6_3661 Depth=2
	s_or_b32 exec_lo, exec_lo, s40
	s_and_saveexec_b32 s40, s13
	s_cbranch_execz .LBB6_4444
.LBB6_4443:                             ;   in Loop: Header=BB6_3661 Depth=2
	v_and_b32_e32 v2, 3, v114
	v_lshrrev_b16 v30, 2, v114
	v_ffbh_u32_e32 v3, v2
	v_and_b32_e32 v30, 31, v30
	v_min_u32_e32 v3, 32, v3
	v_cmp_eq_u32_e32 vcc_lo, 0, v30
	v_subrev_nc_u32_e32 v115, 29, v3
	v_sub_nc_u32_e32 v3, 30, v3
	v_lshlrev_b32_e32 v115, v115, v114
	v_lshlrev_b32_e32 v114, 24, v114
	v_cndmask_b32_e32 v3, v30, v3, vcc_lo
	v_and_b32_e32 v115, 3, v115
	v_and_b32_e32 v30, 0x80000000, v114
	v_lshl_add_u32 v3, v3, 23, 0x37800000
	v_cndmask_b32_e32 v2, v2, v115, vcc_lo
	v_lshlrev_b32_e32 v2, 21, v2
	v_or3_b32 v2, v30, v3, v2
.LBB6_4444:                             ;   in Loop: Header=BB6_3661 Depth=2
	s_or_b32 exec_lo, exec_lo, s40
	v_max_f32_e32 v2, v2, v2
	v_max_f32_e32 v3, v119, v119
	v_min_f32_e32 v119, v3, v2
.LBB6_4445:                             ;   in Loop: Header=BB6_3661 Depth=2
	v_and_b32_e32 v2, 0x7f800000, v119
	s_waitcnt vmcnt(10) lgkmcnt(10)
	v_mov_b32_e32 v114, 0x80
	s_mov_b32 s40, exec_lo
	v_cmpx_ne_u32_e32 0x7f800000, v2
	s_cbranch_execz .LBB6_4453
; %bb.4446:                             ;   in Loop: Header=BB6_3661 Depth=2
	v_mov_b32_e32 v114, 0
	s_mov_b32 s41, exec_lo
	v_cmpx_ne_u32_e32 0, v119
	s_cbranch_execz .LBB6_4452
; %bb.4447:                             ;   in Loop: Header=BB6_3661 Depth=2
	v_bfe_u32 v2, v119, 23, 8
	v_and_b32_e32 v3, 0x7fffff, v119
	v_sub_nc_u32_e32 v30, 0x70, v2
	v_cmp_gt_u32_e32 vcc_lo, 0x71, v2
	v_or_b32_e32 v114, 0x800000, v3
	v_cndmask_b32_e32 v30, 0, v30, vcc_lo
	v_cmp_eq_u32_e32 vcc_lo, 0, v2
	v_add_nc_u32_e32 v2, 0xffffff91, v2
	v_cndmask_b32_e64 v30, v30, 0x6f, vcc_lo
	v_cndmask_b32_e32 v3, v114, v3, vcc_lo
	v_cndmask_b32_e64 v2, v2, 0xffffff92, vcc_lo
	v_lshl_add_u32 v114, 0x200000, v30, -1
	v_lshrrev_b32_e32 v115, v30, v3
	v_lshlrev_b32_e64 v42, v30, 0x100000
	v_add_nc_u32_e32 v30, v30, v2
	v_and_b32_e32 v3, v114, v3
	v_bfe_u32 v40, v115, 21, 1
	v_cmp_eq_u32_e64 s13, v3, v42
	v_add_nc_u32_e32 v114, -1, v40
	v_cndmask_b32_e64 v3, 0, v114, s13
	v_lshrrev_b32_e32 v114, 23, v115
	s_mov_b32 s13, exec_lo
	v_add_nc_u32_e32 v3, v3, v115
	v_xor_b32_e32 v114, 1, v114
	v_and_b32_e32 v2, 0x1fffff, v3
	v_add_nc_u32_e32 v3, v2, v115
                                        ; implicit-def: $vgpr2
	v_cmpx_ne_u32_e64 v30, v114
	s_xor_b32 s13, exec_lo, s13
; %bb.4448:                             ;   in Loop: Header=BB6_3661 Depth=2
	v_cmp_lt_u32_e32 vcc_lo, 0xffffff, v3
	v_sub_nc_u32_e32 v2, v30, v114
	v_cndmask_b32_e64 v30, 0, 1, vcc_lo
	v_add_co_ci_u32_e64 v2, null, 0, v2, vcc_lo
	v_lshrrev_b32_e32 v3, v30, v3
; %bb.4449:                             ;   in Loop: Header=BB6_3661 Depth=2
	s_andn2_saveexec_b32 s13, s13
; %bb.4450:                             ;   in Loop: Header=BB6_3661 Depth=2
	v_bfe_u32 v2, v3, 23, 1
; %bb.4451:                             ;   in Loop: Header=BB6_3661 Depth=2
	s_or_b32 exec_lo, exec_lo, s13
	v_lshrrev_b32_e32 v3, 21, v3
	v_cmp_gt_i32_e32 vcc_lo, 32, v2
	v_min_i32_e32 v30, 31, v2
	v_and_b32_sdwa v114, v119, v58 dst_sel:DWORD dst_unused:UNUSED_PAD src0_sel:BYTE_3 src1_sel:DWORD
	v_cndmask_b32_e32 v3, 3, v3, vcc_lo
	v_lshlrev_b32_e32 v30, 2, v30
	v_and_b32_e32 v115, 3, v3
	v_or_b32_e32 v2, v2, v3
	v_or3_b32 v3, v30, v114, v115
	v_cmp_ne_u32_e32 vcc_lo, 0, v2
	v_cndmask_b32_e32 v114, 0, v3, vcc_lo
.LBB6_4452:                             ;   in Loop: Header=BB6_3661 Depth=2
	s_or_b32 exec_lo, exec_lo, s41
.LBB6_4453:                             ;   in Loop: Header=BB6_3661 Depth=2
	s_or_b32 exec_lo, exec_lo, s40
	v_cmp_gt_i16_sdwa s40, v112, v57 src0_sel:BYTE_0 src1_sel:DWORD
	s_andn2_b32 vcc_lo, exec_lo, s28
	s_mov_b32 s13, -1
                                        ; implicit-def: $vgpr115
	s_cbranch_vccnz .LBB6_4467
; %bb.4454:                             ;   in Loop: Header=BB6_3661 Depth=2
	s_mov_b32 s13, 0
	s_and_saveexec_b32 s41, s40
	s_xor_b32 s40, exec_lo, s41
	s_cbranch_execz .LBB6_4987
; %bb.4455:                             ;   in Loop: Header=BB6_3661 Depth=2
	v_cmp_eq_u16_sdwa s42, v112, v58 src0_sel:BYTE_0 src1_sel:DWORD
	s_mov_b32 s13, -1
	s_and_saveexec_b32 s41, s42
; %bb.4456:                             ;   in Loop: Header=BB6_3661 Depth=2
	s_xor_b32 s13, exec_lo, -1
; %bb.4457:                             ;   in Loop: Header=BB6_3661 Depth=2
	s_or_b32 exec_lo, exec_lo, s41
	s_and_b32 s13, s13, exec_lo
	s_or_saveexec_b32 s40, s40
	v_mov_b32_e32 v115, 0x7f800001
	s_xor_b32 exec_lo, exec_lo, s40
	s_cbranch_execnz .LBB6_4988
.LBB6_4458:                             ;   in Loop: Header=BB6_3661 Depth=2
	s_or_b32 exec_lo, exec_lo, s40
	s_and_saveexec_b32 s40, s13
	s_cbranch_execz .LBB6_4460
.LBB6_4459:                             ;   in Loop: Header=BB6_3661 Depth=2
	v_and_b32_e32 v2, 3, v112
	v_lshrrev_b16 v30, 2, v112
	v_lshlrev_b32_e32 v119, 24, v112
	v_ffbh_u32_e32 v3, v2
	v_and_b32_e32 v30, 31, v30
	v_min_u32_e32 v3, 32, v3
	v_cmp_eq_u32_e32 vcc_lo, 0, v30
	v_subrev_nc_u32_e32 v115, 29, v3
	v_sub_nc_u32_e32 v3, 30, v3
	v_lshlrev_b32_e32 v115, v115, v112
	v_cndmask_b32_e32 v3, v30, v3, vcc_lo
	v_and_b32_e32 v30, 0x80000000, v119
	v_and_b32_e32 v115, 3, v115
	v_lshl_add_u32 v3, v3, 23, 0x37800000
	v_cndmask_b32_e32 v2, v2, v115, vcc_lo
	v_lshlrev_b32_e32 v2, 21, v2
	v_or3_b32 v115, v30, v3, v2
.LBB6_4460:                             ;   in Loop: Header=BB6_3661 Depth=2
	s_or_b32 exec_lo, exec_lo, s40
	s_waitcnt vmcnt(9) lgkmcnt(9)
	v_cmp_gt_i16_sdwa s40, v103, v57 src0_sel:BYTE_0 src1_sel:DWORD
	s_mov_b32 s13, 0
	s_and_saveexec_b32 s41, s40
	s_xor_b32 s40, exec_lo, s41
	s_cbranch_execz .LBB6_4989
; %bb.4461:                             ;   in Loop: Header=BB6_3661 Depth=2
	v_cmp_eq_u16_sdwa s42, v103, v58 src0_sel:BYTE_0 src1_sel:DWORD
	s_mov_b32 s13, -1
	s_and_saveexec_b32 s41, s42
; %bb.4462:                             ;   in Loop: Header=BB6_3661 Depth=2
	s_xor_b32 s13, exec_lo, -1
; %bb.4463:                             ;   in Loop: Header=BB6_3661 Depth=2
	s_or_b32 exec_lo, exec_lo, s41
	s_and_b32 s13, s13, exec_lo
	s_or_saveexec_b32 s40, s40
	v_mov_b32_e32 v2, 0x7f800001
	s_xor_b32 exec_lo, exec_lo, s40
	s_cbranch_execnz .LBB6_4990
.LBB6_4464:                             ;   in Loop: Header=BB6_3661 Depth=2
	s_or_b32 exec_lo, exec_lo, s40
	s_and_saveexec_b32 s40, s13
	s_cbranch_execz .LBB6_4466
.LBB6_4465:                             ;   in Loop: Header=BB6_3661 Depth=2
	v_and_b32_e32 v2, 3, v103
	v_lshrrev_b16 v30, 2, v103
	v_lshlrev_b32_e32 v40, 24, v103
	v_ffbh_u32_e32 v3, v2
	v_and_b32_e32 v30, 31, v30
	v_min_u32_e32 v3, 32, v3
	v_cmp_eq_u32_e32 vcc_lo, 0, v30
	v_subrev_nc_u32_e32 v119, 29, v3
	v_sub_nc_u32_e32 v3, 30, v3
	v_lshlrev_b32_e32 v119, v119, v103
	v_cndmask_b32_e32 v3, v30, v3, vcc_lo
	v_and_b32_e32 v30, 0x80000000, v40
	v_and_b32_e32 v119, 3, v119
	v_lshl_add_u32 v3, v3, 23, 0x37800000
	v_cndmask_b32_e32 v2, v2, v119, vcc_lo
	v_lshlrev_b32_e32 v2, 21, v2
	v_or3_b32 v2, v30, v3, v2
.LBB6_4466:                             ;   in Loop: Header=BB6_3661 Depth=2
	s_or_b32 exec_lo, exec_lo, s40
	v_max_f32_e32 v2, v2, v2
	v_max_f32_e32 v3, v115, v115
	s_mov_b32 s13, 0
	v_max_f32_e32 v115, v3, v2
.LBB6_4467:                             ;   in Loop: Header=BB6_3661 Depth=2
	s_and_b32 vcc_lo, exec_lo, s13
	s_cbranch_vccz .LBB6_4481
; %bb.4468:                             ;   in Loop: Header=BB6_3661 Depth=2
	v_cmp_gt_i16_sdwa s40, v112, v57 src0_sel:BYTE_0 src1_sel:DWORD
	s_mov_b32 s13, 0
	s_and_saveexec_b32 s41, s40
	s_xor_b32 s40, exec_lo, s41
	s_cbranch_execz .LBB6_4991
; %bb.4469:                             ;   in Loop: Header=BB6_3661 Depth=2
	v_cmp_eq_u16_sdwa s42, v112, v58 src0_sel:BYTE_0 src1_sel:DWORD
	s_mov_b32 s13, -1
	s_and_saveexec_b32 s41, s42
; %bb.4470:                             ;   in Loop: Header=BB6_3661 Depth=2
	s_xor_b32 s13, exec_lo, -1
; %bb.4471:                             ;   in Loop: Header=BB6_3661 Depth=2
	s_or_b32 exec_lo, exec_lo, s41
	s_and_b32 s13, s13, exec_lo
	s_or_saveexec_b32 s40, s40
	v_mov_b32_e32 v115, 0x7f800001
	s_xor_b32 exec_lo, exec_lo, s40
	s_cbranch_execnz .LBB6_4992
.LBB6_4472:                             ;   in Loop: Header=BB6_3661 Depth=2
	s_or_b32 exec_lo, exec_lo, s40
	s_and_saveexec_b32 s40, s13
	s_cbranch_execz .LBB6_4474
.LBB6_4473:                             ;   in Loop: Header=BB6_3661 Depth=2
	v_and_b32_e32 v2, 3, v112
	v_lshrrev_b16 v30, 2, v112
	v_ffbh_u32_e32 v3, v2
	v_and_b32_e32 v30, 31, v30
	v_min_u32_e32 v3, 32, v3
	v_cmp_eq_u32_e32 vcc_lo, 0, v30
	v_subrev_nc_u32_e32 v115, 29, v3
	v_sub_nc_u32_e32 v3, 30, v3
	v_lshlrev_b32_e32 v115, v115, v112
	v_lshlrev_b32_e32 v112, 24, v112
	v_cndmask_b32_e32 v3, v30, v3, vcc_lo
	v_and_b32_e32 v115, 3, v115
	v_and_b32_e32 v30, 0x80000000, v112
	v_lshl_add_u32 v3, v3, 23, 0x37800000
	v_cndmask_b32_e32 v2, v2, v115, vcc_lo
	v_lshlrev_b32_e32 v2, 21, v2
	v_or3_b32 v115, v30, v3, v2
.LBB6_4474:                             ;   in Loop: Header=BB6_3661 Depth=2
	s_or_b32 exec_lo, exec_lo, s40
	s_waitcnt vmcnt(9) lgkmcnt(9)
	v_cmp_gt_i16_sdwa s40, v103, v57 src0_sel:BYTE_0 src1_sel:DWORD
	s_mov_b32 s13, 0
	s_and_saveexec_b32 s41, s40
	s_xor_b32 s40, exec_lo, s41
	s_cbranch_execz .LBB6_4993
; %bb.4475:                             ;   in Loop: Header=BB6_3661 Depth=2
	v_cmp_eq_u16_sdwa s42, v103, v58 src0_sel:BYTE_0 src1_sel:DWORD
	s_mov_b32 s13, -1
	s_and_saveexec_b32 s41, s42
; %bb.4476:                             ;   in Loop: Header=BB6_3661 Depth=2
	s_xor_b32 s13, exec_lo, -1
; %bb.4477:                             ;   in Loop: Header=BB6_3661 Depth=2
	s_or_b32 exec_lo, exec_lo, s41
	s_and_b32 s13, s13, exec_lo
	s_or_saveexec_b32 s40, s40
	v_mov_b32_e32 v2, 0x7f800001
	s_xor_b32 exec_lo, exec_lo, s40
	s_cbranch_execnz .LBB6_4994
.LBB6_4478:                             ;   in Loop: Header=BB6_3661 Depth=2
	s_or_b32 exec_lo, exec_lo, s40
	s_and_saveexec_b32 s40, s13
	s_cbranch_execz .LBB6_4480
.LBB6_4479:                             ;   in Loop: Header=BB6_3661 Depth=2
	v_and_b32_e32 v2, 3, v103
	v_lshrrev_b16 v30, 2, v103
	v_ffbh_u32_e32 v3, v2
	v_and_b32_e32 v30, 31, v30
	v_min_u32_e32 v3, 32, v3
	v_cmp_eq_u32_e32 vcc_lo, 0, v30
	v_subrev_nc_u32_e32 v112, 29, v3
	v_sub_nc_u32_e32 v3, 30, v3
	v_lshlrev_b32_e32 v112, v112, v103
	v_lshlrev_b32_e32 v103, 24, v103
	v_cndmask_b32_e32 v3, v30, v3, vcc_lo
	v_and_b32_e32 v112, 3, v112
	v_and_b32_e32 v30, 0x80000000, v103
	v_lshl_add_u32 v3, v3, 23, 0x37800000
	v_cndmask_b32_e32 v2, v2, v112, vcc_lo
	v_lshlrev_b32_e32 v2, 21, v2
	v_or3_b32 v2, v30, v3, v2
.LBB6_4480:                             ;   in Loop: Header=BB6_3661 Depth=2
	s_or_b32 exec_lo, exec_lo, s40
	v_max_f32_e32 v2, v2, v2
	v_max_f32_e32 v3, v115, v115
	v_min_f32_e32 v115, v3, v2
.LBB6_4481:                             ;   in Loop: Header=BB6_3661 Depth=2
	v_and_b32_e32 v2, 0x7f800000, v115
	s_waitcnt vmcnt(9) lgkmcnt(9)
	v_mov_b32_e32 v103, 0x80
	s_mov_b32 s40, exec_lo
	v_cmpx_ne_u32_e32 0x7f800000, v2
	s_cbranch_execz .LBB6_4489
; %bb.4482:                             ;   in Loop: Header=BB6_3661 Depth=2
	v_mov_b32_e32 v103, 0
	s_mov_b32 s41, exec_lo
	v_cmpx_ne_u32_e32 0, v115
	s_cbranch_execz .LBB6_4488
; %bb.4483:                             ;   in Loop: Header=BB6_3661 Depth=2
	v_bfe_u32 v2, v115, 23, 8
	v_and_b32_e32 v3, 0x7fffff, v115
	v_sub_nc_u32_e32 v30, 0x70, v2
	v_cmp_gt_u32_e32 vcc_lo, 0x71, v2
	v_or_b32_e32 v103, 0x800000, v3
	v_cndmask_b32_e32 v30, 0, v30, vcc_lo
	v_cmp_eq_u32_e32 vcc_lo, 0, v2
	v_add_nc_u32_e32 v2, 0xffffff91, v2
	v_cndmask_b32_e64 v30, v30, 0x6f, vcc_lo
	v_cndmask_b32_e32 v3, v103, v3, vcc_lo
	v_cndmask_b32_e64 v2, v2, 0xffffff92, vcc_lo
	v_lshl_add_u32 v103, 0x200000, v30, -1
	v_lshrrev_b32_e32 v112, v30, v3
	v_lshlrev_b32_e64 v40, v30, 0x100000
	v_add_nc_u32_e32 v30, v30, v2
	v_and_b32_e32 v3, v103, v3
	v_bfe_u32 v119, v112, 21, 1
	v_cmp_eq_u32_e64 s13, v3, v40
	v_add_nc_u32_e32 v103, -1, v119
	v_cndmask_b32_e64 v3, 0, v103, s13
	v_lshrrev_b32_e32 v103, 23, v112
	s_mov_b32 s13, exec_lo
	v_add_nc_u32_e32 v3, v3, v112
	v_xor_b32_e32 v103, 1, v103
	v_and_b32_e32 v2, 0x1fffff, v3
	v_add_nc_u32_e32 v3, v2, v112
                                        ; implicit-def: $vgpr2
	v_cmpx_ne_u32_e64 v30, v103
	s_xor_b32 s13, exec_lo, s13
; %bb.4484:                             ;   in Loop: Header=BB6_3661 Depth=2
	v_cmp_lt_u32_e32 vcc_lo, 0xffffff, v3
	v_sub_nc_u32_e32 v2, v30, v103
	v_cndmask_b32_e64 v30, 0, 1, vcc_lo
	v_add_co_ci_u32_e64 v2, null, 0, v2, vcc_lo
	v_lshrrev_b32_e32 v3, v30, v3
; %bb.4485:                             ;   in Loop: Header=BB6_3661 Depth=2
	s_andn2_saveexec_b32 s13, s13
; %bb.4486:                             ;   in Loop: Header=BB6_3661 Depth=2
	v_bfe_u32 v2, v3, 23, 1
; %bb.4487:                             ;   in Loop: Header=BB6_3661 Depth=2
	s_or_b32 exec_lo, exec_lo, s13
	v_lshrrev_b32_e32 v3, 21, v3
	v_cmp_gt_i32_e32 vcc_lo, 32, v2
	v_min_i32_e32 v30, 31, v2
	v_and_b32_sdwa v103, v115, v58 dst_sel:DWORD dst_unused:UNUSED_PAD src0_sel:BYTE_3 src1_sel:DWORD
	v_cndmask_b32_e32 v3, 3, v3, vcc_lo
	v_lshlrev_b32_e32 v30, 2, v30
	v_and_b32_e32 v112, 3, v3
	v_or_b32_e32 v2, v2, v3
	v_or3_b32 v3, v30, v103, v112
	v_cmp_ne_u32_e32 vcc_lo, 0, v2
	v_cndmask_b32_e32 v103, 0, v3, vcc_lo
.LBB6_4488:                             ;   in Loop: Header=BB6_3661 Depth=2
	s_or_b32 exec_lo, exec_lo, s41
.LBB6_4489:                             ;   in Loop: Header=BB6_3661 Depth=2
	s_or_b32 exec_lo, exec_lo, s40
	v_cmp_gt_i16_sdwa s40, v101, v57 src0_sel:BYTE_0 src1_sel:DWORD
	s_andn2_b32 vcc_lo, exec_lo, s28
	s_mov_b32 s13, -1
                                        ; implicit-def: $vgpr112
	s_cbranch_vccnz .LBB6_4503
; %bb.4490:                             ;   in Loop: Header=BB6_3661 Depth=2
	s_mov_b32 s13, 0
	s_and_saveexec_b32 s41, s40
	s_xor_b32 s40, exec_lo, s41
	s_cbranch_execz .LBB6_4995
; %bb.4491:                             ;   in Loop: Header=BB6_3661 Depth=2
	v_cmp_eq_u16_sdwa s42, v101, v58 src0_sel:BYTE_0 src1_sel:DWORD
	s_mov_b32 s13, -1
	s_and_saveexec_b32 s41, s42
; %bb.4492:                             ;   in Loop: Header=BB6_3661 Depth=2
	s_xor_b32 s13, exec_lo, -1
; %bb.4493:                             ;   in Loop: Header=BB6_3661 Depth=2
	s_or_b32 exec_lo, exec_lo, s41
	s_and_b32 s13, s13, exec_lo
	s_or_saveexec_b32 s40, s40
	v_mov_b32_e32 v112, 0x7f800001
	s_xor_b32 exec_lo, exec_lo, s40
	s_cbranch_execnz .LBB6_4996
.LBB6_4494:                             ;   in Loop: Header=BB6_3661 Depth=2
	s_or_b32 exec_lo, exec_lo, s40
	s_and_saveexec_b32 s40, s13
	s_cbranch_execz .LBB6_4496
.LBB6_4495:                             ;   in Loop: Header=BB6_3661 Depth=2
	v_and_b32_e32 v2, 3, v101
	v_lshrrev_b16 v30, 2, v101
	v_lshlrev_b32_e32 v115, 24, v101
	v_ffbh_u32_e32 v3, v2
	v_and_b32_e32 v30, 31, v30
	v_min_u32_e32 v3, 32, v3
	v_cmp_eq_u32_e32 vcc_lo, 0, v30
	v_subrev_nc_u32_e32 v112, 29, v3
	v_sub_nc_u32_e32 v3, 30, v3
	v_lshlrev_b32_e32 v112, v112, v101
	v_cndmask_b32_e32 v3, v30, v3, vcc_lo
	v_and_b32_e32 v30, 0x80000000, v115
	v_and_b32_e32 v112, 3, v112
	v_lshl_add_u32 v3, v3, 23, 0x37800000
	v_cndmask_b32_e32 v2, v2, v112, vcc_lo
	v_lshlrev_b32_e32 v2, 21, v2
	v_or3_b32 v112, v30, v3, v2
.LBB6_4496:                             ;   in Loop: Header=BB6_3661 Depth=2
	s_or_b32 exec_lo, exec_lo, s40
	s_waitcnt vmcnt(8) lgkmcnt(8)
	v_cmp_gt_i16_sdwa s40, v100, v57 src0_sel:BYTE_0 src1_sel:DWORD
	s_mov_b32 s13, 0
	s_and_saveexec_b32 s41, s40
	s_xor_b32 s40, exec_lo, s41
	s_cbranch_execz .LBB6_4997
; %bb.4497:                             ;   in Loop: Header=BB6_3661 Depth=2
	v_cmp_eq_u16_sdwa s42, v100, v58 src0_sel:BYTE_0 src1_sel:DWORD
	s_mov_b32 s13, -1
	s_and_saveexec_b32 s41, s42
; %bb.4498:                             ;   in Loop: Header=BB6_3661 Depth=2
	s_xor_b32 s13, exec_lo, -1
; %bb.4499:                             ;   in Loop: Header=BB6_3661 Depth=2
	s_or_b32 exec_lo, exec_lo, s41
	s_and_b32 s13, s13, exec_lo
	s_or_saveexec_b32 s40, s40
	v_mov_b32_e32 v2, 0x7f800001
	s_xor_b32 exec_lo, exec_lo, s40
	s_cbranch_execnz .LBB6_4998
.LBB6_4500:                             ;   in Loop: Header=BB6_3661 Depth=2
	s_or_b32 exec_lo, exec_lo, s40
	s_and_saveexec_b32 s40, s13
	s_cbranch_execz .LBB6_4502
.LBB6_4501:                             ;   in Loop: Header=BB6_3661 Depth=2
	v_and_b32_e32 v2, 3, v100
	v_lshrrev_b16 v30, 2, v100
	v_lshlrev_b32_e32 v119, 24, v100
	v_ffbh_u32_e32 v3, v2
	v_and_b32_e32 v30, 31, v30
	v_min_u32_e32 v3, 32, v3
	v_cmp_eq_u32_e32 vcc_lo, 0, v30
	v_subrev_nc_u32_e32 v115, 29, v3
	v_sub_nc_u32_e32 v3, 30, v3
	v_lshlrev_b32_e32 v115, v115, v100
	v_cndmask_b32_e32 v3, v30, v3, vcc_lo
	v_and_b32_e32 v30, 0x80000000, v119
	v_and_b32_e32 v115, 3, v115
	v_lshl_add_u32 v3, v3, 23, 0x37800000
	v_cndmask_b32_e32 v2, v2, v115, vcc_lo
	v_lshlrev_b32_e32 v2, 21, v2
	v_or3_b32 v2, v30, v3, v2
.LBB6_4502:                             ;   in Loop: Header=BB6_3661 Depth=2
	s_or_b32 exec_lo, exec_lo, s40
	v_max_f32_e32 v2, v2, v2
	v_max_f32_e32 v3, v112, v112
	s_mov_b32 s13, 0
	v_max_f32_e32 v112, v3, v2
.LBB6_4503:                             ;   in Loop: Header=BB6_3661 Depth=2
	s_and_b32 vcc_lo, exec_lo, s13
	s_cbranch_vccz .LBB6_4517
; %bb.4504:                             ;   in Loop: Header=BB6_3661 Depth=2
	v_cmp_gt_i16_sdwa s40, v101, v57 src0_sel:BYTE_0 src1_sel:DWORD
	s_mov_b32 s13, 0
	s_and_saveexec_b32 s41, s40
	s_xor_b32 s40, exec_lo, s41
	s_cbranch_execz .LBB6_4999
; %bb.4505:                             ;   in Loop: Header=BB6_3661 Depth=2
	v_cmp_eq_u16_sdwa s42, v101, v58 src0_sel:BYTE_0 src1_sel:DWORD
	s_mov_b32 s13, -1
	s_and_saveexec_b32 s41, s42
; %bb.4506:                             ;   in Loop: Header=BB6_3661 Depth=2
	s_xor_b32 s13, exec_lo, -1
; %bb.4507:                             ;   in Loop: Header=BB6_3661 Depth=2
	s_or_b32 exec_lo, exec_lo, s41
	s_and_b32 s13, s13, exec_lo
	s_or_saveexec_b32 s40, s40
	v_mov_b32_e32 v112, 0x7f800001
	s_xor_b32 exec_lo, exec_lo, s40
	s_cbranch_execnz .LBB6_5000
.LBB6_4508:                             ;   in Loop: Header=BB6_3661 Depth=2
	s_or_b32 exec_lo, exec_lo, s40
	s_and_saveexec_b32 s40, s13
	s_cbranch_execz .LBB6_4510
.LBB6_4509:                             ;   in Loop: Header=BB6_3661 Depth=2
	v_and_b32_e32 v2, 3, v101
	v_lshrrev_b16 v30, 2, v101
	v_ffbh_u32_e32 v3, v2
	v_and_b32_e32 v30, 31, v30
	v_min_u32_e32 v3, 32, v3
	v_cmp_eq_u32_e32 vcc_lo, 0, v30
	v_subrev_nc_u32_e32 v112, 29, v3
	v_sub_nc_u32_e32 v3, 30, v3
	v_lshlrev_b32_e32 v112, v112, v101
	v_lshlrev_b32_e32 v101, 24, v101
	v_cndmask_b32_e32 v3, v30, v3, vcc_lo
	v_and_b32_e32 v112, 3, v112
	v_and_b32_e32 v30, 0x80000000, v101
	v_lshl_add_u32 v3, v3, 23, 0x37800000
	v_cndmask_b32_e32 v2, v2, v112, vcc_lo
	v_lshlrev_b32_e32 v2, 21, v2
	v_or3_b32 v112, v30, v3, v2
.LBB6_4510:                             ;   in Loop: Header=BB6_3661 Depth=2
	s_or_b32 exec_lo, exec_lo, s40
	s_waitcnt vmcnt(8) lgkmcnt(8)
	v_cmp_gt_i16_sdwa s40, v100, v57 src0_sel:BYTE_0 src1_sel:DWORD
	s_mov_b32 s13, 0
	s_and_saveexec_b32 s41, s40
	s_xor_b32 s40, exec_lo, s41
	s_cbranch_execz .LBB6_5001
; %bb.4511:                             ;   in Loop: Header=BB6_3661 Depth=2
	v_cmp_eq_u16_sdwa s42, v100, v58 src0_sel:BYTE_0 src1_sel:DWORD
	s_mov_b32 s13, -1
	s_and_saveexec_b32 s41, s42
; %bb.4512:                             ;   in Loop: Header=BB6_3661 Depth=2
	s_xor_b32 s13, exec_lo, -1
; %bb.4513:                             ;   in Loop: Header=BB6_3661 Depth=2
	s_or_b32 exec_lo, exec_lo, s41
	s_and_b32 s13, s13, exec_lo
	s_or_saveexec_b32 s40, s40
	v_mov_b32_e32 v2, 0x7f800001
	s_xor_b32 exec_lo, exec_lo, s40
	s_cbranch_execnz .LBB6_5002
.LBB6_4514:                             ;   in Loop: Header=BB6_3661 Depth=2
	s_or_b32 exec_lo, exec_lo, s40
	s_and_saveexec_b32 s40, s13
	s_cbranch_execz .LBB6_4516
.LBB6_4515:                             ;   in Loop: Header=BB6_3661 Depth=2
	v_and_b32_e32 v2, 3, v100
	v_lshrrev_b16 v30, 2, v100
	v_ffbh_u32_e32 v3, v2
	v_and_b32_e32 v30, 31, v30
	v_min_u32_e32 v3, 32, v3
	v_cmp_eq_u32_e32 vcc_lo, 0, v30
	v_subrev_nc_u32_e32 v101, 29, v3
	v_sub_nc_u32_e32 v3, 30, v3
	v_lshlrev_b32_e32 v101, v101, v100
	v_lshlrev_b32_e32 v100, 24, v100
	v_cndmask_b32_e32 v3, v30, v3, vcc_lo
	v_and_b32_e32 v101, 3, v101
	v_and_b32_e32 v30, 0x80000000, v100
	v_lshl_add_u32 v3, v3, 23, 0x37800000
	v_cndmask_b32_e32 v2, v2, v101, vcc_lo
	v_lshlrev_b32_e32 v2, 21, v2
	v_or3_b32 v2, v30, v3, v2
.LBB6_4516:                             ;   in Loop: Header=BB6_3661 Depth=2
	s_or_b32 exec_lo, exec_lo, s40
	v_max_f32_e32 v2, v2, v2
	v_max_f32_e32 v3, v112, v112
	v_min_f32_e32 v112, v3, v2
.LBB6_4517:                             ;   in Loop: Header=BB6_3661 Depth=2
	v_and_b32_e32 v2, 0x7f800000, v112
	s_waitcnt vmcnt(8) lgkmcnt(8)
	v_mov_b32_e32 v100, 0x80
	s_mov_b32 s40, exec_lo
	v_cmpx_ne_u32_e32 0x7f800000, v2
	s_cbranch_execz .LBB6_4525
; %bb.4518:                             ;   in Loop: Header=BB6_3661 Depth=2
	v_mov_b32_e32 v100, 0
	s_mov_b32 s41, exec_lo
	v_cmpx_ne_u32_e32 0, v112
	s_cbranch_execz .LBB6_4524
; %bb.4519:                             ;   in Loop: Header=BB6_3661 Depth=2
	v_bfe_u32 v2, v112, 23, 8
	v_and_b32_e32 v3, 0x7fffff, v112
	v_sub_nc_u32_e32 v30, 0x70, v2
	v_cmp_gt_u32_e32 vcc_lo, 0x71, v2
	v_or_b32_e32 v100, 0x800000, v3
	v_cndmask_b32_e32 v30, 0, v30, vcc_lo
	v_cmp_eq_u32_e32 vcc_lo, 0, v2
	v_add_nc_u32_e32 v2, 0xffffff91, v2
	v_cndmask_b32_e64 v30, v30, 0x6f, vcc_lo
	v_cndmask_b32_e32 v3, v100, v3, vcc_lo
	v_cndmask_b32_e64 v2, v2, 0xffffff92, vcc_lo
	v_lshl_add_u32 v100, 0x200000, v30, -1
	v_lshrrev_b32_e32 v101, v30, v3
	v_lshlrev_b32_e64 v119, v30, 0x100000
	v_add_nc_u32_e32 v30, v30, v2
	v_and_b32_e32 v3, v100, v3
	v_bfe_u32 v115, v101, 21, 1
	v_cmp_eq_u32_e64 s13, v3, v119
	v_add_nc_u32_e32 v100, -1, v115
	v_cndmask_b32_e64 v3, 0, v100, s13
	v_lshrrev_b32_e32 v100, 23, v101
	s_mov_b32 s13, exec_lo
	v_add_nc_u32_e32 v3, v3, v101
	v_xor_b32_e32 v100, 1, v100
	v_and_b32_e32 v2, 0x1fffff, v3
	v_add_nc_u32_e32 v3, v2, v101
                                        ; implicit-def: $vgpr2
	v_cmpx_ne_u32_e64 v30, v100
	s_xor_b32 s13, exec_lo, s13
; %bb.4520:                             ;   in Loop: Header=BB6_3661 Depth=2
	v_cmp_lt_u32_e32 vcc_lo, 0xffffff, v3
	v_sub_nc_u32_e32 v2, v30, v100
	v_cndmask_b32_e64 v30, 0, 1, vcc_lo
	v_add_co_ci_u32_e64 v2, null, 0, v2, vcc_lo
	v_lshrrev_b32_e32 v3, v30, v3
; %bb.4521:                             ;   in Loop: Header=BB6_3661 Depth=2
	s_andn2_saveexec_b32 s13, s13
; %bb.4522:                             ;   in Loop: Header=BB6_3661 Depth=2
	v_bfe_u32 v2, v3, 23, 1
; %bb.4523:                             ;   in Loop: Header=BB6_3661 Depth=2
	s_or_b32 exec_lo, exec_lo, s13
	v_lshrrev_b32_e32 v3, 21, v3
	v_cmp_gt_i32_e32 vcc_lo, 32, v2
	v_min_i32_e32 v30, 31, v2
	v_and_b32_sdwa v100, v112, v58 dst_sel:DWORD dst_unused:UNUSED_PAD src0_sel:BYTE_3 src1_sel:DWORD
	v_cndmask_b32_e32 v3, 3, v3, vcc_lo
	v_lshlrev_b32_e32 v30, 2, v30
	v_and_b32_e32 v101, 3, v3
	v_or_b32_e32 v2, v2, v3
	v_or3_b32 v3, v30, v100, v101
	v_cmp_ne_u32_e32 vcc_lo, 0, v2
	v_cndmask_b32_e32 v100, 0, v3, vcc_lo
.LBB6_4524:                             ;   in Loop: Header=BB6_3661 Depth=2
	s_or_b32 exec_lo, exec_lo, s41
.LBB6_4525:                             ;   in Loop: Header=BB6_3661 Depth=2
	s_or_b32 exec_lo, exec_lo, s40
	v_cmp_gt_i16_sdwa s40, v98, v57 src0_sel:BYTE_0 src1_sel:DWORD
	s_andn2_b32 vcc_lo, exec_lo, s28
	s_mov_b32 s13, -1
                                        ; implicit-def: $vgpr101
	s_cbranch_vccnz .LBB6_4539
; %bb.4526:                             ;   in Loop: Header=BB6_3661 Depth=2
	s_mov_b32 s13, 0
	s_and_saveexec_b32 s41, s40
	s_xor_b32 s40, exec_lo, s41
	s_cbranch_execz .LBB6_5003
; %bb.4527:                             ;   in Loop: Header=BB6_3661 Depth=2
	v_cmp_eq_u16_sdwa s42, v98, v58 src0_sel:BYTE_0 src1_sel:DWORD
	s_mov_b32 s13, -1
	s_and_saveexec_b32 s41, s42
; %bb.4528:                             ;   in Loop: Header=BB6_3661 Depth=2
	s_xor_b32 s13, exec_lo, -1
; %bb.4529:                             ;   in Loop: Header=BB6_3661 Depth=2
	s_or_b32 exec_lo, exec_lo, s41
	s_and_b32 s13, s13, exec_lo
	s_or_saveexec_b32 s40, s40
	v_mov_b32_e32 v101, 0x7f800001
	s_xor_b32 exec_lo, exec_lo, s40
	s_cbranch_execnz .LBB6_5004
.LBB6_4530:                             ;   in Loop: Header=BB6_3661 Depth=2
	s_or_b32 exec_lo, exec_lo, s40
	s_and_saveexec_b32 s40, s13
	s_cbranch_execz .LBB6_4532
.LBB6_4531:                             ;   in Loop: Header=BB6_3661 Depth=2
	v_and_b32_e32 v2, 3, v98
	v_lshrrev_b16 v30, 2, v98
	v_lshlrev_b32_e32 v112, 24, v98
	v_ffbh_u32_e32 v3, v2
	v_and_b32_e32 v30, 31, v30
	v_min_u32_e32 v3, 32, v3
	v_cmp_eq_u32_e32 vcc_lo, 0, v30
	v_subrev_nc_u32_e32 v101, 29, v3
	v_sub_nc_u32_e32 v3, 30, v3
	v_lshlrev_b32_e32 v101, v101, v98
	v_cndmask_b32_e32 v3, v30, v3, vcc_lo
	v_and_b32_e32 v30, 0x80000000, v112
	v_and_b32_e32 v101, 3, v101
	v_lshl_add_u32 v3, v3, 23, 0x37800000
	v_cndmask_b32_e32 v2, v2, v101, vcc_lo
	v_lshlrev_b32_e32 v2, 21, v2
	v_or3_b32 v101, v30, v3, v2
.LBB6_4532:                             ;   in Loop: Header=BB6_3661 Depth=2
	s_or_b32 exec_lo, exec_lo, s40
	s_waitcnt vmcnt(7) lgkmcnt(7)
	v_cmp_gt_i16_sdwa s40, v51, v57 src0_sel:BYTE_0 src1_sel:DWORD
	s_mov_b32 s13, 0
	s_and_saveexec_b32 s41, s40
	s_xor_b32 s40, exec_lo, s41
	s_cbranch_execz .LBB6_5005
; %bb.4533:                             ;   in Loop: Header=BB6_3661 Depth=2
	v_cmp_eq_u16_sdwa s42, v51, v58 src0_sel:BYTE_0 src1_sel:DWORD
	s_mov_b32 s13, -1
	s_and_saveexec_b32 s41, s42
; %bb.4534:                             ;   in Loop: Header=BB6_3661 Depth=2
	s_xor_b32 s13, exec_lo, -1
; %bb.4535:                             ;   in Loop: Header=BB6_3661 Depth=2
	s_or_b32 exec_lo, exec_lo, s41
	s_and_b32 s13, s13, exec_lo
	s_or_saveexec_b32 s40, s40
	v_mov_b32_e32 v2, 0x7f800001
	s_xor_b32 exec_lo, exec_lo, s40
	s_cbranch_execnz .LBB6_5006
.LBB6_4536:                             ;   in Loop: Header=BB6_3661 Depth=2
	s_or_b32 exec_lo, exec_lo, s40
	s_and_saveexec_b32 s40, s13
	s_cbranch_execz .LBB6_4538
.LBB6_4537:                             ;   in Loop: Header=BB6_3661 Depth=2
	v_and_b32_e32 v2, 3, v51
	v_lshrrev_b16 v30, 2, v51
	v_lshlrev_b32_e32 v115, 24, v51
	v_ffbh_u32_e32 v3, v2
	v_and_b32_e32 v30, 31, v30
	v_min_u32_e32 v3, 32, v3
	v_cmp_eq_u32_e32 vcc_lo, 0, v30
	v_subrev_nc_u32_e32 v112, 29, v3
	v_sub_nc_u32_e32 v3, 30, v3
	v_lshlrev_b32_e32 v112, v112, v51
	v_cndmask_b32_e32 v3, v30, v3, vcc_lo
	v_and_b32_e32 v30, 0x80000000, v115
	v_and_b32_e32 v112, 3, v112
	v_lshl_add_u32 v3, v3, 23, 0x37800000
	v_cndmask_b32_e32 v2, v2, v112, vcc_lo
	v_lshlrev_b32_e32 v2, 21, v2
	v_or3_b32 v2, v30, v3, v2
.LBB6_4538:                             ;   in Loop: Header=BB6_3661 Depth=2
	s_or_b32 exec_lo, exec_lo, s40
	v_max_f32_e32 v2, v2, v2
	v_max_f32_e32 v3, v101, v101
	s_mov_b32 s13, 0
	v_max_f32_e32 v101, v3, v2
.LBB6_4539:                             ;   in Loop: Header=BB6_3661 Depth=2
	s_and_b32 vcc_lo, exec_lo, s13
	s_cbranch_vccz .LBB6_4553
; %bb.4540:                             ;   in Loop: Header=BB6_3661 Depth=2
	v_cmp_gt_i16_sdwa s40, v98, v57 src0_sel:BYTE_0 src1_sel:DWORD
	s_mov_b32 s13, 0
	s_and_saveexec_b32 s41, s40
	s_xor_b32 s40, exec_lo, s41
	s_cbranch_execz .LBB6_5007
; %bb.4541:                             ;   in Loop: Header=BB6_3661 Depth=2
	v_cmp_eq_u16_sdwa s42, v98, v58 src0_sel:BYTE_0 src1_sel:DWORD
	s_mov_b32 s13, -1
	s_and_saveexec_b32 s41, s42
; %bb.4542:                             ;   in Loop: Header=BB6_3661 Depth=2
	s_xor_b32 s13, exec_lo, -1
; %bb.4543:                             ;   in Loop: Header=BB6_3661 Depth=2
	s_or_b32 exec_lo, exec_lo, s41
	s_and_b32 s13, s13, exec_lo
	s_or_saveexec_b32 s40, s40
	v_mov_b32_e32 v101, 0x7f800001
	s_xor_b32 exec_lo, exec_lo, s40
	s_cbranch_execnz .LBB6_5008
.LBB6_4544:                             ;   in Loop: Header=BB6_3661 Depth=2
	s_or_b32 exec_lo, exec_lo, s40
	s_and_saveexec_b32 s40, s13
	s_cbranch_execz .LBB6_4546
.LBB6_4545:                             ;   in Loop: Header=BB6_3661 Depth=2
	v_and_b32_e32 v2, 3, v98
	v_lshrrev_b16 v30, 2, v98
	v_ffbh_u32_e32 v3, v2
	v_and_b32_e32 v30, 31, v30
	v_min_u32_e32 v3, 32, v3
	v_cmp_eq_u32_e32 vcc_lo, 0, v30
	v_subrev_nc_u32_e32 v101, 29, v3
	v_sub_nc_u32_e32 v3, 30, v3
	v_lshlrev_b32_e32 v101, v101, v98
	v_lshlrev_b32_e32 v98, 24, v98
	v_cndmask_b32_e32 v3, v30, v3, vcc_lo
	v_and_b32_e32 v101, 3, v101
	v_and_b32_e32 v30, 0x80000000, v98
	v_lshl_add_u32 v3, v3, 23, 0x37800000
	v_cndmask_b32_e32 v2, v2, v101, vcc_lo
	v_lshlrev_b32_e32 v2, 21, v2
	v_or3_b32 v101, v30, v3, v2
.LBB6_4546:                             ;   in Loop: Header=BB6_3661 Depth=2
	s_or_b32 exec_lo, exec_lo, s40
	s_waitcnt vmcnt(7) lgkmcnt(7)
	v_cmp_gt_i16_sdwa s40, v51, v57 src0_sel:BYTE_0 src1_sel:DWORD
	s_mov_b32 s13, 0
	s_and_saveexec_b32 s41, s40
	s_xor_b32 s40, exec_lo, s41
	s_cbranch_execz .LBB6_5009
; %bb.4547:                             ;   in Loop: Header=BB6_3661 Depth=2
	v_cmp_eq_u16_sdwa s42, v51, v58 src0_sel:BYTE_0 src1_sel:DWORD
	s_mov_b32 s13, -1
	s_and_saveexec_b32 s41, s42
; %bb.4548:                             ;   in Loop: Header=BB6_3661 Depth=2
	s_xor_b32 s13, exec_lo, -1
; %bb.4549:                             ;   in Loop: Header=BB6_3661 Depth=2
	s_or_b32 exec_lo, exec_lo, s41
	s_and_b32 s13, s13, exec_lo
	s_or_saveexec_b32 s40, s40
	v_mov_b32_e32 v2, 0x7f800001
	s_xor_b32 exec_lo, exec_lo, s40
	s_cbranch_execnz .LBB6_5010
.LBB6_4550:                             ;   in Loop: Header=BB6_3661 Depth=2
	s_or_b32 exec_lo, exec_lo, s40
	s_and_saveexec_b32 s40, s13
	s_cbranch_execz .LBB6_4552
.LBB6_4551:                             ;   in Loop: Header=BB6_3661 Depth=2
	v_and_b32_e32 v2, 3, v51
	v_lshrrev_b16 v30, 2, v51
	v_ffbh_u32_e32 v3, v2
	v_and_b32_e32 v30, 31, v30
	v_min_u32_e32 v3, 32, v3
	v_cmp_eq_u32_e32 vcc_lo, 0, v30
	v_subrev_nc_u32_e32 v98, 29, v3
	v_sub_nc_u32_e32 v3, 30, v3
	v_lshlrev_b32_e32 v98, v98, v51
	v_lshlrev_b32_e32 v51, 24, v51
	v_cndmask_b32_e32 v3, v30, v3, vcc_lo
	v_and_b32_e32 v98, 3, v98
	v_and_b32_e32 v30, 0x80000000, v51
	v_lshl_add_u32 v3, v3, 23, 0x37800000
	v_cndmask_b32_e32 v2, v2, v98, vcc_lo
	v_lshlrev_b32_e32 v2, 21, v2
	v_or3_b32 v2, v30, v3, v2
.LBB6_4552:                             ;   in Loop: Header=BB6_3661 Depth=2
	s_or_b32 exec_lo, exec_lo, s40
	v_max_f32_e32 v2, v2, v2
	v_max_f32_e32 v3, v101, v101
	v_min_f32_e32 v101, v3, v2
.LBB6_4553:                             ;   in Loop: Header=BB6_3661 Depth=2
	v_and_b32_e32 v2, 0x7f800000, v101
	s_waitcnt vmcnt(7) lgkmcnt(7)
	v_mov_b32_e32 v51, 0x80
	s_mov_b32 s40, exec_lo
	v_cmpx_ne_u32_e32 0x7f800000, v2
	s_cbranch_execz .LBB6_4561
; %bb.4554:                             ;   in Loop: Header=BB6_3661 Depth=2
	v_mov_b32_e32 v51, 0
	s_mov_b32 s41, exec_lo
	v_cmpx_ne_u32_e32 0, v101
	s_cbranch_execz .LBB6_4560
; %bb.4555:                             ;   in Loop: Header=BB6_3661 Depth=2
	v_bfe_u32 v2, v101, 23, 8
	v_and_b32_e32 v3, 0x7fffff, v101
	v_sub_nc_u32_e32 v30, 0x70, v2
	v_cmp_gt_u32_e32 vcc_lo, 0x71, v2
	v_or_b32_e32 v51, 0x800000, v3
	v_cndmask_b32_e32 v30, 0, v30, vcc_lo
	v_cmp_eq_u32_e32 vcc_lo, 0, v2
	v_add_nc_u32_e32 v2, 0xffffff91, v2
	v_cndmask_b32_e64 v30, v30, 0x6f, vcc_lo
	v_cndmask_b32_e32 v3, v51, v3, vcc_lo
	v_cndmask_b32_e64 v2, v2, 0xffffff92, vcc_lo
	v_lshl_add_u32 v51, 0x200000, v30, -1
	v_lshrrev_b32_e32 v98, v30, v3
	v_lshlrev_b32_e64 v115, v30, 0x100000
	v_add_nc_u32_e32 v30, v30, v2
	v_and_b32_e32 v3, v51, v3
	v_bfe_u32 v112, v98, 21, 1
	v_cmp_eq_u32_e64 s13, v3, v115
	v_add_nc_u32_e32 v51, -1, v112
	v_cndmask_b32_e64 v3, 0, v51, s13
	v_lshrrev_b32_e32 v51, 23, v98
	s_mov_b32 s13, exec_lo
	v_add_nc_u32_e32 v3, v3, v98
	v_xor_b32_e32 v51, 1, v51
	v_and_b32_e32 v2, 0x1fffff, v3
	v_add_nc_u32_e32 v3, v2, v98
                                        ; implicit-def: $vgpr2
	v_cmpx_ne_u32_e64 v30, v51
	s_xor_b32 s13, exec_lo, s13
; %bb.4556:                             ;   in Loop: Header=BB6_3661 Depth=2
	v_cmp_lt_u32_e32 vcc_lo, 0xffffff, v3
	v_sub_nc_u32_e32 v2, v30, v51
	v_cndmask_b32_e64 v30, 0, 1, vcc_lo
	v_add_co_ci_u32_e64 v2, null, 0, v2, vcc_lo
	v_lshrrev_b32_e32 v3, v30, v3
; %bb.4557:                             ;   in Loop: Header=BB6_3661 Depth=2
	s_andn2_saveexec_b32 s13, s13
; %bb.4558:                             ;   in Loop: Header=BB6_3661 Depth=2
	v_bfe_u32 v2, v3, 23, 1
; %bb.4559:                             ;   in Loop: Header=BB6_3661 Depth=2
	s_or_b32 exec_lo, exec_lo, s13
	v_lshrrev_b32_e32 v3, 21, v3
	v_cmp_gt_i32_e32 vcc_lo, 32, v2
	v_min_i32_e32 v30, 31, v2
	v_and_b32_sdwa v51, v101, v58 dst_sel:DWORD dst_unused:UNUSED_PAD src0_sel:BYTE_3 src1_sel:DWORD
	v_cndmask_b32_e32 v3, 3, v3, vcc_lo
	v_lshlrev_b32_e32 v30, 2, v30
	v_and_b32_e32 v98, 3, v3
	v_or_b32_e32 v2, v2, v3
	v_or3_b32 v3, v30, v51, v98
	v_cmp_ne_u32_e32 vcc_lo, 0, v2
	v_cndmask_b32_e32 v51, 0, v3, vcc_lo
.LBB6_4560:                             ;   in Loop: Header=BB6_3661 Depth=2
	s_or_b32 exec_lo, exec_lo, s41
.LBB6_4561:                             ;   in Loop: Header=BB6_3661 Depth=2
	s_or_b32 exec_lo, exec_lo, s40
	v_cmp_gt_i16_sdwa s40, v49, v57 src0_sel:BYTE_0 src1_sel:DWORD
	s_andn2_b32 vcc_lo, exec_lo, s28
	s_mov_b32 s13, -1
                                        ; implicit-def: $vgpr98
	s_cbranch_vccnz .LBB6_4575
; %bb.4562:                             ;   in Loop: Header=BB6_3661 Depth=2
	s_mov_b32 s13, 0
	s_and_saveexec_b32 s41, s40
	s_xor_b32 s40, exec_lo, s41
	s_cbranch_execz .LBB6_5011
; %bb.4563:                             ;   in Loop: Header=BB6_3661 Depth=2
	v_cmp_eq_u16_sdwa s42, v49, v58 src0_sel:BYTE_0 src1_sel:DWORD
	s_mov_b32 s13, -1
	s_and_saveexec_b32 s41, s42
; %bb.4564:                             ;   in Loop: Header=BB6_3661 Depth=2
	s_xor_b32 s13, exec_lo, -1
; %bb.4565:                             ;   in Loop: Header=BB6_3661 Depth=2
	s_or_b32 exec_lo, exec_lo, s41
	s_and_b32 s13, s13, exec_lo
	s_or_saveexec_b32 s40, s40
	v_mov_b32_e32 v98, 0x7f800001
	s_xor_b32 exec_lo, exec_lo, s40
	s_cbranch_execnz .LBB6_5012
.LBB6_4566:                             ;   in Loop: Header=BB6_3661 Depth=2
	s_or_b32 exec_lo, exec_lo, s40
	s_and_saveexec_b32 s40, s13
	s_cbranch_execz .LBB6_4568
.LBB6_4567:                             ;   in Loop: Header=BB6_3661 Depth=2
	v_and_b32_e32 v2, 3, v49
	v_lshrrev_b16 v30, 2, v49
	v_lshlrev_b32_e32 v101, 24, v49
	v_ffbh_u32_e32 v3, v2
	v_and_b32_e32 v30, 31, v30
	v_min_u32_e32 v3, 32, v3
	v_cmp_eq_u32_e32 vcc_lo, 0, v30
	v_subrev_nc_u32_e32 v98, 29, v3
	v_sub_nc_u32_e32 v3, 30, v3
	v_lshlrev_b32_e32 v98, v98, v49
	v_cndmask_b32_e32 v3, v30, v3, vcc_lo
	v_and_b32_e32 v30, 0x80000000, v101
	v_and_b32_e32 v98, 3, v98
	v_lshl_add_u32 v3, v3, 23, 0x37800000
	v_cndmask_b32_e32 v2, v2, v98, vcc_lo
	v_lshlrev_b32_e32 v2, 21, v2
	v_or3_b32 v98, v30, v3, v2
.LBB6_4568:                             ;   in Loop: Header=BB6_3661 Depth=2
	s_or_b32 exec_lo, exec_lo, s40
	s_waitcnt vmcnt(6) lgkmcnt(6)
	v_cmp_gt_i16_sdwa s40, v48, v57 src0_sel:BYTE_0 src1_sel:DWORD
	s_mov_b32 s13, 0
	s_and_saveexec_b32 s41, s40
	s_xor_b32 s40, exec_lo, s41
	s_cbranch_execz .LBB6_5013
; %bb.4569:                             ;   in Loop: Header=BB6_3661 Depth=2
	v_cmp_eq_u16_sdwa s42, v48, v58 src0_sel:BYTE_0 src1_sel:DWORD
	s_mov_b32 s13, -1
	s_and_saveexec_b32 s41, s42
; %bb.4570:                             ;   in Loop: Header=BB6_3661 Depth=2
	s_xor_b32 s13, exec_lo, -1
; %bb.4571:                             ;   in Loop: Header=BB6_3661 Depth=2
	s_or_b32 exec_lo, exec_lo, s41
	s_and_b32 s13, s13, exec_lo
	s_or_saveexec_b32 s40, s40
	v_mov_b32_e32 v2, 0x7f800001
	s_xor_b32 exec_lo, exec_lo, s40
	s_cbranch_execnz .LBB6_5014
.LBB6_4572:                             ;   in Loop: Header=BB6_3661 Depth=2
	s_or_b32 exec_lo, exec_lo, s40
	s_and_saveexec_b32 s40, s13
	s_cbranch_execz .LBB6_4574
.LBB6_4573:                             ;   in Loop: Header=BB6_3661 Depth=2
	v_and_b32_e32 v2, 3, v48
	v_lshrrev_b16 v30, 2, v48
	v_lshlrev_b32_e32 v112, 24, v48
	v_ffbh_u32_e32 v3, v2
	v_and_b32_e32 v30, 31, v30
	v_min_u32_e32 v3, 32, v3
	v_cmp_eq_u32_e32 vcc_lo, 0, v30
	v_subrev_nc_u32_e32 v101, 29, v3
	v_sub_nc_u32_e32 v3, 30, v3
	v_lshlrev_b32_e32 v101, v101, v48
	v_cndmask_b32_e32 v3, v30, v3, vcc_lo
	v_and_b32_e32 v30, 0x80000000, v112
	v_and_b32_e32 v101, 3, v101
	v_lshl_add_u32 v3, v3, 23, 0x37800000
	v_cndmask_b32_e32 v2, v2, v101, vcc_lo
	v_lshlrev_b32_e32 v2, 21, v2
	v_or3_b32 v2, v30, v3, v2
.LBB6_4574:                             ;   in Loop: Header=BB6_3661 Depth=2
	s_or_b32 exec_lo, exec_lo, s40
	v_max_f32_e32 v2, v2, v2
	v_max_f32_e32 v3, v98, v98
	s_mov_b32 s13, 0
	v_max_f32_e32 v98, v3, v2
.LBB6_4575:                             ;   in Loop: Header=BB6_3661 Depth=2
	s_and_b32 vcc_lo, exec_lo, s13
	s_cbranch_vccz .LBB6_4589
; %bb.4576:                             ;   in Loop: Header=BB6_3661 Depth=2
	v_cmp_gt_i16_sdwa s40, v49, v57 src0_sel:BYTE_0 src1_sel:DWORD
	s_mov_b32 s13, 0
	s_and_saveexec_b32 s41, s40
	s_xor_b32 s40, exec_lo, s41
	s_cbranch_execz .LBB6_5015
; %bb.4577:                             ;   in Loop: Header=BB6_3661 Depth=2
	v_cmp_eq_u16_sdwa s42, v49, v58 src0_sel:BYTE_0 src1_sel:DWORD
	s_mov_b32 s13, -1
	s_and_saveexec_b32 s41, s42
; %bb.4578:                             ;   in Loop: Header=BB6_3661 Depth=2
	s_xor_b32 s13, exec_lo, -1
; %bb.4579:                             ;   in Loop: Header=BB6_3661 Depth=2
	s_or_b32 exec_lo, exec_lo, s41
	s_and_b32 s13, s13, exec_lo
	s_or_saveexec_b32 s40, s40
	v_mov_b32_e32 v98, 0x7f800001
	s_xor_b32 exec_lo, exec_lo, s40
	s_cbranch_execnz .LBB6_5016
.LBB6_4580:                             ;   in Loop: Header=BB6_3661 Depth=2
	s_or_b32 exec_lo, exec_lo, s40
	s_and_saveexec_b32 s40, s13
	s_cbranch_execz .LBB6_4582
.LBB6_4581:                             ;   in Loop: Header=BB6_3661 Depth=2
	v_and_b32_e32 v2, 3, v49
	v_lshrrev_b16 v30, 2, v49
	v_ffbh_u32_e32 v3, v2
	v_and_b32_e32 v30, 31, v30
	v_min_u32_e32 v3, 32, v3
	v_cmp_eq_u32_e32 vcc_lo, 0, v30
	v_subrev_nc_u32_e32 v98, 29, v3
	v_sub_nc_u32_e32 v3, 30, v3
	v_lshlrev_b32_e32 v98, v98, v49
	v_lshlrev_b32_e32 v49, 24, v49
	v_cndmask_b32_e32 v3, v30, v3, vcc_lo
	v_and_b32_e32 v98, 3, v98
	v_and_b32_e32 v30, 0x80000000, v49
	v_lshl_add_u32 v3, v3, 23, 0x37800000
	v_cndmask_b32_e32 v2, v2, v98, vcc_lo
	v_lshlrev_b32_e32 v2, 21, v2
	v_or3_b32 v98, v30, v3, v2
.LBB6_4582:                             ;   in Loop: Header=BB6_3661 Depth=2
	s_or_b32 exec_lo, exec_lo, s40
	s_waitcnt vmcnt(6) lgkmcnt(6)
	v_cmp_gt_i16_sdwa s40, v48, v57 src0_sel:BYTE_0 src1_sel:DWORD
	s_mov_b32 s13, 0
	s_and_saveexec_b32 s41, s40
	s_xor_b32 s40, exec_lo, s41
	s_cbranch_execz .LBB6_5017
; %bb.4583:                             ;   in Loop: Header=BB6_3661 Depth=2
	v_cmp_eq_u16_sdwa s42, v48, v58 src0_sel:BYTE_0 src1_sel:DWORD
	s_mov_b32 s13, -1
	s_and_saveexec_b32 s41, s42
; %bb.4584:                             ;   in Loop: Header=BB6_3661 Depth=2
	s_xor_b32 s13, exec_lo, -1
; %bb.4585:                             ;   in Loop: Header=BB6_3661 Depth=2
	s_or_b32 exec_lo, exec_lo, s41
	s_and_b32 s13, s13, exec_lo
	s_or_saveexec_b32 s40, s40
	v_mov_b32_e32 v2, 0x7f800001
	s_xor_b32 exec_lo, exec_lo, s40
	s_cbranch_execnz .LBB6_5018
.LBB6_4586:                             ;   in Loop: Header=BB6_3661 Depth=2
	s_or_b32 exec_lo, exec_lo, s40
	s_and_saveexec_b32 s40, s13
	s_cbranch_execz .LBB6_4588
.LBB6_4587:                             ;   in Loop: Header=BB6_3661 Depth=2
	v_and_b32_e32 v2, 3, v48
	v_lshrrev_b16 v30, 2, v48
	v_ffbh_u32_e32 v3, v2
	v_and_b32_e32 v30, 31, v30
	v_min_u32_e32 v3, 32, v3
	v_cmp_eq_u32_e32 vcc_lo, 0, v30
	v_subrev_nc_u32_e32 v49, 29, v3
	v_sub_nc_u32_e32 v3, 30, v3
	v_lshlrev_b32_e32 v49, v49, v48
	v_lshlrev_b32_e32 v48, 24, v48
	v_cndmask_b32_e32 v3, v30, v3, vcc_lo
	v_and_b32_e32 v49, 3, v49
	v_and_b32_e32 v30, 0x80000000, v48
	v_lshl_add_u32 v3, v3, 23, 0x37800000
	v_cndmask_b32_e32 v2, v2, v49, vcc_lo
	v_lshlrev_b32_e32 v2, 21, v2
	v_or3_b32 v2, v30, v3, v2
.LBB6_4588:                             ;   in Loop: Header=BB6_3661 Depth=2
	s_or_b32 exec_lo, exec_lo, s40
	v_max_f32_e32 v2, v2, v2
	v_max_f32_e32 v3, v98, v98
	v_min_f32_e32 v98, v3, v2
.LBB6_4589:                             ;   in Loop: Header=BB6_3661 Depth=2
	v_and_b32_e32 v2, 0x7f800000, v98
	s_waitcnt vmcnt(6) lgkmcnt(6)
	v_mov_b32_e32 v48, 0x80
	s_mov_b32 s40, exec_lo
	v_cmpx_ne_u32_e32 0x7f800000, v2
	s_cbranch_execz .LBB6_4597
; %bb.4590:                             ;   in Loop: Header=BB6_3661 Depth=2
	v_mov_b32_e32 v48, 0
	s_mov_b32 s41, exec_lo
	v_cmpx_ne_u32_e32 0, v98
	s_cbranch_execz .LBB6_4596
; %bb.4591:                             ;   in Loop: Header=BB6_3661 Depth=2
	v_bfe_u32 v2, v98, 23, 8
	v_and_b32_e32 v3, 0x7fffff, v98
	v_sub_nc_u32_e32 v30, 0x70, v2
	v_cmp_gt_u32_e32 vcc_lo, 0x71, v2
	v_or_b32_e32 v48, 0x800000, v3
	v_cndmask_b32_e32 v30, 0, v30, vcc_lo
	v_cmp_eq_u32_e32 vcc_lo, 0, v2
	v_add_nc_u32_e32 v2, 0xffffff91, v2
	v_cndmask_b32_e64 v30, v30, 0x6f, vcc_lo
	v_cndmask_b32_e32 v3, v48, v3, vcc_lo
	v_cndmask_b32_e64 v2, v2, 0xffffff92, vcc_lo
	v_lshl_add_u32 v48, 0x200000, v30, -1
	v_lshrrev_b32_e32 v49, v30, v3
	v_lshlrev_b32_e64 v112, v30, 0x100000
	v_add_nc_u32_e32 v30, v30, v2
	v_and_b32_e32 v3, v48, v3
	v_bfe_u32 v101, v49, 21, 1
	v_cmp_eq_u32_e64 s13, v3, v112
	v_add_nc_u32_e32 v48, -1, v101
	v_cndmask_b32_e64 v3, 0, v48, s13
	v_lshrrev_b32_e32 v48, 23, v49
	s_mov_b32 s13, exec_lo
	v_add_nc_u32_e32 v3, v3, v49
	v_xor_b32_e32 v48, 1, v48
	v_and_b32_e32 v2, 0x1fffff, v3
	v_add_nc_u32_e32 v3, v2, v49
                                        ; implicit-def: $vgpr2
	v_cmpx_ne_u32_e64 v30, v48
	s_xor_b32 s13, exec_lo, s13
; %bb.4592:                             ;   in Loop: Header=BB6_3661 Depth=2
	v_cmp_lt_u32_e32 vcc_lo, 0xffffff, v3
	v_sub_nc_u32_e32 v2, v30, v48
	v_cndmask_b32_e64 v30, 0, 1, vcc_lo
	v_add_co_ci_u32_e64 v2, null, 0, v2, vcc_lo
	v_lshrrev_b32_e32 v3, v30, v3
; %bb.4593:                             ;   in Loop: Header=BB6_3661 Depth=2
	s_andn2_saveexec_b32 s13, s13
; %bb.4594:                             ;   in Loop: Header=BB6_3661 Depth=2
	v_bfe_u32 v2, v3, 23, 1
; %bb.4595:                             ;   in Loop: Header=BB6_3661 Depth=2
	s_or_b32 exec_lo, exec_lo, s13
	v_lshrrev_b32_e32 v3, 21, v3
	v_cmp_gt_i32_e32 vcc_lo, 32, v2
	v_min_i32_e32 v30, 31, v2
	v_and_b32_sdwa v48, v98, v58 dst_sel:DWORD dst_unused:UNUSED_PAD src0_sel:BYTE_3 src1_sel:DWORD
	v_cndmask_b32_e32 v3, 3, v3, vcc_lo
	v_lshlrev_b32_e32 v30, 2, v30
	v_and_b32_e32 v49, 3, v3
	v_or_b32_e32 v2, v2, v3
	v_or3_b32 v3, v30, v48, v49
	v_cmp_ne_u32_e32 vcc_lo, 0, v2
	v_cndmask_b32_e32 v48, 0, v3, vcc_lo
.LBB6_4596:                             ;   in Loop: Header=BB6_3661 Depth=2
	s_or_b32 exec_lo, exec_lo, s41
.LBB6_4597:                             ;   in Loop: Header=BB6_3661 Depth=2
	s_or_b32 exec_lo, exec_lo, s40
	v_cmp_gt_i16_sdwa s40, v38, v57 src0_sel:BYTE_0 src1_sel:DWORD
	s_andn2_b32 vcc_lo, exec_lo, s28
	s_mov_b32 s13, -1
                                        ; implicit-def: $vgpr49
	s_cbranch_vccnz .LBB6_4611
; %bb.4598:                             ;   in Loop: Header=BB6_3661 Depth=2
	s_mov_b32 s13, 0
	s_and_saveexec_b32 s41, s40
	s_xor_b32 s40, exec_lo, s41
	s_cbranch_execz .LBB6_5019
; %bb.4599:                             ;   in Loop: Header=BB6_3661 Depth=2
	v_cmp_eq_u16_sdwa s42, v38, v58 src0_sel:BYTE_0 src1_sel:DWORD
	s_mov_b32 s13, -1
	s_and_saveexec_b32 s41, s42
; %bb.4600:                             ;   in Loop: Header=BB6_3661 Depth=2
	s_xor_b32 s13, exec_lo, -1
; %bb.4601:                             ;   in Loop: Header=BB6_3661 Depth=2
	s_or_b32 exec_lo, exec_lo, s41
	s_and_b32 s13, s13, exec_lo
	s_or_saveexec_b32 s40, s40
	v_mov_b32_e32 v49, 0x7f800001
	s_xor_b32 exec_lo, exec_lo, s40
	s_cbranch_execnz .LBB6_5020
.LBB6_4602:                             ;   in Loop: Header=BB6_3661 Depth=2
	s_or_b32 exec_lo, exec_lo, s40
	s_and_saveexec_b32 s40, s13
	s_cbranch_execz .LBB6_4604
.LBB6_4603:                             ;   in Loop: Header=BB6_3661 Depth=2
	v_and_b32_e32 v2, 3, v38
	v_lshrrev_b16 v30, 2, v38
	v_lshlrev_b32_e32 v98, 24, v38
	v_ffbh_u32_e32 v3, v2
	v_and_b32_e32 v30, 31, v30
	v_min_u32_e32 v3, 32, v3
	v_cmp_eq_u32_e32 vcc_lo, 0, v30
	v_subrev_nc_u32_e32 v49, 29, v3
	v_sub_nc_u32_e32 v3, 30, v3
	v_lshlrev_b32_e32 v49, v49, v38
	v_cndmask_b32_e32 v3, v30, v3, vcc_lo
	v_and_b32_e32 v30, 0x80000000, v98
	v_and_b32_e32 v49, 3, v49
	v_lshl_add_u32 v3, v3, 23, 0x37800000
	v_cndmask_b32_e32 v2, v2, v49, vcc_lo
	v_lshlrev_b32_e32 v2, 21, v2
	v_or3_b32 v49, v30, v3, v2
.LBB6_4604:                             ;   in Loop: Header=BB6_3661 Depth=2
	s_or_b32 exec_lo, exec_lo, s40
	s_waitcnt vmcnt(5) lgkmcnt(5)
	v_cmp_gt_i16_sdwa s40, v37, v57 src0_sel:BYTE_0 src1_sel:DWORD
	s_mov_b32 s13, 0
	s_and_saveexec_b32 s41, s40
	s_xor_b32 s40, exec_lo, s41
	s_cbranch_execz .LBB6_5021
; %bb.4605:                             ;   in Loop: Header=BB6_3661 Depth=2
	v_cmp_eq_u16_sdwa s42, v37, v58 src0_sel:BYTE_0 src1_sel:DWORD
	s_mov_b32 s13, -1
	s_and_saveexec_b32 s41, s42
; %bb.4606:                             ;   in Loop: Header=BB6_3661 Depth=2
	s_xor_b32 s13, exec_lo, -1
; %bb.4607:                             ;   in Loop: Header=BB6_3661 Depth=2
	s_or_b32 exec_lo, exec_lo, s41
	s_and_b32 s13, s13, exec_lo
	s_or_saveexec_b32 s40, s40
	v_mov_b32_e32 v2, 0x7f800001
	s_xor_b32 exec_lo, exec_lo, s40
	s_cbranch_execnz .LBB6_5022
.LBB6_4608:                             ;   in Loop: Header=BB6_3661 Depth=2
	s_or_b32 exec_lo, exec_lo, s40
	s_and_saveexec_b32 s40, s13
	s_cbranch_execz .LBB6_4610
.LBB6_4609:                             ;   in Loop: Header=BB6_3661 Depth=2
	v_and_b32_e32 v2, 3, v37
	v_lshrrev_b16 v30, 2, v37
	v_lshlrev_b32_e32 v101, 24, v37
	v_ffbh_u32_e32 v3, v2
	v_and_b32_e32 v30, 31, v30
	v_min_u32_e32 v3, 32, v3
	v_cmp_eq_u32_e32 vcc_lo, 0, v30
	v_subrev_nc_u32_e32 v98, 29, v3
	v_sub_nc_u32_e32 v3, 30, v3
	v_lshlrev_b32_e32 v98, v98, v37
	v_cndmask_b32_e32 v3, v30, v3, vcc_lo
	v_and_b32_e32 v30, 0x80000000, v101
	v_and_b32_e32 v98, 3, v98
	v_lshl_add_u32 v3, v3, 23, 0x37800000
	v_cndmask_b32_e32 v2, v2, v98, vcc_lo
	v_lshlrev_b32_e32 v2, 21, v2
	v_or3_b32 v2, v30, v3, v2
.LBB6_4610:                             ;   in Loop: Header=BB6_3661 Depth=2
	s_or_b32 exec_lo, exec_lo, s40
	v_max_f32_e32 v2, v2, v2
	v_max_f32_e32 v3, v49, v49
	s_mov_b32 s13, 0
	v_max_f32_e32 v49, v3, v2
.LBB6_4611:                             ;   in Loop: Header=BB6_3661 Depth=2
	s_and_b32 vcc_lo, exec_lo, s13
	s_cbranch_vccz .LBB6_4625
; %bb.4612:                             ;   in Loop: Header=BB6_3661 Depth=2
	v_cmp_gt_i16_sdwa s40, v38, v57 src0_sel:BYTE_0 src1_sel:DWORD
	s_mov_b32 s13, 0
	s_and_saveexec_b32 s41, s40
	s_xor_b32 s40, exec_lo, s41
	s_cbranch_execz .LBB6_5023
; %bb.4613:                             ;   in Loop: Header=BB6_3661 Depth=2
	v_cmp_eq_u16_sdwa s42, v38, v58 src0_sel:BYTE_0 src1_sel:DWORD
	s_mov_b32 s13, -1
	s_and_saveexec_b32 s41, s42
; %bb.4614:                             ;   in Loop: Header=BB6_3661 Depth=2
	s_xor_b32 s13, exec_lo, -1
; %bb.4615:                             ;   in Loop: Header=BB6_3661 Depth=2
	s_or_b32 exec_lo, exec_lo, s41
	s_and_b32 s13, s13, exec_lo
	s_or_saveexec_b32 s40, s40
	v_mov_b32_e32 v49, 0x7f800001
	s_xor_b32 exec_lo, exec_lo, s40
	s_cbranch_execnz .LBB6_5024
.LBB6_4616:                             ;   in Loop: Header=BB6_3661 Depth=2
	s_or_b32 exec_lo, exec_lo, s40
	s_and_saveexec_b32 s40, s13
	s_cbranch_execz .LBB6_4618
.LBB6_4617:                             ;   in Loop: Header=BB6_3661 Depth=2
	v_and_b32_e32 v2, 3, v38
	v_lshrrev_b16 v30, 2, v38
	v_ffbh_u32_e32 v3, v2
	v_and_b32_e32 v30, 31, v30
	v_min_u32_e32 v3, 32, v3
	v_cmp_eq_u32_e32 vcc_lo, 0, v30
	v_subrev_nc_u32_e32 v49, 29, v3
	v_sub_nc_u32_e32 v3, 30, v3
	v_lshlrev_b32_e32 v49, v49, v38
	v_lshlrev_b32_e32 v38, 24, v38
	v_cndmask_b32_e32 v3, v30, v3, vcc_lo
	v_and_b32_e32 v49, 3, v49
	v_and_b32_e32 v30, 0x80000000, v38
	v_lshl_add_u32 v3, v3, 23, 0x37800000
	v_cndmask_b32_e32 v2, v2, v49, vcc_lo
	v_lshlrev_b32_e32 v2, 21, v2
	v_or3_b32 v49, v30, v3, v2
.LBB6_4618:                             ;   in Loop: Header=BB6_3661 Depth=2
	s_or_b32 exec_lo, exec_lo, s40
	s_waitcnt vmcnt(5) lgkmcnt(5)
	v_cmp_gt_i16_sdwa s40, v37, v57 src0_sel:BYTE_0 src1_sel:DWORD
	s_mov_b32 s13, 0
	s_and_saveexec_b32 s41, s40
	s_xor_b32 s40, exec_lo, s41
	s_cbranch_execz .LBB6_5025
; %bb.4619:                             ;   in Loop: Header=BB6_3661 Depth=2
	v_cmp_eq_u16_sdwa s42, v37, v58 src0_sel:BYTE_0 src1_sel:DWORD
	s_mov_b32 s13, -1
	s_and_saveexec_b32 s41, s42
; %bb.4620:                             ;   in Loop: Header=BB6_3661 Depth=2
	s_xor_b32 s13, exec_lo, -1
; %bb.4621:                             ;   in Loop: Header=BB6_3661 Depth=2
	s_or_b32 exec_lo, exec_lo, s41
	s_and_b32 s13, s13, exec_lo
	s_or_saveexec_b32 s40, s40
	v_mov_b32_e32 v2, 0x7f800001
	s_xor_b32 exec_lo, exec_lo, s40
	s_cbranch_execnz .LBB6_5026
.LBB6_4622:                             ;   in Loop: Header=BB6_3661 Depth=2
	s_or_b32 exec_lo, exec_lo, s40
	s_and_saveexec_b32 s40, s13
	s_cbranch_execz .LBB6_4624
.LBB6_4623:                             ;   in Loop: Header=BB6_3661 Depth=2
	v_and_b32_e32 v2, 3, v37
	v_lshrrev_b16 v30, 2, v37
	v_ffbh_u32_e32 v3, v2
	v_and_b32_e32 v30, 31, v30
	v_min_u32_e32 v3, 32, v3
	v_cmp_eq_u32_e32 vcc_lo, 0, v30
	v_subrev_nc_u32_e32 v38, 29, v3
	v_sub_nc_u32_e32 v3, 30, v3
	v_lshlrev_b32_e32 v38, v38, v37
	v_lshlrev_b32_e32 v37, 24, v37
	v_cndmask_b32_e32 v3, v30, v3, vcc_lo
	v_and_b32_e32 v38, 3, v38
	v_and_b32_e32 v30, 0x80000000, v37
	v_lshl_add_u32 v3, v3, 23, 0x37800000
	v_cndmask_b32_e32 v2, v2, v38, vcc_lo
	v_lshlrev_b32_e32 v2, 21, v2
	v_or3_b32 v2, v30, v3, v2
.LBB6_4624:                             ;   in Loop: Header=BB6_3661 Depth=2
	s_or_b32 exec_lo, exec_lo, s40
	v_max_f32_e32 v2, v2, v2
	v_max_f32_e32 v3, v49, v49
	v_min_f32_e32 v49, v3, v2
.LBB6_4625:                             ;   in Loop: Header=BB6_3661 Depth=2
	v_and_b32_e32 v2, 0x7f800000, v49
	s_waitcnt vmcnt(5) lgkmcnt(5)
	v_mov_b32_e32 v37, 0x80
	s_mov_b32 s40, exec_lo
	v_cmpx_ne_u32_e32 0x7f800000, v2
	s_cbranch_execz .LBB6_4633
; %bb.4626:                             ;   in Loop: Header=BB6_3661 Depth=2
	v_mov_b32_e32 v37, 0
	s_mov_b32 s41, exec_lo
	v_cmpx_ne_u32_e32 0, v49
	s_cbranch_execz .LBB6_4632
; %bb.4627:                             ;   in Loop: Header=BB6_3661 Depth=2
	v_bfe_u32 v2, v49, 23, 8
	v_and_b32_e32 v3, 0x7fffff, v49
	v_sub_nc_u32_e32 v30, 0x70, v2
	v_cmp_gt_u32_e32 vcc_lo, 0x71, v2
	v_or_b32_e32 v37, 0x800000, v3
	v_cndmask_b32_e32 v30, 0, v30, vcc_lo
	v_cmp_eq_u32_e32 vcc_lo, 0, v2
	v_add_nc_u32_e32 v2, 0xffffff91, v2
	v_cndmask_b32_e64 v30, v30, 0x6f, vcc_lo
	v_cndmask_b32_e32 v3, v37, v3, vcc_lo
	v_cndmask_b32_e64 v2, v2, 0xffffff92, vcc_lo
	v_lshl_add_u32 v37, 0x200000, v30, -1
	v_lshrrev_b32_e32 v38, v30, v3
	v_lshlrev_b32_e64 v101, v30, 0x100000
	v_add_nc_u32_e32 v30, v30, v2
	v_and_b32_e32 v3, v37, v3
	v_bfe_u32 v98, v38, 21, 1
	v_cmp_eq_u32_e64 s13, v3, v101
	v_add_nc_u32_e32 v37, -1, v98
	v_cndmask_b32_e64 v3, 0, v37, s13
	v_lshrrev_b32_e32 v37, 23, v38
	s_mov_b32 s13, exec_lo
	v_add_nc_u32_e32 v3, v3, v38
	v_xor_b32_e32 v37, 1, v37
	v_and_b32_e32 v2, 0x1fffff, v3
	v_add_nc_u32_e32 v3, v2, v38
                                        ; implicit-def: $vgpr2
	v_cmpx_ne_u32_e64 v30, v37
	s_xor_b32 s13, exec_lo, s13
; %bb.4628:                             ;   in Loop: Header=BB6_3661 Depth=2
	v_cmp_lt_u32_e32 vcc_lo, 0xffffff, v3
	v_sub_nc_u32_e32 v2, v30, v37
	v_cndmask_b32_e64 v30, 0, 1, vcc_lo
	v_add_co_ci_u32_e64 v2, null, 0, v2, vcc_lo
	v_lshrrev_b32_e32 v3, v30, v3
; %bb.4629:                             ;   in Loop: Header=BB6_3661 Depth=2
	s_andn2_saveexec_b32 s13, s13
; %bb.4630:                             ;   in Loop: Header=BB6_3661 Depth=2
	v_bfe_u32 v2, v3, 23, 1
; %bb.4631:                             ;   in Loop: Header=BB6_3661 Depth=2
	s_or_b32 exec_lo, exec_lo, s13
	v_lshrrev_b32_e32 v3, 21, v3
	v_cmp_gt_i32_e32 vcc_lo, 32, v2
	v_min_i32_e32 v30, 31, v2
	v_and_b32_sdwa v37, v49, v58 dst_sel:DWORD dst_unused:UNUSED_PAD src0_sel:BYTE_3 src1_sel:DWORD
	v_cndmask_b32_e32 v3, 3, v3, vcc_lo
	v_lshlrev_b32_e32 v30, 2, v30
	v_and_b32_e32 v38, 3, v3
	v_or_b32_e32 v2, v2, v3
	v_or3_b32 v3, v30, v37, v38
	v_cmp_ne_u32_e32 vcc_lo, 0, v2
	v_cndmask_b32_e32 v37, 0, v3, vcc_lo
.LBB6_4632:                             ;   in Loop: Header=BB6_3661 Depth=2
	s_or_b32 exec_lo, exec_lo, s41
.LBB6_4633:                             ;   in Loop: Header=BB6_3661 Depth=2
	s_or_b32 exec_lo, exec_lo, s40
	v_cmp_gt_i16_sdwa s40, v35, v57 src0_sel:BYTE_0 src1_sel:DWORD
	s_andn2_b32 vcc_lo, exec_lo, s28
	s_mov_b32 s13, -1
                                        ; implicit-def: $vgpr38
	s_cbranch_vccnz .LBB6_4647
; %bb.4634:                             ;   in Loop: Header=BB6_3661 Depth=2
	s_mov_b32 s13, 0
	s_and_saveexec_b32 s41, s40
	s_xor_b32 s40, exec_lo, s41
	s_cbranch_execz .LBB6_5027
; %bb.4635:                             ;   in Loop: Header=BB6_3661 Depth=2
	v_cmp_eq_u16_sdwa s42, v35, v58 src0_sel:BYTE_0 src1_sel:DWORD
	s_mov_b32 s13, -1
	s_and_saveexec_b32 s41, s42
; %bb.4636:                             ;   in Loop: Header=BB6_3661 Depth=2
	s_xor_b32 s13, exec_lo, -1
; %bb.4637:                             ;   in Loop: Header=BB6_3661 Depth=2
	s_or_b32 exec_lo, exec_lo, s41
	s_and_b32 s13, s13, exec_lo
	s_or_saveexec_b32 s40, s40
	v_mov_b32_e32 v38, 0x7f800001
	s_xor_b32 exec_lo, exec_lo, s40
	s_cbranch_execnz .LBB6_5028
.LBB6_4638:                             ;   in Loop: Header=BB6_3661 Depth=2
	s_or_b32 exec_lo, exec_lo, s40
	s_and_saveexec_b32 s40, s13
	s_cbranch_execz .LBB6_4640
.LBB6_4639:                             ;   in Loop: Header=BB6_3661 Depth=2
	v_and_b32_e32 v2, 3, v35
	v_lshrrev_b16 v30, 2, v35
	v_lshlrev_b32_e32 v49, 24, v35
	v_ffbh_u32_e32 v3, v2
	v_and_b32_e32 v30, 31, v30
	v_min_u32_e32 v3, 32, v3
	v_cmp_eq_u32_e32 vcc_lo, 0, v30
	v_subrev_nc_u32_e32 v38, 29, v3
	v_sub_nc_u32_e32 v3, 30, v3
	v_lshlrev_b32_e32 v38, v38, v35
	v_cndmask_b32_e32 v3, v30, v3, vcc_lo
	v_and_b32_e32 v30, 0x80000000, v49
	v_and_b32_e32 v38, 3, v38
	v_lshl_add_u32 v3, v3, 23, 0x37800000
	v_cndmask_b32_e32 v2, v2, v38, vcc_lo
	v_lshlrev_b32_e32 v2, 21, v2
	v_or3_b32 v38, v30, v3, v2
.LBB6_4640:                             ;   in Loop: Header=BB6_3661 Depth=2
	s_or_b32 exec_lo, exec_lo, s40
	s_waitcnt vmcnt(4) lgkmcnt(4)
	v_cmp_gt_i16_sdwa s40, v34, v57 src0_sel:BYTE_0 src1_sel:DWORD
	s_mov_b32 s13, 0
	s_and_saveexec_b32 s41, s40
	s_xor_b32 s40, exec_lo, s41
	s_cbranch_execz .LBB6_5029
; %bb.4641:                             ;   in Loop: Header=BB6_3661 Depth=2
	v_cmp_eq_u16_sdwa s42, v34, v58 src0_sel:BYTE_0 src1_sel:DWORD
	s_mov_b32 s13, -1
	s_and_saveexec_b32 s41, s42
; %bb.4642:                             ;   in Loop: Header=BB6_3661 Depth=2
	s_xor_b32 s13, exec_lo, -1
; %bb.4643:                             ;   in Loop: Header=BB6_3661 Depth=2
	s_or_b32 exec_lo, exec_lo, s41
	s_and_b32 s13, s13, exec_lo
	s_or_saveexec_b32 s40, s40
	v_mov_b32_e32 v2, 0x7f800001
	s_xor_b32 exec_lo, exec_lo, s40
	s_cbranch_execnz .LBB6_5030
.LBB6_4644:                             ;   in Loop: Header=BB6_3661 Depth=2
	s_or_b32 exec_lo, exec_lo, s40
	s_and_saveexec_b32 s40, s13
	s_cbranch_execz .LBB6_4646
.LBB6_4645:                             ;   in Loop: Header=BB6_3661 Depth=2
	v_and_b32_e32 v2, 3, v34
	v_lshrrev_b16 v30, 2, v34
	v_lshlrev_b32_e32 v98, 24, v34
	v_ffbh_u32_e32 v3, v2
	v_and_b32_e32 v30, 31, v30
	v_min_u32_e32 v3, 32, v3
	v_cmp_eq_u32_e32 vcc_lo, 0, v30
	v_subrev_nc_u32_e32 v49, 29, v3
	v_sub_nc_u32_e32 v3, 30, v3
	v_lshlrev_b32_e32 v49, v49, v34
	v_cndmask_b32_e32 v3, v30, v3, vcc_lo
	v_and_b32_e32 v30, 0x80000000, v98
	v_and_b32_e32 v49, 3, v49
	v_lshl_add_u32 v3, v3, 23, 0x37800000
	v_cndmask_b32_e32 v2, v2, v49, vcc_lo
	v_lshlrev_b32_e32 v2, 21, v2
	v_or3_b32 v2, v30, v3, v2
.LBB6_4646:                             ;   in Loop: Header=BB6_3661 Depth=2
	s_or_b32 exec_lo, exec_lo, s40
	v_max_f32_e32 v2, v2, v2
	v_max_f32_e32 v3, v38, v38
	s_mov_b32 s13, 0
	v_max_f32_e32 v38, v3, v2
.LBB6_4647:                             ;   in Loop: Header=BB6_3661 Depth=2
	s_and_b32 vcc_lo, exec_lo, s13
	s_cbranch_vccz .LBB6_4661
; %bb.4648:                             ;   in Loop: Header=BB6_3661 Depth=2
	v_cmp_gt_i16_sdwa s40, v35, v57 src0_sel:BYTE_0 src1_sel:DWORD
	s_mov_b32 s13, 0
	s_and_saveexec_b32 s41, s40
	s_xor_b32 s40, exec_lo, s41
	s_cbranch_execz .LBB6_5031
; %bb.4649:                             ;   in Loop: Header=BB6_3661 Depth=2
	v_cmp_eq_u16_sdwa s42, v35, v58 src0_sel:BYTE_0 src1_sel:DWORD
	s_mov_b32 s13, -1
	s_and_saveexec_b32 s41, s42
; %bb.4650:                             ;   in Loop: Header=BB6_3661 Depth=2
	s_xor_b32 s13, exec_lo, -1
; %bb.4651:                             ;   in Loop: Header=BB6_3661 Depth=2
	s_or_b32 exec_lo, exec_lo, s41
	s_and_b32 s13, s13, exec_lo
	s_or_saveexec_b32 s40, s40
	v_mov_b32_e32 v38, 0x7f800001
	s_xor_b32 exec_lo, exec_lo, s40
	s_cbranch_execnz .LBB6_5032
.LBB6_4652:                             ;   in Loop: Header=BB6_3661 Depth=2
	s_or_b32 exec_lo, exec_lo, s40
	s_and_saveexec_b32 s40, s13
	s_cbranch_execz .LBB6_4654
.LBB6_4653:                             ;   in Loop: Header=BB6_3661 Depth=2
	v_and_b32_e32 v2, 3, v35
	v_lshrrev_b16 v30, 2, v35
	v_ffbh_u32_e32 v3, v2
	v_and_b32_e32 v30, 31, v30
	v_min_u32_e32 v3, 32, v3
	v_cmp_eq_u32_e32 vcc_lo, 0, v30
	v_subrev_nc_u32_e32 v38, 29, v3
	v_sub_nc_u32_e32 v3, 30, v3
	v_lshlrev_b32_e32 v38, v38, v35
	v_lshlrev_b32_e32 v35, 24, v35
	v_cndmask_b32_e32 v3, v30, v3, vcc_lo
	v_and_b32_e32 v38, 3, v38
	v_and_b32_e32 v30, 0x80000000, v35
	v_lshl_add_u32 v3, v3, 23, 0x37800000
	v_cndmask_b32_e32 v2, v2, v38, vcc_lo
	v_lshlrev_b32_e32 v2, 21, v2
	v_or3_b32 v38, v30, v3, v2
.LBB6_4654:                             ;   in Loop: Header=BB6_3661 Depth=2
	s_or_b32 exec_lo, exec_lo, s40
	s_waitcnt vmcnt(4) lgkmcnt(4)
	v_cmp_gt_i16_sdwa s40, v34, v57 src0_sel:BYTE_0 src1_sel:DWORD
	s_mov_b32 s13, 0
	s_and_saveexec_b32 s41, s40
	s_xor_b32 s40, exec_lo, s41
	s_cbranch_execz .LBB6_5033
; %bb.4655:                             ;   in Loop: Header=BB6_3661 Depth=2
	v_cmp_eq_u16_sdwa s42, v34, v58 src0_sel:BYTE_0 src1_sel:DWORD
	s_mov_b32 s13, -1
	s_and_saveexec_b32 s41, s42
; %bb.4656:                             ;   in Loop: Header=BB6_3661 Depth=2
	s_xor_b32 s13, exec_lo, -1
; %bb.4657:                             ;   in Loop: Header=BB6_3661 Depth=2
	s_or_b32 exec_lo, exec_lo, s41
	s_and_b32 s13, s13, exec_lo
	s_or_saveexec_b32 s40, s40
	v_mov_b32_e32 v2, 0x7f800001
	s_xor_b32 exec_lo, exec_lo, s40
	s_cbranch_execnz .LBB6_5034
.LBB6_4658:                             ;   in Loop: Header=BB6_3661 Depth=2
	s_or_b32 exec_lo, exec_lo, s40
	s_and_saveexec_b32 s40, s13
	s_cbranch_execz .LBB6_4660
.LBB6_4659:                             ;   in Loop: Header=BB6_3661 Depth=2
	v_and_b32_e32 v2, 3, v34
	v_lshrrev_b16 v30, 2, v34
	v_ffbh_u32_e32 v3, v2
	v_and_b32_e32 v30, 31, v30
	v_min_u32_e32 v3, 32, v3
	v_cmp_eq_u32_e32 vcc_lo, 0, v30
	v_subrev_nc_u32_e32 v35, 29, v3
	v_sub_nc_u32_e32 v3, 30, v3
	v_lshlrev_b32_e32 v35, v35, v34
	v_lshlrev_b32_e32 v34, 24, v34
	v_cndmask_b32_e32 v3, v30, v3, vcc_lo
	v_and_b32_e32 v35, 3, v35
	v_and_b32_e32 v30, 0x80000000, v34
	v_lshl_add_u32 v3, v3, 23, 0x37800000
	v_cndmask_b32_e32 v2, v2, v35, vcc_lo
	v_lshlrev_b32_e32 v2, 21, v2
	v_or3_b32 v2, v30, v3, v2
.LBB6_4660:                             ;   in Loop: Header=BB6_3661 Depth=2
	s_or_b32 exec_lo, exec_lo, s40
	v_max_f32_e32 v2, v2, v2
	v_max_f32_e32 v3, v38, v38
	v_min_f32_e32 v38, v3, v2
.LBB6_4661:                             ;   in Loop: Header=BB6_3661 Depth=2
	v_and_b32_e32 v2, 0x7f800000, v38
	s_waitcnt vmcnt(4) lgkmcnt(4)
	v_mov_b32_e32 v34, 0x80
	s_mov_b32 s40, exec_lo
	v_cmpx_ne_u32_e32 0x7f800000, v2
	s_cbranch_execz .LBB6_4669
; %bb.4662:                             ;   in Loop: Header=BB6_3661 Depth=2
	v_mov_b32_e32 v34, 0
	s_mov_b32 s41, exec_lo
	v_cmpx_ne_u32_e32 0, v38
	s_cbranch_execz .LBB6_4668
; %bb.4663:                             ;   in Loop: Header=BB6_3661 Depth=2
	v_bfe_u32 v2, v38, 23, 8
	v_and_b32_e32 v3, 0x7fffff, v38
	v_sub_nc_u32_e32 v30, 0x70, v2
	v_cmp_gt_u32_e32 vcc_lo, 0x71, v2
	v_or_b32_e32 v34, 0x800000, v3
	v_cndmask_b32_e32 v30, 0, v30, vcc_lo
	v_cmp_eq_u32_e32 vcc_lo, 0, v2
	v_add_nc_u32_e32 v2, 0xffffff91, v2
	v_cndmask_b32_e64 v30, v30, 0x6f, vcc_lo
	v_cndmask_b32_e32 v3, v34, v3, vcc_lo
	v_cndmask_b32_e64 v2, v2, 0xffffff92, vcc_lo
	v_lshl_add_u32 v34, 0x200000, v30, -1
	v_lshrrev_b32_e32 v35, v30, v3
	v_lshlrev_b32_e64 v98, v30, 0x100000
	v_add_nc_u32_e32 v30, v30, v2
	v_and_b32_e32 v3, v34, v3
	v_bfe_u32 v49, v35, 21, 1
	v_cmp_eq_u32_e64 s13, v3, v98
	v_add_nc_u32_e32 v34, -1, v49
	v_cndmask_b32_e64 v3, 0, v34, s13
	v_lshrrev_b32_e32 v34, 23, v35
	s_mov_b32 s13, exec_lo
	v_add_nc_u32_e32 v3, v3, v35
	v_xor_b32_e32 v34, 1, v34
	v_and_b32_e32 v2, 0x1fffff, v3
	v_add_nc_u32_e32 v3, v2, v35
                                        ; implicit-def: $vgpr2
	v_cmpx_ne_u32_e64 v30, v34
	s_xor_b32 s13, exec_lo, s13
; %bb.4664:                             ;   in Loop: Header=BB6_3661 Depth=2
	v_cmp_lt_u32_e32 vcc_lo, 0xffffff, v3
	v_sub_nc_u32_e32 v2, v30, v34
	v_cndmask_b32_e64 v30, 0, 1, vcc_lo
	v_add_co_ci_u32_e64 v2, null, 0, v2, vcc_lo
	v_lshrrev_b32_e32 v3, v30, v3
; %bb.4665:                             ;   in Loop: Header=BB6_3661 Depth=2
	s_andn2_saveexec_b32 s13, s13
; %bb.4666:                             ;   in Loop: Header=BB6_3661 Depth=2
	v_bfe_u32 v2, v3, 23, 1
; %bb.4667:                             ;   in Loop: Header=BB6_3661 Depth=2
	s_or_b32 exec_lo, exec_lo, s13
	v_lshrrev_b32_e32 v3, 21, v3
	v_cmp_gt_i32_e32 vcc_lo, 32, v2
	v_min_i32_e32 v30, 31, v2
	v_and_b32_sdwa v34, v38, v58 dst_sel:DWORD dst_unused:UNUSED_PAD src0_sel:BYTE_3 src1_sel:DWORD
	v_cndmask_b32_e32 v3, 3, v3, vcc_lo
	v_lshlrev_b32_e32 v30, 2, v30
	v_and_b32_e32 v35, 3, v3
	v_or_b32_e32 v2, v2, v3
	v_or3_b32 v3, v30, v34, v35
	v_cmp_ne_u32_e32 vcc_lo, 0, v2
	v_cndmask_b32_e32 v34, 0, v3, vcc_lo
.LBB6_4668:                             ;   in Loop: Header=BB6_3661 Depth=2
	s_or_b32 exec_lo, exec_lo, s41
.LBB6_4669:                             ;   in Loop: Header=BB6_3661 Depth=2
	s_or_b32 exec_lo, exec_lo, s40
	v_cmp_gt_i16_sdwa s40, v32, v57 src0_sel:BYTE_0 src1_sel:DWORD
	s_andn2_b32 vcc_lo, exec_lo, s28
	s_mov_b32 s13, -1
                                        ; implicit-def: $vgpr35
	s_cbranch_vccnz .LBB6_4683
; %bb.4670:                             ;   in Loop: Header=BB6_3661 Depth=2
	s_mov_b32 s13, 0
	s_and_saveexec_b32 s41, s40
	s_xor_b32 s40, exec_lo, s41
	s_cbranch_execz .LBB6_5035
; %bb.4671:                             ;   in Loop: Header=BB6_3661 Depth=2
	v_cmp_eq_u16_sdwa s42, v32, v58 src0_sel:BYTE_0 src1_sel:DWORD
	s_mov_b32 s13, -1
	s_and_saveexec_b32 s41, s42
; %bb.4672:                             ;   in Loop: Header=BB6_3661 Depth=2
	s_xor_b32 s13, exec_lo, -1
; %bb.4673:                             ;   in Loop: Header=BB6_3661 Depth=2
	s_or_b32 exec_lo, exec_lo, s41
	s_and_b32 s13, s13, exec_lo
	s_or_saveexec_b32 s40, s40
	v_mov_b32_e32 v35, 0x7f800001
	s_xor_b32 exec_lo, exec_lo, s40
	s_cbranch_execnz .LBB6_5036
.LBB6_4674:                             ;   in Loop: Header=BB6_3661 Depth=2
	s_or_b32 exec_lo, exec_lo, s40
	s_and_saveexec_b32 s40, s13
	s_cbranch_execz .LBB6_4676
.LBB6_4675:                             ;   in Loop: Header=BB6_3661 Depth=2
	v_and_b32_e32 v2, 3, v32
	v_lshrrev_b16 v30, 2, v32
	v_lshlrev_b32_e32 v38, 24, v32
	v_ffbh_u32_e32 v3, v2
	v_and_b32_e32 v30, 31, v30
	v_min_u32_e32 v3, 32, v3
	v_cmp_eq_u32_e32 vcc_lo, 0, v30
	v_subrev_nc_u32_e32 v35, 29, v3
	v_sub_nc_u32_e32 v3, 30, v3
	v_lshlrev_b32_e32 v35, v35, v32
	v_cndmask_b32_e32 v3, v30, v3, vcc_lo
	v_and_b32_e32 v30, 0x80000000, v38
	v_and_b32_e32 v35, 3, v35
	v_lshl_add_u32 v3, v3, 23, 0x37800000
	v_cndmask_b32_e32 v2, v2, v35, vcc_lo
	v_lshlrev_b32_e32 v2, 21, v2
	v_or3_b32 v35, v30, v3, v2
.LBB6_4676:                             ;   in Loop: Header=BB6_3661 Depth=2
	s_or_b32 exec_lo, exec_lo, s40
	s_waitcnt vmcnt(3) lgkmcnt(3)
	v_cmp_gt_i16_sdwa s40, v29, v57 src0_sel:BYTE_0 src1_sel:DWORD
	s_mov_b32 s13, 0
	s_and_saveexec_b32 s41, s40
	s_xor_b32 s40, exec_lo, s41
	s_cbranch_execz .LBB6_5037
; %bb.4677:                             ;   in Loop: Header=BB6_3661 Depth=2
	v_cmp_eq_u16_sdwa s42, v29, v58 src0_sel:BYTE_0 src1_sel:DWORD
	s_mov_b32 s13, -1
	s_and_saveexec_b32 s41, s42
; %bb.4678:                             ;   in Loop: Header=BB6_3661 Depth=2
	s_xor_b32 s13, exec_lo, -1
; %bb.4679:                             ;   in Loop: Header=BB6_3661 Depth=2
	s_or_b32 exec_lo, exec_lo, s41
	s_and_b32 s13, s13, exec_lo
	s_or_saveexec_b32 s40, s40
	v_mov_b32_e32 v2, 0x7f800001
	s_xor_b32 exec_lo, exec_lo, s40
	s_cbranch_execnz .LBB6_5038
.LBB6_4680:                             ;   in Loop: Header=BB6_3661 Depth=2
	s_or_b32 exec_lo, exec_lo, s40
	s_and_saveexec_b32 s40, s13
	s_cbranch_execz .LBB6_4682
.LBB6_4681:                             ;   in Loop: Header=BB6_3661 Depth=2
	v_and_b32_e32 v2, 3, v29
	v_lshrrev_b16 v30, 2, v29
	v_lshlrev_b32_e32 v49, 24, v29
	v_ffbh_u32_e32 v3, v2
	v_and_b32_e32 v30, 31, v30
	v_min_u32_e32 v3, 32, v3
	v_cmp_eq_u32_e32 vcc_lo, 0, v30
	v_subrev_nc_u32_e32 v38, 29, v3
	v_sub_nc_u32_e32 v3, 30, v3
	v_lshlrev_b32_e32 v38, v38, v29
	v_cndmask_b32_e32 v3, v30, v3, vcc_lo
	v_and_b32_e32 v30, 0x80000000, v49
	v_and_b32_e32 v38, 3, v38
	v_lshl_add_u32 v3, v3, 23, 0x37800000
	v_cndmask_b32_e32 v2, v2, v38, vcc_lo
	v_lshlrev_b32_e32 v2, 21, v2
	v_or3_b32 v2, v30, v3, v2
.LBB6_4682:                             ;   in Loop: Header=BB6_3661 Depth=2
	s_or_b32 exec_lo, exec_lo, s40
	v_max_f32_e32 v2, v2, v2
	v_max_f32_e32 v3, v35, v35
	s_mov_b32 s13, 0
	v_max_f32_e32 v35, v3, v2
.LBB6_4683:                             ;   in Loop: Header=BB6_3661 Depth=2
	s_and_b32 vcc_lo, exec_lo, s13
	s_cbranch_vccz .LBB6_4697
; %bb.4684:                             ;   in Loop: Header=BB6_3661 Depth=2
	v_cmp_gt_i16_sdwa s40, v32, v57 src0_sel:BYTE_0 src1_sel:DWORD
	s_mov_b32 s13, 0
	s_and_saveexec_b32 s41, s40
	s_xor_b32 s40, exec_lo, s41
	s_cbranch_execz .LBB6_5039
; %bb.4685:                             ;   in Loop: Header=BB6_3661 Depth=2
	v_cmp_eq_u16_sdwa s42, v32, v58 src0_sel:BYTE_0 src1_sel:DWORD
	s_mov_b32 s13, -1
	s_and_saveexec_b32 s41, s42
; %bb.4686:                             ;   in Loop: Header=BB6_3661 Depth=2
	s_xor_b32 s13, exec_lo, -1
; %bb.4687:                             ;   in Loop: Header=BB6_3661 Depth=2
	s_or_b32 exec_lo, exec_lo, s41
	s_and_b32 s13, s13, exec_lo
	s_or_saveexec_b32 s40, s40
	v_mov_b32_e32 v35, 0x7f800001
	s_xor_b32 exec_lo, exec_lo, s40
	s_cbranch_execnz .LBB6_5040
.LBB6_4688:                             ;   in Loop: Header=BB6_3661 Depth=2
	s_or_b32 exec_lo, exec_lo, s40
	s_and_saveexec_b32 s40, s13
	s_cbranch_execz .LBB6_4690
.LBB6_4689:                             ;   in Loop: Header=BB6_3661 Depth=2
	v_and_b32_e32 v2, 3, v32
	v_lshrrev_b16 v30, 2, v32
	v_ffbh_u32_e32 v3, v2
	v_and_b32_e32 v30, 31, v30
	v_min_u32_e32 v3, 32, v3
	v_cmp_eq_u32_e32 vcc_lo, 0, v30
	v_subrev_nc_u32_e32 v35, 29, v3
	v_sub_nc_u32_e32 v3, 30, v3
	v_lshlrev_b32_e32 v35, v35, v32
	v_lshlrev_b32_e32 v32, 24, v32
	v_cndmask_b32_e32 v3, v30, v3, vcc_lo
	v_and_b32_e32 v35, 3, v35
	v_and_b32_e32 v30, 0x80000000, v32
	v_lshl_add_u32 v3, v3, 23, 0x37800000
	v_cndmask_b32_e32 v2, v2, v35, vcc_lo
	v_lshlrev_b32_e32 v2, 21, v2
	v_or3_b32 v35, v30, v3, v2
.LBB6_4690:                             ;   in Loop: Header=BB6_3661 Depth=2
	s_or_b32 exec_lo, exec_lo, s40
	s_waitcnt vmcnt(3) lgkmcnt(3)
	v_cmp_gt_i16_sdwa s40, v29, v57 src0_sel:BYTE_0 src1_sel:DWORD
	s_mov_b32 s13, 0
	s_and_saveexec_b32 s41, s40
	s_xor_b32 s40, exec_lo, s41
	s_cbranch_execz .LBB6_5041
; %bb.4691:                             ;   in Loop: Header=BB6_3661 Depth=2
	v_cmp_eq_u16_sdwa s42, v29, v58 src0_sel:BYTE_0 src1_sel:DWORD
	s_mov_b32 s13, -1
	s_and_saveexec_b32 s41, s42
; %bb.4692:                             ;   in Loop: Header=BB6_3661 Depth=2
	s_xor_b32 s13, exec_lo, -1
; %bb.4693:                             ;   in Loop: Header=BB6_3661 Depth=2
	s_or_b32 exec_lo, exec_lo, s41
	s_and_b32 s13, s13, exec_lo
	s_or_saveexec_b32 s40, s40
	v_mov_b32_e32 v2, 0x7f800001
	s_xor_b32 exec_lo, exec_lo, s40
	s_cbranch_execnz .LBB6_5042
.LBB6_4694:                             ;   in Loop: Header=BB6_3661 Depth=2
	s_or_b32 exec_lo, exec_lo, s40
	s_and_saveexec_b32 s40, s13
	s_cbranch_execz .LBB6_4696
.LBB6_4695:                             ;   in Loop: Header=BB6_3661 Depth=2
	v_and_b32_e32 v2, 3, v29
	v_lshrrev_b16 v30, 2, v29
	v_ffbh_u32_e32 v3, v2
	v_and_b32_e32 v30, 31, v30
	v_min_u32_e32 v3, 32, v3
	v_cmp_eq_u32_e32 vcc_lo, 0, v30
	v_subrev_nc_u32_e32 v32, 29, v3
	v_sub_nc_u32_e32 v3, 30, v3
	v_lshlrev_b32_e32 v32, v32, v29
	v_lshlrev_b32_e32 v29, 24, v29
	v_cndmask_b32_e32 v3, v30, v3, vcc_lo
	v_and_b32_e32 v32, 3, v32
	v_and_b32_e32 v29, 0x80000000, v29
	v_lshl_add_u32 v3, v3, 23, 0x37800000
	v_cndmask_b32_e32 v2, v2, v32, vcc_lo
	v_lshlrev_b32_e32 v2, 21, v2
	v_or3_b32 v2, v29, v3, v2
.LBB6_4696:                             ;   in Loop: Header=BB6_3661 Depth=2
	s_or_b32 exec_lo, exec_lo, s40
	v_max_f32_e32 v2, v2, v2
	v_max_f32_e32 v3, v35, v35
	v_min_f32_e32 v35, v3, v2
.LBB6_4697:                             ;   in Loop: Header=BB6_3661 Depth=2
	v_and_b32_e32 v2, 0x7f800000, v35
	s_waitcnt vmcnt(3) lgkmcnt(3)
	v_mov_b32_e32 v29, 0x80
	s_mov_b32 s40, exec_lo
	v_cmpx_ne_u32_e32 0x7f800000, v2
	s_cbranch_execz .LBB6_4705
; %bb.4698:                             ;   in Loop: Header=BB6_3661 Depth=2
	v_mov_b32_e32 v29, 0
	s_mov_b32 s41, exec_lo
	v_cmpx_ne_u32_e32 0, v35
	s_cbranch_execz .LBB6_4704
; %bb.4699:                             ;   in Loop: Header=BB6_3661 Depth=2
	v_bfe_u32 v2, v35, 23, 8
	v_and_b32_e32 v3, 0x7fffff, v35
	v_sub_nc_u32_e32 v29, 0x70, v2
	v_cmp_gt_u32_e32 vcc_lo, 0x71, v2
	v_or_b32_e32 v30, 0x800000, v3
	v_cndmask_b32_e32 v29, 0, v29, vcc_lo
	v_cmp_eq_u32_e32 vcc_lo, 0, v2
	v_add_nc_u32_e32 v2, 0xffffff91, v2
	v_cndmask_b32_e64 v29, v29, 0x6f, vcc_lo
	v_cndmask_b32_e32 v3, v30, v3, vcc_lo
	v_cndmask_b32_e64 v2, v2, 0xffffff92, vcc_lo
	v_lshl_add_u32 v30, 0x200000, v29, -1
	v_lshrrev_b32_e32 v32, v29, v3
	v_lshlrev_b32_e64 v49, v29, 0x100000
	v_add_nc_u32_e32 v29, v29, v2
	v_and_b32_e32 v3, v30, v3
	v_bfe_u32 v38, v32, 21, 1
	v_cmp_eq_u32_e64 s13, v3, v49
	v_add_nc_u32_e32 v30, -1, v38
	v_cndmask_b32_e64 v3, 0, v30, s13
	v_lshrrev_b32_e32 v30, 23, v32
	s_mov_b32 s13, exec_lo
	v_add_nc_u32_e32 v3, v3, v32
	v_xor_b32_e32 v30, 1, v30
	v_and_b32_e32 v2, 0x1fffff, v3
	v_add_nc_u32_e32 v3, v2, v32
                                        ; implicit-def: $vgpr2
	v_cmpx_ne_u32_e64 v29, v30
	s_xor_b32 s13, exec_lo, s13
; %bb.4700:                             ;   in Loop: Header=BB6_3661 Depth=2
	v_cmp_lt_u32_e32 vcc_lo, 0xffffff, v3
	v_sub_nc_u32_e32 v2, v29, v30
	v_cndmask_b32_e64 v29, 0, 1, vcc_lo
	v_add_co_ci_u32_e64 v2, null, 0, v2, vcc_lo
	v_lshrrev_b32_e32 v3, v29, v3
; %bb.4701:                             ;   in Loop: Header=BB6_3661 Depth=2
	s_andn2_saveexec_b32 s13, s13
; %bb.4702:                             ;   in Loop: Header=BB6_3661 Depth=2
	v_bfe_u32 v2, v3, 23, 1
; %bb.4703:                             ;   in Loop: Header=BB6_3661 Depth=2
	s_or_b32 exec_lo, exec_lo, s13
	v_lshrrev_b32_e32 v3, 21, v3
	v_cmp_gt_i32_e32 vcc_lo, 32, v2
	v_min_i32_e32 v29, 31, v2
	v_and_b32_sdwa v30, v35, v58 dst_sel:DWORD dst_unused:UNUSED_PAD src0_sel:BYTE_3 src1_sel:DWORD
	v_cndmask_b32_e32 v3, 3, v3, vcc_lo
	v_lshlrev_b32_e32 v29, 2, v29
	v_and_b32_e32 v32, 3, v3
	v_or_b32_e32 v2, v2, v3
	v_or3_b32 v3, v29, v30, v32
	v_cmp_ne_u32_e32 vcc_lo, 0, v2
	v_cndmask_b32_e32 v29, 0, v3, vcc_lo
.LBB6_4704:                             ;   in Loop: Header=BB6_3661 Depth=2
	s_or_b32 exec_lo, exec_lo, s41
.LBB6_4705:                             ;   in Loop: Header=BB6_3661 Depth=2
	s_or_b32 exec_lo, exec_lo, s40
	v_cmp_gt_i16_sdwa s40, v28, v57 src0_sel:BYTE_0 src1_sel:DWORD
	s_andn2_b32 vcc_lo, exec_lo, s28
	s_mov_b32 s13, -1
                                        ; implicit-def: $vgpr32
	s_cbranch_vccnz .LBB6_4719
; %bb.4706:                             ;   in Loop: Header=BB6_3661 Depth=2
	s_mov_b32 s13, 0
	s_and_saveexec_b32 s41, s40
	s_xor_b32 s40, exec_lo, s41
	s_cbranch_execz .LBB6_5043
; %bb.4707:                             ;   in Loop: Header=BB6_3661 Depth=2
	v_cmp_eq_u16_sdwa s42, v28, v58 src0_sel:BYTE_0 src1_sel:DWORD
	s_mov_b32 s13, -1
	s_and_saveexec_b32 s41, s42
; %bb.4708:                             ;   in Loop: Header=BB6_3661 Depth=2
	s_xor_b32 s13, exec_lo, -1
; %bb.4709:                             ;   in Loop: Header=BB6_3661 Depth=2
	s_or_b32 exec_lo, exec_lo, s41
	s_and_b32 s13, s13, exec_lo
	s_or_saveexec_b32 s40, s40
	v_mov_b32_e32 v32, 0x7f800001
	s_xor_b32 exec_lo, exec_lo, s40
	s_cbranch_execnz .LBB6_5044
.LBB6_4710:                             ;   in Loop: Header=BB6_3661 Depth=2
	s_or_b32 exec_lo, exec_lo, s40
	s_and_saveexec_b32 s40, s13
	s_cbranch_execz .LBB6_4712
.LBB6_4711:                             ;   in Loop: Header=BB6_3661 Depth=2
	v_and_b32_e32 v2, 3, v28
	v_lshrrev_b16 v30, 2, v28
	v_lshlrev_b32_e32 v35, 24, v28
	v_ffbh_u32_e32 v3, v2
	v_and_b32_e32 v30, 31, v30
	v_min_u32_e32 v3, 32, v3
	v_cmp_eq_u32_e32 vcc_lo, 0, v30
	v_subrev_nc_u32_e32 v32, 29, v3
	v_sub_nc_u32_e32 v3, 30, v3
	v_lshlrev_b32_e32 v32, v32, v28
	v_cndmask_b32_e32 v3, v30, v3, vcc_lo
	v_and_b32_e32 v30, 0x80000000, v35
	v_and_b32_e32 v32, 3, v32
	v_lshl_add_u32 v3, v3, 23, 0x37800000
	v_cndmask_b32_e32 v2, v2, v32, vcc_lo
	v_lshlrev_b32_e32 v2, 21, v2
	v_or3_b32 v32, v30, v3, v2
.LBB6_4712:                             ;   in Loop: Header=BB6_3661 Depth=2
	s_or_b32 exec_lo, exec_lo, s40
	s_waitcnt vmcnt(2) lgkmcnt(2)
	v_cmp_gt_i16_sdwa s40, v26, v57 src0_sel:BYTE_0 src1_sel:DWORD
	s_mov_b32 s13, 0
	s_and_saveexec_b32 s41, s40
	s_xor_b32 s40, exec_lo, s41
	s_cbranch_execz .LBB6_5045
; %bb.4713:                             ;   in Loop: Header=BB6_3661 Depth=2
	v_cmp_eq_u16_sdwa s42, v26, v58 src0_sel:BYTE_0 src1_sel:DWORD
	s_mov_b32 s13, -1
	s_and_saveexec_b32 s41, s42
; %bb.4714:                             ;   in Loop: Header=BB6_3661 Depth=2
	s_xor_b32 s13, exec_lo, -1
; %bb.4715:                             ;   in Loop: Header=BB6_3661 Depth=2
	s_or_b32 exec_lo, exec_lo, s41
	s_and_b32 s13, s13, exec_lo
	s_or_saveexec_b32 s40, s40
	v_mov_b32_e32 v2, 0x7f800001
	s_xor_b32 exec_lo, exec_lo, s40
	s_cbranch_execnz .LBB6_5046
.LBB6_4716:                             ;   in Loop: Header=BB6_3661 Depth=2
	s_or_b32 exec_lo, exec_lo, s40
	s_and_saveexec_b32 s40, s13
	s_cbranch_execz .LBB6_4718
.LBB6_4717:                             ;   in Loop: Header=BB6_3661 Depth=2
	v_and_b32_e32 v2, 3, v26
	v_lshrrev_b16 v30, 2, v26
	v_lshlrev_b32_e32 v38, 24, v26
	v_ffbh_u32_e32 v3, v2
	v_and_b32_e32 v30, 31, v30
	v_min_u32_e32 v3, 32, v3
	v_cmp_eq_u32_e32 vcc_lo, 0, v30
	v_subrev_nc_u32_e32 v35, 29, v3
	v_sub_nc_u32_e32 v3, 30, v3
	v_lshlrev_b32_e32 v35, v35, v26
	v_cndmask_b32_e32 v3, v30, v3, vcc_lo
	v_and_b32_e32 v30, 0x80000000, v38
	v_and_b32_e32 v35, 3, v35
	v_lshl_add_u32 v3, v3, 23, 0x37800000
	v_cndmask_b32_e32 v2, v2, v35, vcc_lo
	v_lshlrev_b32_e32 v2, 21, v2
	v_or3_b32 v2, v30, v3, v2
.LBB6_4718:                             ;   in Loop: Header=BB6_3661 Depth=2
	s_or_b32 exec_lo, exec_lo, s40
	v_max_f32_e32 v2, v2, v2
	v_max_f32_e32 v3, v32, v32
	s_mov_b32 s13, 0
	v_max_f32_e32 v32, v3, v2
.LBB6_4719:                             ;   in Loop: Header=BB6_3661 Depth=2
	s_and_b32 vcc_lo, exec_lo, s13
	s_cbranch_vccz .LBB6_4733
; %bb.4720:                             ;   in Loop: Header=BB6_3661 Depth=2
	v_cmp_gt_i16_sdwa s40, v28, v57 src0_sel:BYTE_0 src1_sel:DWORD
	s_mov_b32 s13, 0
	s_and_saveexec_b32 s41, s40
	s_xor_b32 s40, exec_lo, s41
	s_cbranch_execz .LBB6_5047
; %bb.4721:                             ;   in Loop: Header=BB6_3661 Depth=2
	v_cmp_eq_u16_sdwa s42, v28, v58 src0_sel:BYTE_0 src1_sel:DWORD
	s_mov_b32 s13, -1
	s_and_saveexec_b32 s41, s42
; %bb.4722:                             ;   in Loop: Header=BB6_3661 Depth=2
	s_xor_b32 s13, exec_lo, -1
; %bb.4723:                             ;   in Loop: Header=BB6_3661 Depth=2
	s_or_b32 exec_lo, exec_lo, s41
	s_and_b32 s13, s13, exec_lo
	s_or_saveexec_b32 s40, s40
	v_mov_b32_e32 v32, 0x7f800001
	s_xor_b32 exec_lo, exec_lo, s40
	s_cbranch_execnz .LBB6_5048
.LBB6_4724:                             ;   in Loop: Header=BB6_3661 Depth=2
	s_or_b32 exec_lo, exec_lo, s40
	s_and_saveexec_b32 s40, s13
	s_cbranch_execz .LBB6_4726
.LBB6_4725:                             ;   in Loop: Header=BB6_3661 Depth=2
	v_and_b32_e32 v2, 3, v28
	v_lshrrev_b16 v30, 2, v28
	v_ffbh_u32_e32 v3, v2
	v_and_b32_e32 v30, 31, v30
	v_min_u32_e32 v3, 32, v3
	v_cmp_eq_u32_e32 vcc_lo, 0, v30
	v_subrev_nc_u32_e32 v32, 29, v3
	v_sub_nc_u32_e32 v3, 30, v3
	v_lshlrev_b32_e32 v32, v32, v28
	v_lshlrev_b32_e32 v28, 24, v28
	v_cndmask_b32_e32 v3, v30, v3, vcc_lo
	v_and_b32_e32 v32, 3, v32
	v_and_b32_e32 v28, 0x80000000, v28
	v_lshl_add_u32 v3, v3, 23, 0x37800000
	v_cndmask_b32_e32 v2, v2, v32, vcc_lo
	v_lshlrev_b32_e32 v2, 21, v2
	v_or3_b32 v32, v28, v3, v2
.LBB6_4726:                             ;   in Loop: Header=BB6_3661 Depth=2
	s_or_b32 exec_lo, exec_lo, s40
	s_waitcnt vmcnt(2) lgkmcnt(2)
	v_cmp_gt_i16_sdwa s40, v26, v57 src0_sel:BYTE_0 src1_sel:DWORD
	s_mov_b32 s13, 0
	s_and_saveexec_b32 s41, s40
	s_xor_b32 s40, exec_lo, s41
	s_cbranch_execz .LBB6_5049
; %bb.4727:                             ;   in Loop: Header=BB6_3661 Depth=2
	v_cmp_eq_u16_sdwa s42, v26, v58 src0_sel:BYTE_0 src1_sel:DWORD
	s_mov_b32 s13, -1
	s_and_saveexec_b32 s41, s42
; %bb.4728:                             ;   in Loop: Header=BB6_3661 Depth=2
	s_xor_b32 s13, exec_lo, -1
; %bb.4729:                             ;   in Loop: Header=BB6_3661 Depth=2
	s_or_b32 exec_lo, exec_lo, s41
	s_and_b32 s13, s13, exec_lo
	s_or_saveexec_b32 s40, s40
	v_mov_b32_e32 v2, 0x7f800001
	s_xor_b32 exec_lo, exec_lo, s40
	s_cbranch_execnz .LBB6_5050
.LBB6_4730:                             ;   in Loop: Header=BB6_3661 Depth=2
	s_or_b32 exec_lo, exec_lo, s40
	s_and_saveexec_b32 s40, s13
	s_cbranch_execz .LBB6_4732
.LBB6_4731:                             ;   in Loop: Header=BB6_3661 Depth=2
	v_and_b32_e32 v2, 3, v26
	v_lshrrev_b16 v28, 2, v26
	v_ffbh_u32_e32 v3, v2
	v_and_b32_e32 v28, 31, v28
	v_min_u32_e32 v3, 32, v3
	v_cmp_eq_u32_e32 vcc_lo, 0, v28
	v_subrev_nc_u32_e32 v30, 29, v3
	v_sub_nc_u32_e32 v3, 30, v3
	v_lshlrev_b32_e32 v30, v30, v26
	v_lshlrev_b32_e32 v26, 24, v26
	v_cndmask_b32_e32 v3, v28, v3, vcc_lo
	v_and_b32_e32 v30, 3, v30
	v_and_b32_e32 v26, 0x80000000, v26
	v_lshl_add_u32 v3, v3, 23, 0x37800000
	v_cndmask_b32_e32 v2, v2, v30, vcc_lo
	v_lshlrev_b32_e32 v2, 21, v2
	v_or3_b32 v2, v26, v3, v2
.LBB6_4732:                             ;   in Loop: Header=BB6_3661 Depth=2
	s_or_b32 exec_lo, exec_lo, s40
	v_max_f32_e32 v2, v2, v2
	v_max_f32_e32 v3, v32, v32
	v_min_f32_e32 v32, v3, v2
.LBB6_4733:                             ;   in Loop: Header=BB6_3661 Depth=2
	v_and_b32_e32 v2, 0x7f800000, v32
	s_waitcnt vmcnt(2) lgkmcnt(2)
	v_mov_b32_e32 v26, 0x80
	s_mov_b32 s40, exec_lo
	v_cmpx_ne_u32_e32 0x7f800000, v2
	s_cbranch_execz .LBB6_4741
; %bb.4734:                             ;   in Loop: Header=BB6_3661 Depth=2
	v_mov_b32_e32 v26, 0
	s_mov_b32 s41, exec_lo
	v_cmpx_ne_u32_e32 0, v32
	s_cbranch_execz .LBB6_4740
; %bb.4735:                             ;   in Loop: Header=BB6_3661 Depth=2
	v_bfe_u32 v2, v32, 23, 8
	v_and_b32_e32 v3, 0x7fffff, v32
	v_sub_nc_u32_e32 v26, 0x70, v2
	v_cmp_gt_u32_e32 vcc_lo, 0x71, v2
	v_or_b32_e32 v28, 0x800000, v3
	v_cndmask_b32_e32 v26, 0, v26, vcc_lo
	v_cmp_eq_u32_e32 vcc_lo, 0, v2
	v_add_nc_u32_e32 v2, 0xffffff91, v2
	v_cndmask_b32_e64 v26, v26, 0x6f, vcc_lo
	v_cndmask_b32_e32 v3, v28, v3, vcc_lo
	v_cndmask_b32_e64 v2, v2, 0xffffff92, vcc_lo
	v_lshl_add_u32 v28, 0x200000, v26, -1
	v_lshrrev_b32_e32 v30, v26, v3
	v_lshlrev_b32_e64 v38, v26, 0x100000
	v_add_nc_u32_e32 v26, v26, v2
	v_and_b32_e32 v3, v28, v3
	v_bfe_u32 v35, v30, 21, 1
	v_cmp_eq_u32_e64 s13, v3, v38
	v_add_nc_u32_e32 v28, -1, v35
	v_cndmask_b32_e64 v3, 0, v28, s13
	v_lshrrev_b32_e32 v28, 23, v30
	s_mov_b32 s13, exec_lo
	v_add_nc_u32_e32 v3, v3, v30
	v_xor_b32_e32 v28, 1, v28
	v_and_b32_e32 v2, 0x1fffff, v3
	v_add_nc_u32_e32 v3, v2, v30
                                        ; implicit-def: $vgpr2
	v_cmpx_ne_u32_e64 v26, v28
	s_xor_b32 s13, exec_lo, s13
; %bb.4736:                             ;   in Loop: Header=BB6_3661 Depth=2
	v_cmp_lt_u32_e32 vcc_lo, 0xffffff, v3
	v_sub_nc_u32_e32 v2, v26, v28
	v_cndmask_b32_e64 v26, 0, 1, vcc_lo
	v_add_co_ci_u32_e64 v2, null, 0, v2, vcc_lo
	v_lshrrev_b32_e32 v3, v26, v3
; %bb.4737:                             ;   in Loop: Header=BB6_3661 Depth=2
	s_andn2_saveexec_b32 s13, s13
; %bb.4738:                             ;   in Loop: Header=BB6_3661 Depth=2
	v_bfe_u32 v2, v3, 23, 1
; %bb.4739:                             ;   in Loop: Header=BB6_3661 Depth=2
	s_or_b32 exec_lo, exec_lo, s13
	v_lshrrev_b32_e32 v3, 21, v3
	v_cmp_gt_i32_e32 vcc_lo, 32, v2
	v_min_i32_e32 v26, 31, v2
	v_and_b32_sdwa v28, v32, v58 dst_sel:DWORD dst_unused:UNUSED_PAD src0_sel:BYTE_3 src1_sel:DWORD
	v_cndmask_b32_e32 v3, 3, v3, vcc_lo
	v_lshlrev_b32_e32 v26, 2, v26
	v_and_b32_e32 v30, 3, v3
	v_or_b32_e32 v2, v2, v3
	v_or3_b32 v3, v26, v28, v30
	v_cmp_ne_u32_e32 vcc_lo, 0, v2
	v_cndmask_b32_e32 v26, 0, v3, vcc_lo
.LBB6_4740:                             ;   in Loop: Header=BB6_3661 Depth=2
	s_or_b32 exec_lo, exec_lo, s41
.LBB6_4741:                             ;   in Loop: Header=BB6_3661 Depth=2
	s_or_b32 exec_lo, exec_lo, s40
	v_cmp_gt_i16_sdwa s40, v25, v57 src0_sel:BYTE_0 src1_sel:DWORD
	s_andn2_b32 vcc_lo, exec_lo, s28
	s_mov_b32 s13, -1
                                        ; implicit-def: $vgpr28
	s_cbranch_vccnz .LBB6_4755
; %bb.4742:                             ;   in Loop: Header=BB6_3661 Depth=2
	s_mov_b32 s13, 0
	s_and_saveexec_b32 s41, s40
	s_xor_b32 s40, exec_lo, s41
	s_cbranch_execz .LBB6_5051
; %bb.4743:                             ;   in Loop: Header=BB6_3661 Depth=2
	v_cmp_eq_u16_sdwa s42, v25, v58 src0_sel:BYTE_0 src1_sel:DWORD
	s_mov_b32 s13, -1
	s_and_saveexec_b32 s41, s42
; %bb.4744:                             ;   in Loop: Header=BB6_3661 Depth=2
	s_xor_b32 s13, exec_lo, -1
; %bb.4745:                             ;   in Loop: Header=BB6_3661 Depth=2
	s_or_b32 exec_lo, exec_lo, s41
	s_and_b32 s13, s13, exec_lo
	s_or_saveexec_b32 s40, s40
	v_mov_b32_e32 v28, 0x7f800001
	s_xor_b32 exec_lo, exec_lo, s40
	s_cbranch_execnz .LBB6_5052
.LBB6_4746:                             ;   in Loop: Header=BB6_3661 Depth=2
	s_or_b32 exec_lo, exec_lo, s40
	s_and_saveexec_b32 s40, s13
	s_cbranch_execz .LBB6_4748
.LBB6_4747:                             ;   in Loop: Header=BB6_3661 Depth=2
	v_and_b32_e32 v2, 3, v25
	v_lshrrev_b16 v28, 2, v25
	v_lshlrev_b32_e32 v32, 24, v25
	v_ffbh_u32_e32 v3, v2
	v_and_b32_e32 v28, 31, v28
	v_min_u32_e32 v3, 32, v3
	v_cmp_eq_u32_e32 vcc_lo, 0, v28
	v_subrev_nc_u32_e32 v30, 29, v3
	v_sub_nc_u32_e32 v3, 30, v3
	v_lshlrev_b32_e32 v30, v30, v25
	v_cndmask_b32_e32 v3, v28, v3, vcc_lo
	v_and_b32_e32 v28, 0x80000000, v32
	v_and_b32_e32 v30, 3, v30
	v_lshl_add_u32 v3, v3, 23, 0x37800000
	v_cndmask_b32_e32 v2, v2, v30, vcc_lo
	v_lshlrev_b32_e32 v2, 21, v2
	v_or3_b32 v28, v28, v3, v2
.LBB6_4748:                             ;   in Loop: Header=BB6_3661 Depth=2
	s_or_b32 exec_lo, exec_lo, s40
	s_waitcnt vmcnt(1) lgkmcnt(1)
	v_cmp_gt_i16_sdwa s40, v24, v57 src0_sel:BYTE_0 src1_sel:DWORD
	s_mov_b32 s13, 0
	s_and_saveexec_b32 s41, s40
	s_xor_b32 s40, exec_lo, s41
	s_cbranch_execz .LBB6_5053
; %bb.4749:                             ;   in Loop: Header=BB6_3661 Depth=2
	v_cmp_eq_u16_sdwa s42, v24, v58 src0_sel:BYTE_0 src1_sel:DWORD
	s_mov_b32 s13, -1
	s_and_saveexec_b32 s41, s42
; %bb.4750:                             ;   in Loop: Header=BB6_3661 Depth=2
	s_xor_b32 s13, exec_lo, -1
; %bb.4751:                             ;   in Loop: Header=BB6_3661 Depth=2
	s_or_b32 exec_lo, exec_lo, s41
	s_and_b32 s13, s13, exec_lo
	s_or_saveexec_b32 s40, s40
	v_mov_b32_e32 v2, 0x7f800001
	s_xor_b32 exec_lo, exec_lo, s40
	s_cbranch_execnz .LBB6_5054
.LBB6_4752:                             ;   in Loop: Header=BB6_3661 Depth=2
	s_or_b32 exec_lo, exec_lo, s40
	s_and_saveexec_b32 s40, s13
	s_cbranch_execz .LBB6_4754
.LBB6_4753:                             ;   in Loop: Header=BB6_3661 Depth=2
	v_and_b32_e32 v2, 3, v24
	v_lshrrev_b16 v30, 2, v24
	v_lshlrev_b32_e32 v35, 24, v24
	v_ffbh_u32_e32 v3, v2
	v_and_b32_e32 v30, 31, v30
	v_min_u32_e32 v3, 32, v3
	v_cmp_eq_u32_e32 vcc_lo, 0, v30
	v_subrev_nc_u32_e32 v32, 29, v3
	v_sub_nc_u32_e32 v3, 30, v3
	v_lshlrev_b32_e32 v32, v32, v24
	v_cndmask_b32_e32 v3, v30, v3, vcc_lo
	v_and_b32_e32 v30, 0x80000000, v35
	v_and_b32_e32 v32, 3, v32
	v_lshl_add_u32 v3, v3, 23, 0x37800000
	v_cndmask_b32_e32 v2, v2, v32, vcc_lo
	v_lshlrev_b32_e32 v2, 21, v2
	v_or3_b32 v2, v30, v3, v2
.LBB6_4754:                             ;   in Loop: Header=BB6_3661 Depth=2
	s_or_b32 exec_lo, exec_lo, s40
	v_max_f32_e32 v2, v2, v2
	v_max_f32_e32 v3, v28, v28
	s_mov_b32 s13, 0
	v_max_f32_e32 v28, v3, v2
.LBB6_4755:                             ;   in Loop: Header=BB6_3661 Depth=2
	s_and_b32 vcc_lo, exec_lo, s13
	s_cbranch_vccz .LBB6_4769
; %bb.4756:                             ;   in Loop: Header=BB6_3661 Depth=2
	v_cmp_gt_i16_sdwa s40, v25, v57 src0_sel:BYTE_0 src1_sel:DWORD
	s_mov_b32 s13, 0
	s_and_saveexec_b32 s41, s40
	s_xor_b32 s40, exec_lo, s41
	s_cbranch_execz .LBB6_5055
; %bb.4757:                             ;   in Loop: Header=BB6_3661 Depth=2
	v_cmp_eq_u16_sdwa s42, v25, v58 src0_sel:BYTE_0 src1_sel:DWORD
	s_mov_b32 s13, -1
	s_and_saveexec_b32 s41, s42
; %bb.4758:                             ;   in Loop: Header=BB6_3661 Depth=2
	s_xor_b32 s13, exec_lo, -1
; %bb.4759:                             ;   in Loop: Header=BB6_3661 Depth=2
	s_or_b32 exec_lo, exec_lo, s41
	s_and_b32 s13, s13, exec_lo
	s_or_saveexec_b32 s40, s40
	v_mov_b32_e32 v28, 0x7f800001
	s_xor_b32 exec_lo, exec_lo, s40
	s_cbranch_execnz .LBB6_5056
.LBB6_4760:                             ;   in Loop: Header=BB6_3661 Depth=2
	s_or_b32 exec_lo, exec_lo, s40
	s_and_saveexec_b32 s40, s13
	s_cbranch_execz .LBB6_4762
.LBB6_4761:                             ;   in Loop: Header=BB6_3661 Depth=2
	v_and_b32_e32 v2, 3, v25
	v_lshrrev_b16 v28, 2, v25
	v_ffbh_u32_e32 v3, v2
	v_and_b32_e32 v28, 31, v28
	v_min_u32_e32 v3, 32, v3
	v_cmp_eq_u32_e32 vcc_lo, 0, v28
	v_subrev_nc_u32_e32 v30, 29, v3
	v_sub_nc_u32_e32 v3, 30, v3
	v_lshlrev_b32_e32 v30, v30, v25
	v_lshlrev_b32_e32 v25, 24, v25
	v_cndmask_b32_e32 v3, v28, v3, vcc_lo
	v_and_b32_e32 v30, 3, v30
	v_and_b32_e32 v25, 0x80000000, v25
	v_lshl_add_u32 v3, v3, 23, 0x37800000
	v_cndmask_b32_e32 v2, v2, v30, vcc_lo
	v_lshlrev_b32_e32 v2, 21, v2
	v_or3_b32 v28, v25, v3, v2
.LBB6_4762:                             ;   in Loop: Header=BB6_3661 Depth=2
	s_or_b32 exec_lo, exec_lo, s40
	s_waitcnt vmcnt(1) lgkmcnt(1)
	v_cmp_gt_i16_sdwa s40, v24, v57 src0_sel:BYTE_0 src1_sel:DWORD
	s_mov_b32 s13, 0
	s_and_saveexec_b32 s41, s40
	s_xor_b32 s40, exec_lo, s41
	s_cbranch_execz .LBB6_5057
; %bb.4763:                             ;   in Loop: Header=BB6_3661 Depth=2
	v_cmp_eq_u16_sdwa s42, v24, v58 src0_sel:BYTE_0 src1_sel:DWORD
	s_mov_b32 s13, -1
	s_and_saveexec_b32 s41, s42
; %bb.4764:                             ;   in Loop: Header=BB6_3661 Depth=2
	s_xor_b32 s13, exec_lo, -1
; %bb.4765:                             ;   in Loop: Header=BB6_3661 Depth=2
	s_or_b32 exec_lo, exec_lo, s41
	s_and_b32 s13, s13, exec_lo
	s_or_saveexec_b32 s40, s40
	v_mov_b32_e32 v2, 0x7f800001
	s_xor_b32 exec_lo, exec_lo, s40
	s_cbranch_execnz .LBB6_5058
.LBB6_4766:                             ;   in Loop: Header=BB6_3661 Depth=2
	s_or_b32 exec_lo, exec_lo, s40
	s_and_saveexec_b32 s40, s13
	s_cbranch_execz .LBB6_4768
.LBB6_4767:                             ;   in Loop: Header=BB6_3661 Depth=2
	v_and_b32_e32 v2, 3, v24
	v_lshrrev_b16 v25, 2, v24
	v_ffbh_u32_e32 v3, v2
	v_and_b32_e32 v25, 31, v25
	v_min_u32_e32 v3, 32, v3
	v_cmp_eq_u32_e32 vcc_lo, 0, v25
	v_subrev_nc_u32_e32 v30, 29, v3
	v_sub_nc_u32_e32 v3, 30, v3
	v_lshlrev_b32_e32 v30, v30, v24
	v_lshlrev_b32_e32 v24, 24, v24
	v_cndmask_b32_e32 v3, v25, v3, vcc_lo
	v_and_b32_e32 v30, 3, v30
	v_and_b32_e32 v24, 0x80000000, v24
	v_lshl_add_u32 v3, v3, 23, 0x37800000
	v_cndmask_b32_e32 v2, v2, v30, vcc_lo
	v_lshlrev_b32_e32 v2, 21, v2
	v_or3_b32 v2, v24, v3, v2
.LBB6_4768:                             ;   in Loop: Header=BB6_3661 Depth=2
	s_or_b32 exec_lo, exec_lo, s40
	v_max_f32_e32 v2, v2, v2
	v_max_f32_e32 v3, v28, v28
	v_min_f32_e32 v28, v3, v2
.LBB6_4769:                             ;   in Loop: Header=BB6_3661 Depth=2
	v_and_b32_e32 v2, 0x7f800000, v28
	s_waitcnt vmcnt(1) lgkmcnt(1)
	v_mov_b32_e32 v24, 0x80
	s_mov_b32 s40, exec_lo
	v_cmpx_ne_u32_e32 0x7f800000, v2
	s_cbranch_execz .LBB6_4777
; %bb.4770:                             ;   in Loop: Header=BB6_3661 Depth=2
	v_mov_b32_e32 v24, 0
	s_mov_b32 s41, exec_lo
	v_cmpx_ne_u32_e32 0, v28
	s_cbranch_execz .LBB6_4776
; %bb.4771:                             ;   in Loop: Header=BB6_3661 Depth=2
	v_bfe_u32 v2, v28, 23, 8
	v_and_b32_e32 v3, 0x7fffff, v28
	v_sub_nc_u32_e32 v24, 0x70, v2
	v_cmp_gt_u32_e32 vcc_lo, 0x71, v2
	v_or_b32_e32 v25, 0x800000, v3
	v_cndmask_b32_e32 v24, 0, v24, vcc_lo
	v_cmp_eq_u32_e32 vcc_lo, 0, v2
	v_add_nc_u32_e32 v2, 0xffffff91, v2
	v_cndmask_b32_e64 v24, v24, 0x6f, vcc_lo
	v_cndmask_b32_e32 v3, v25, v3, vcc_lo
	v_cndmask_b32_e64 v2, v2, 0xffffff92, vcc_lo
	v_lshl_add_u32 v25, 0x200000, v24, -1
	v_lshrrev_b32_e32 v30, v24, v3
	v_lshlrev_b32_e64 v35, v24, 0x100000
	v_add_nc_u32_e32 v24, v24, v2
	v_and_b32_e32 v3, v25, v3
	v_bfe_u32 v32, v30, 21, 1
	v_cmp_eq_u32_e64 s13, v3, v35
	v_add_nc_u32_e32 v25, -1, v32
	v_cndmask_b32_e64 v3, 0, v25, s13
	v_lshrrev_b32_e32 v25, 23, v30
	s_mov_b32 s13, exec_lo
	v_add_nc_u32_e32 v3, v3, v30
	v_xor_b32_e32 v25, 1, v25
	v_and_b32_e32 v2, 0x1fffff, v3
	v_add_nc_u32_e32 v3, v2, v30
                                        ; implicit-def: $vgpr2
	v_cmpx_ne_u32_e64 v24, v25
	s_xor_b32 s13, exec_lo, s13
; %bb.4772:                             ;   in Loop: Header=BB6_3661 Depth=2
	v_cmp_lt_u32_e32 vcc_lo, 0xffffff, v3
	v_sub_nc_u32_e32 v2, v24, v25
	v_cndmask_b32_e64 v24, 0, 1, vcc_lo
	v_add_co_ci_u32_e64 v2, null, 0, v2, vcc_lo
	v_lshrrev_b32_e32 v3, v24, v3
; %bb.4773:                             ;   in Loop: Header=BB6_3661 Depth=2
	s_andn2_saveexec_b32 s13, s13
; %bb.4774:                             ;   in Loop: Header=BB6_3661 Depth=2
	v_bfe_u32 v2, v3, 23, 1
; %bb.4775:                             ;   in Loop: Header=BB6_3661 Depth=2
	s_or_b32 exec_lo, exec_lo, s13
	v_lshrrev_b32_e32 v3, 21, v3
	v_cmp_gt_i32_e32 vcc_lo, 32, v2
	v_min_i32_e32 v24, 31, v2
	v_and_b32_sdwa v25, v28, v58 dst_sel:DWORD dst_unused:UNUSED_PAD src0_sel:BYTE_3 src1_sel:DWORD
	v_cndmask_b32_e32 v3, 3, v3, vcc_lo
	v_lshlrev_b32_e32 v24, 2, v24
	v_and_b32_e32 v28, 3, v3
	v_or_b32_e32 v2, v2, v3
	v_or3_b32 v3, v24, v25, v28
	v_cmp_ne_u32_e32 vcc_lo, 0, v2
	v_cndmask_b32_e32 v24, 0, v3, vcc_lo
.LBB6_4776:                             ;   in Loop: Header=BB6_3661 Depth=2
	s_or_b32 exec_lo, exec_lo, s41
.LBB6_4777:                             ;   in Loop: Header=BB6_3661 Depth=2
	s_or_b32 exec_lo, exec_lo, s40
	v_cmp_gt_i16_sdwa s40, v22, v57 src0_sel:BYTE_0 src1_sel:DWORD
	s_andn2_b32 vcc_lo, exec_lo, s28
	s_mov_b32 s13, -1
                                        ; implicit-def: $vgpr25
	s_cbranch_vccnz .LBB6_4791
; %bb.4778:                             ;   in Loop: Header=BB6_3661 Depth=2
	s_mov_b32 s13, 0
	s_and_saveexec_b32 s41, s40
	s_xor_b32 s40, exec_lo, s41
	s_cbranch_execz .LBB6_5059
; %bb.4779:                             ;   in Loop: Header=BB6_3661 Depth=2
	v_cmp_eq_u16_sdwa s42, v22, v58 src0_sel:BYTE_0 src1_sel:DWORD
	s_mov_b32 s13, -1
	s_and_saveexec_b32 s41, s42
; %bb.4780:                             ;   in Loop: Header=BB6_3661 Depth=2
	s_xor_b32 s13, exec_lo, -1
; %bb.4781:                             ;   in Loop: Header=BB6_3661 Depth=2
	s_or_b32 exec_lo, exec_lo, s41
	s_and_b32 s13, s13, exec_lo
	s_or_saveexec_b32 s40, s40
	v_mov_b32_e32 v25, 0x7f800001
	s_xor_b32 exec_lo, exec_lo, s40
	s_cbranch_execnz .LBB6_5060
.LBB6_4782:                             ;   in Loop: Header=BB6_3661 Depth=2
	s_or_b32 exec_lo, exec_lo, s40
	s_and_saveexec_b32 s40, s13
	s_cbranch_execz .LBB6_4784
.LBB6_4783:                             ;   in Loop: Header=BB6_3661 Depth=2
	v_and_b32_e32 v2, 3, v22
	v_lshrrev_b16 v25, 2, v22
	v_lshlrev_b32_e32 v30, 24, v22
	v_ffbh_u32_e32 v3, v2
	v_and_b32_e32 v25, 31, v25
	v_min_u32_e32 v3, 32, v3
	v_cmp_eq_u32_e32 vcc_lo, 0, v25
	v_subrev_nc_u32_e32 v28, 29, v3
	v_sub_nc_u32_e32 v3, 30, v3
	v_lshlrev_b32_e32 v28, v28, v22
	v_cndmask_b32_e32 v3, v25, v3, vcc_lo
	v_and_b32_e32 v25, 0x80000000, v30
	v_and_b32_e32 v28, 3, v28
	v_lshl_add_u32 v3, v3, 23, 0x37800000
	v_cndmask_b32_e32 v2, v2, v28, vcc_lo
	v_lshlrev_b32_e32 v2, 21, v2
	v_or3_b32 v25, v25, v3, v2
.LBB6_4784:                             ;   in Loop: Header=BB6_3661 Depth=2
	s_or_b32 exec_lo, exec_lo, s40
	s_waitcnt vmcnt(0) lgkmcnt(0)
	v_cmp_gt_i16_sdwa s40, v21, v57 src0_sel:BYTE_0 src1_sel:DWORD
	s_mov_b32 s13, 0
	s_and_saveexec_b32 s41, s40
	s_xor_b32 s40, exec_lo, s41
	s_cbranch_execz .LBB6_5061
; %bb.4785:                             ;   in Loop: Header=BB6_3661 Depth=2
	v_cmp_eq_u16_sdwa s42, v21, v58 src0_sel:BYTE_0 src1_sel:DWORD
	s_mov_b32 s13, -1
	s_and_saveexec_b32 s41, s42
; %bb.4786:                             ;   in Loop: Header=BB6_3661 Depth=2
	s_xor_b32 s13, exec_lo, -1
; %bb.4787:                             ;   in Loop: Header=BB6_3661 Depth=2
	s_or_b32 exec_lo, exec_lo, s41
	s_and_b32 s13, s13, exec_lo
	s_or_saveexec_b32 s40, s40
	v_mov_b32_e32 v2, 0x7f800001
	s_xor_b32 exec_lo, exec_lo, s40
	s_cbranch_execnz .LBB6_5062
.LBB6_4788:                             ;   in Loop: Header=BB6_3661 Depth=2
	s_or_b32 exec_lo, exec_lo, s40
	s_and_saveexec_b32 s40, s13
	s_cbranch_execz .LBB6_4790
.LBB6_4789:                             ;   in Loop: Header=BB6_3661 Depth=2
	v_and_b32_e32 v2, 3, v21
	v_lshrrev_b16 v28, 2, v21
	v_lshlrev_b32_e32 v32, 24, v21
	v_ffbh_u32_e32 v3, v2
	v_and_b32_e32 v28, 31, v28
	v_min_u32_e32 v3, 32, v3
	v_cmp_eq_u32_e32 vcc_lo, 0, v28
	v_subrev_nc_u32_e32 v30, 29, v3
	v_sub_nc_u32_e32 v3, 30, v3
	v_lshlrev_b32_e32 v30, v30, v21
	v_cndmask_b32_e32 v3, v28, v3, vcc_lo
	v_and_b32_e32 v28, 0x80000000, v32
	v_and_b32_e32 v30, 3, v30
	v_lshl_add_u32 v3, v3, 23, 0x37800000
	v_cndmask_b32_e32 v2, v2, v30, vcc_lo
	v_lshlrev_b32_e32 v2, 21, v2
	v_or3_b32 v2, v28, v3, v2
.LBB6_4790:                             ;   in Loop: Header=BB6_3661 Depth=2
	s_or_b32 exec_lo, exec_lo, s40
	v_max_f32_e32 v2, v2, v2
	v_max_f32_e32 v3, v25, v25
	s_mov_b32 s13, 0
	v_max_f32_e32 v25, v3, v2
.LBB6_4791:                             ;   in Loop: Header=BB6_3661 Depth=2
	s_and_b32 vcc_lo, exec_lo, s13
	s_cbranch_vccz .LBB6_4805
; %bb.4792:                             ;   in Loop: Header=BB6_3661 Depth=2
	v_cmp_gt_i16_sdwa s40, v22, v57 src0_sel:BYTE_0 src1_sel:DWORD
	s_mov_b32 s13, 0
	s_and_saveexec_b32 s41, s40
	s_xor_b32 s40, exec_lo, s41
	s_cbranch_execz .LBB6_5063
; %bb.4793:                             ;   in Loop: Header=BB6_3661 Depth=2
	v_cmp_eq_u16_sdwa s42, v22, v58 src0_sel:BYTE_0 src1_sel:DWORD
	s_mov_b32 s13, -1
	s_and_saveexec_b32 s41, s42
; %bb.4794:                             ;   in Loop: Header=BB6_3661 Depth=2
	s_xor_b32 s13, exec_lo, -1
; %bb.4795:                             ;   in Loop: Header=BB6_3661 Depth=2
	s_or_b32 exec_lo, exec_lo, s41
	s_and_b32 s13, s13, exec_lo
	s_or_saveexec_b32 s40, s40
	v_mov_b32_e32 v25, 0x7f800001
	s_xor_b32 exec_lo, exec_lo, s40
	s_cbranch_execnz .LBB6_5064
.LBB6_4796:                             ;   in Loop: Header=BB6_3661 Depth=2
	s_or_b32 exec_lo, exec_lo, s40
	s_and_saveexec_b32 s40, s13
	s_cbranch_execz .LBB6_4798
.LBB6_4797:                             ;   in Loop: Header=BB6_3661 Depth=2
	v_and_b32_e32 v2, 3, v22
	v_lshrrev_b16 v25, 2, v22
	v_ffbh_u32_e32 v3, v2
	v_and_b32_e32 v25, 31, v25
	v_min_u32_e32 v3, 32, v3
	v_cmp_eq_u32_e32 vcc_lo, 0, v25
	v_subrev_nc_u32_e32 v28, 29, v3
	v_sub_nc_u32_e32 v3, 30, v3
	v_lshlrev_b32_e32 v28, v28, v22
	v_lshlrev_b32_e32 v22, 24, v22
	v_cndmask_b32_e32 v3, v25, v3, vcc_lo
	v_and_b32_e32 v28, 3, v28
	v_and_b32_e32 v22, 0x80000000, v22
	v_lshl_add_u32 v3, v3, 23, 0x37800000
	v_cndmask_b32_e32 v2, v2, v28, vcc_lo
	v_lshlrev_b32_e32 v2, 21, v2
	v_or3_b32 v25, v22, v3, v2
.LBB6_4798:                             ;   in Loop: Header=BB6_3661 Depth=2
	s_or_b32 exec_lo, exec_lo, s40
	s_waitcnt vmcnt(0) lgkmcnt(0)
	v_cmp_gt_i16_sdwa s40, v21, v57 src0_sel:BYTE_0 src1_sel:DWORD
	s_mov_b32 s13, 0
	s_and_saveexec_b32 s41, s40
	s_xor_b32 s40, exec_lo, s41
	s_cbranch_execz .LBB6_5065
; %bb.4799:                             ;   in Loop: Header=BB6_3661 Depth=2
	v_cmp_eq_u16_sdwa s42, v21, v58 src0_sel:BYTE_0 src1_sel:DWORD
	s_mov_b32 s13, -1
	s_and_saveexec_b32 s41, s42
; %bb.4800:                             ;   in Loop: Header=BB6_3661 Depth=2
	s_xor_b32 s13, exec_lo, -1
; %bb.4801:                             ;   in Loop: Header=BB6_3661 Depth=2
	s_or_b32 exec_lo, exec_lo, s41
	s_and_b32 s13, s13, exec_lo
	s_or_saveexec_b32 s40, s40
	v_mov_b32_e32 v2, 0x7f800001
	s_xor_b32 exec_lo, exec_lo, s40
	s_cbranch_execnz .LBB6_5066
.LBB6_4802:                             ;   in Loop: Header=BB6_3661 Depth=2
	s_or_b32 exec_lo, exec_lo, s40
	s_and_saveexec_b32 s40, s13
	s_cbranch_execz .LBB6_4804
.LBB6_4803:                             ;   in Loop: Header=BB6_3661 Depth=2
	v_and_b32_e32 v2, 3, v21
	v_lshrrev_b16 v22, 2, v21
	v_ffbh_u32_e32 v3, v2
	v_and_b32_e32 v22, 31, v22
	v_min_u32_e32 v3, 32, v3
	v_cmp_eq_u32_e32 vcc_lo, 0, v22
	v_subrev_nc_u32_e32 v28, 29, v3
	v_sub_nc_u32_e32 v3, 30, v3
	v_lshlrev_b32_e32 v28, v28, v21
	v_lshlrev_b32_e32 v21, 24, v21
	v_cndmask_b32_e32 v3, v22, v3, vcc_lo
	v_and_b32_e32 v28, 3, v28
	v_and_b32_e32 v21, 0x80000000, v21
	v_lshl_add_u32 v3, v3, 23, 0x37800000
	v_cndmask_b32_e32 v2, v2, v28, vcc_lo
	v_lshlrev_b32_e32 v2, 21, v2
	v_or3_b32 v2, v21, v3, v2
.LBB6_4804:                             ;   in Loop: Header=BB6_3661 Depth=2
	s_or_b32 exec_lo, exec_lo, s40
	v_max_f32_e32 v2, v2, v2
	v_max_f32_e32 v3, v25, v25
	v_min_f32_e32 v25, v3, v2
.LBB6_4805:                             ;   in Loop: Header=BB6_3661 Depth=2
	v_and_b32_e32 v2, 0x7f800000, v25
	s_waitcnt vmcnt(0) lgkmcnt(0)
	v_mov_b32_e32 v21, 0x80
	s_mov_b32 s40, exec_lo
	v_cmpx_ne_u32_e32 0x7f800000, v2
	s_cbranch_execz .LBB6_3660
; %bb.4806:                             ;   in Loop: Header=BB6_3661 Depth=2
	v_mov_b32_e32 v21, 0
	s_mov_b32 s41, exec_lo
	v_cmpx_ne_u32_e32 0, v25
	s_cbranch_execz .LBB6_3659
; %bb.4807:                             ;   in Loop: Header=BB6_3661 Depth=2
	v_bfe_u32 v2, v25, 23, 8
	v_and_b32_e32 v3, 0x7fffff, v25
	v_sub_nc_u32_e32 v21, 0x70, v2
	v_cmp_gt_u32_e32 vcc_lo, 0x71, v2
	v_or_b32_e32 v22, 0x800000, v3
	v_cndmask_b32_e32 v21, 0, v21, vcc_lo
	v_cmp_eq_u32_e32 vcc_lo, 0, v2
	v_add_nc_u32_e32 v2, 0xffffff91, v2
	v_cndmask_b32_e64 v21, v21, 0x6f, vcc_lo
	v_cndmask_b32_e32 v3, v22, v3, vcc_lo
	v_cndmask_b32_e64 v2, v2, 0xffffff92, vcc_lo
	v_lshl_add_u32 v22, 0x200000, v21, -1
	v_lshrrev_b32_e32 v28, v21, v3
	v_lshlrev_b32_e64 v32, v21, 0x100000
	v_add_nc_u32_e32 v21, v21, v2
	v_and_b32_e32 v3, v22, v3
	v_bfe_u32 v30, v28, 21, 1
	v_cmp_eq_u32_e64 s13, v3, v32
	v_add_nc_u32_e32 v22, -1, v30
	v_cndmask_b32_e64 v3, 0, v22, s13
	v_lshrrev_b32_e32 v22, 23, v28
	s_mov_b32 s13, exec_lo
	v_add_nc_u32_e32 v3, v3, v28
	v_xor_b32_e32 v22, 1, v22
	v_and_b32_e32 v2, 0x1fffff, v3
	v_add_nc_u32_e32 v3, v2, v28
                                        ; implicit-def: $vgpr2
	v_cmpx_ne_u32_e64 v21, v22
	s_xor_b32 s13, exec_lo, s13
; %bb.4808:                             ;   in Loop: Header=BB6_3661 Depth=2
	v_cmp_lt_u32_e32 vcc_lo, 0xffffff, v3
	v_sub_nc_u32_e32 v2, v21, v22
	v_cndmask_b32_e64 v21, 0, 1, vcc_lo
	v_add_co_ci_u32_e64 v2, null, 0, v2, vcc_lo
	v_lshrrev_b32_e32 v3, v21, v3
; %bb.4809:                             ;   in Loop: Header=BB6_3661 Depth=2
	s_andn2_saveexec_b32 s13, s13
	s_cbranch_execz .LBB6_3658
; %bb.4810:                             ;   in Loop: Header=BB6_3661 Depth=2
	v_bfe_u32 v2, v3, 23, 1
	s_branch .LBB6_3658
.LBB6_4811:                             ;   in Loop: Header=BB6_3661 Depth=2
	s_or_saveexec_b32 s13, s13
	v_mov_b32_e32 v40, 0x7f800001
	s_xor_b32 exec_lo, exec_lo, s13
	s_cbranch_execz .LBB6_3666
.LBB6_4812:                             ;   in Loop: Header=BB6_3661 Depth=2
	v_cmp_ne_u16_sdwa s41, v119, v84 src0_sel:BYTE_0 src1_sel:DWORD
	v_mov_b32_e32 v40, 0
	s_andn2_b32 s40, s40, exec_lo
	s_and_b32 s41, s41, exec_lo
	s_or_b32 s40, s40, s41
	s_or_b32 exec_lo, exec_lo, s13
	s_and_saveexec_b32 s13, s40
	s_cbranch_execnz .LBB6_3667
	s_branch .LBB6_3668
.LBB6_4813:                             ;   in Loop: Header=BB6_3661 Depth=2
	s_or_saveexec_b32 s13, s13
	v_mov_b32_e32 v2, 0x7f800001
	s_xor_b32 exec_lo, exec_lo, s13
	s_cbranch_execz .LBB6_3672
.LBB6_4814:                             ;   in Loop: Header=BB6_3661 Depth=2
	v_cmp_ne_u16_sdwa s41, v23, v84 src0_sel:BYTE_0 src1_sel:DWORD
	v_mov_b32_e32 v2, 0
	s_andn2_b32 s40, s40, exec_lo
	s_and_b32 s41, s41, exec_lo
	s_or_b32 s40, s40, s41
	s_or_b32 exec_lo, exec_lo, s13
	s_and_saveexec_b32 s13, s40
	s_cbranch_execnz .LBB6_3673
	s_branch .LBB6_3674
.LBB6_4815:                             ;   in Loop: Header=BB6_3661 Depth=2
	s_or_saveexec_b32 s13, s13
	v_mov_b32_e32 v40, 0x7f800001
	s_xor_b32 exec_lo, exec_lo, s13
	s_cbranch_execz .LBB6_3680
.LBB6_4816:                             ;   in Loop: Header=BB6_3661 Depth=2
	v_cmp_ne_u16_sdwa s41, v119, v84 src0_sel:BYTE_0 src1_sel:DWORD
	v_mov_b32_e32 v40, 0
	s_andn2_b32 s40, s40, exec_lo
	s_and_b32 s41, s41, exec_lo
	s_or_b32 s40, s40, s41
	s_or_b32 exec_lo, exec_lo, s13
	s_and_saveexec_b32 s13, s40
	s_cbranch_execnz .LBB6_3681
	s_branch .LBB6_3682
.LBB6_4817:                             ;   in Loop: Header=BB6_3661 Depth=2
	s_or_saveexec_b32 s13, s13
	v_mov_b32_e32 v2, 0x7f800001
	s_xor_b32 exec_lo, exec_lo, s13
	s_cbranch_execz .LBB6_3686
.LBB6_4818:                             ;   in Loop: Header=BB6_3661 Depth=2
	v_cmp_ne_u16_sdwa s41, v23, v84 src0_sel:BYTE_0 src1_sel:DWORD
	v_mov_b32_e32 v2, 0
	s_andn2_b32 s40, s40, exec_lo
	s_and_b32 s41, s41, exec_lo
	s_or_b32 s40, s40, s41
	s_or_b32 exec_lo, exec_lo, s13
	s_and_saveexec_b32 s13, s40
	s_cbranch_execnz .LBB6_3687
	s_branch .LBB6_3688
.LBB6_4819:                             ;   in Loop: Header=BB6_3661 Depth=2
	s_or_saveexec_b32 s40, s40
	v_mov_b32_e32 v119, 0x7f800001
	s_xor_b32 exec_lo, exec_lo, s40
	s_cbranch_execz .LBB6_3702
.LBB6_4820:                             ;   in Loop: Header=BB6_3661 Depth=2
	v_cmp_ne_u16_sdwa s41, v125, v84 src0_sel:BYTE_0 src1_sel:DWORD
	v_mov_b32_e32 v119, 0
	s_andn2_b32 s13, s13, exec_lo
	s_and_b32 s41, s41, exec_lo
	s_or_b32 s13, s13, s41
	s_or_b32 exec_lo, exec_lo, s40
	s_and_saveexec_b32 s40, s13
	s_cbranch_execnz .LBB6_3703
	s_branch .LBB6_3704
.LBB6_4821:                             ;   in Loop: Header=BB6_3661 Depth=2
	s_or_saveexec_b32 s40, s40
	v_mov_b32_e32 v2, 0x7f800001
	s_xor_b32 exec_lo, exec_lo, s40
	s_cbranch_execz .LBB6_3708
.LBB6_4822:                             ;   in Loop: Header=BB6_3661 Depth=2
	v_cmp_ne_u16_sdwa s41, v27, v84 src0_sel:BYTE_0 src1_sel:DWORD
	v_mov_b32_e32 v2, 0
	s_andn2_b32 s13, s13, exec_lo
	s_and_b32 s41, s41, exec_lo
	s_or_b32 s13, s13, s41
	s_or_b32 exec_lo, exec_lo, s40
	s_and_saveexec_b32 s40, s13
	s_cbranch_execnz .LBB6_3709
	s_branch .LBB6_3710
.LBB6_4823:                             ;   in Loop: Header=BB6_3661 Depth=2
	s_or_saveexec_b32 s40, s40
	v_mov_b32_e32 v119, 0x7f800001
	s_xor_b32 exec_lo, exec_lo, s40
	s_cbranch_execz .LBB6_3716
.LBB6_4824:                             ;   in Loop: Header=BB6_3661 Depth=2
	v_cmp_ne_u16_sdwa s41, v125, v84 src0_sel:BYTE_0 src1_sel:DWORD
	v_mov_b32_e32 v119, 0
	s_andn2_b32 s13, s13, exec_lo
	s_and_b32 s41, s41, exec_lo
	s_or_b32 s13, s13, s41
	s_or_b32 exec_lo, exec_lo, s40
	s_and_saveexec_b32 s40, s13
	s_cbranch_execnz .LBB6_3717
	s_branch .LBB6_3718
.LBB6_4825:                             ;   in Loop: Header=BB6_3661 Depth=2
	s_or_saveexec_b32 s40, s40
	v_mov_b32_e32 v2, 0x7f800001
	s_xor_b32 exec_lo, exec_lo, s40
	s_cbranch_execz .LBB6_3722
.LBB6_4826:                             ;   in Loop: Header=BB6_3661 Depth=2
	v_cmp_ne_u16_sdwa s41, v27, v84 src0_sel:BYTE_0 src1_sel:DWORD
	v_mov_b32_e32 v2, 0
	s_andn2_b32 s13, s13, exec_lo
	s_and_b32 s41, s41, exec_lo
	s_or_b32 s13, s13, s41
	s_or_b32 exec_lo, exec_lo, s40
	s_and_saveexec_b32 s40, s13
	s_cbranch_execnz .LBB6_3723
	s_branch .LBB6_3724
.LBB6_4827:                             ;   in Loop: Header=BB6_3661 Depth=2
	s_or_saveexec_b32 s40, s40
	v_mov_b32_e32 v119, 0x7f800001
	s_xor_b32 exec_lo, exec_lo, s40
	s_cbranch_execz .LBB6_3738
.LBB6_4828:                             ;   in Loop: Header=BB6_3661 Depth=2
	v_cmp_ne_u16_sdwa s41, v124, v84 src0_sel:BYTE_0 src1_sel:DWORD
	v_mov_b32_e32 v119, 0
	s_andn2_b32 s13, s13, exec_lo
	s_and_b32 s41, s41, exec_lo
	s_or_b32 s13, s13, s41
	s_or_b32 exec_lo, exec_lo, s40
	s_and_saveexec_b32 s40, s13
	s_cbranch_execnz .LBB6_3739
	s_branch .LBB6_3740
.LBB6_4829:                             ;   in Loop: Header=BB6_3661 Depth=2
	s_or_saveexec_b32 s40, s40
	v_mov_b32_e32 v2, 0x7f800001
	s_xor_b32 exec_lo, exec_lo, s40
	s_cbranch_execz .LBB6_3744
.LBB6_4830:                             ;   in Loop: Header=BB6_3661 Depth=2
	v_cmp_ne_u16_sdwa s41, v33, v84 src0_sel:BYTE_0 src1_sel:DWORD
	v_mov_b32_e32 v2, 0
	s_andn2_b32 s13, s13, exec_lo
	s_and_b32 s41, s41, exec_lo
	s_or_b32 s13, s13, s41
	s_or_b32 exec_lo, exec_lo, s40
	s_and_saveexec_b32 s40, s13
	s_cbranch_execnz .LBB6_3745
	s_branch .LBB6_3746
.LBB6_4831:                             ;   in Loop: Header=BB6_3661 Depth=2
	s_or_saveexec_b32 s40, s40
	v_mov_b32_e32 v119, 0x7f800001
	s_xor_b32 exec_lo, exec_lo, s40
	s_cbranch_execz .LBB6_3752
.LBB6_4832:                             ;   in Loop: Header=BB6_3661 Depth=2
	v_cmp_ne_u16_sdwa s41, v124, v84 src0_sel:BYTE_0 src1_sel:DWORD
	v_mov_b32_e32 v119, 0
	s_andn2_b32 s13, s13, exec_lo
	s_and_b32 s41, s41, exec_lo
	s_or_b32 s13, s13, s41
	s_or_b32 exec_lo, exec_lo, s40
	s_and_saveexec_b32 s40, s13
	s_cbranch_execnz .LBB6_3753
	s_branch .LBB6_3754
.LBB6_4833:                             ;   in Loop: Header=BB6_3661 Depth=2
	s_or_saveexec_b32 s40, s40
	v_mov_b32_e32 v2, 0x7f800001
	s_xor_b32 exec_lo, exec_lo, s40
	s_cbranch_execz .LBB6_3758
.LBB6_4834:                             ;   in Loop: Header=BB6_3661 Depth=2
	v_cmp_ne_u16_sdwa s41, v33, v84 src0_sel:BYTE_0 src1_sel:DWORD
	v_mov_b32_e32 v2, 0
	s_andn2_b32 s13, s13, exec_lo
	s_and_b32 s41, s41, exec_lo
	s_or_b32 s13, s13, s41
	s_or_b32 exec_lo, exec_lo, s40
	s_and_saveexec_b32 s40, s13
	s_cbranch_execnz .LBB6_3759
	s_branch .LBB6_3760
.LBB6_4835:                             ;   in Loop: Header=BB6_3661 Depth=2
	s_or_saveexec_b32 s40, s40
	v_mov_b32_e32 v119, 0x7f800001
	s_xor_b32 exec_lo, exec_lo, s40
	s_cbranch_execz .LBB6_3774
.LBB6_4836:                             ;   in Loop: Header=BB6_3661 Depth=2
	v_cmp_ne_u16_sdwa s41, v123, v84 src0_sel:BYTE_0 src1_sel:DWORD
	v_mov_b32_e32 v119, 0
	s_andn2_b32 s13, s13, exec_lo
	s_and_b32 s41, s41, exec_lo
	s_or_b32 s13, s13, s41
	s_or_b32 exec_lo, exec_lo, s40
	s_and_saveexec_b32 s40, s13
	s_cbranch_execnz .LBB6_3775
	s_branch .LBB6_3776
.LBB6_4837:                             ;   in Loop: Header=BB6_3661 Depth=2
	s_or_saveexec_b32 s40, s40
	v_mov_b32_e32 v2, 0x7f800001
	s_xor_b32 exec_lo, exec_lo, s40
	s_cbranch_execz .LBB6_3780
.LBB6_4838:                             ;   in Loop: Header=BB6_3661 Depth=2
	v_cmp_ne_u16_sdwa s41, v36, v84 src0_sel:BYTE_0 src1_sel:DWORD
	v_mov_b32_e32 v2, 0
	s_andn2_b32 s13, s13, exec_lo
	s_and_b32 s41, s41, exec_lo
	s_or_b32 s13, s13, s41
	s_or_b32 exec_lo, exec_lo, s40
	s_and_saveexec_b32 s40, s13
	s_cbranch_execnz .LBB6_3781
	s_branch .LBB6_3782
.LBB6_4839:                             ;   in Loop: Header=BB6_3661 Depth=2
	s_or_saveexec_b32 s40, s40
	v_mov_b32_e32 v119, 0x7f800001
	s_xor_b32 exec_lo, exec_lo, s40
	s_cbranch_execz .LBB6_3788
.LBB6_4840:                             ;   in Loop: Header=BB6_3661 Depth=2
	v_cmp_ne_u16_sdwa s41, v123, v84 src0_sel:BYTE_0 src1_sel:DWORD
	v_mov_b32_e32 v119, 0
	s_andn2_b32 s13, s13, exec_lo
	s_and_b32 s41, s41, exec_lo
	s_or_b32 s13, s13, s41
	s_or_b32 exec_lo, exec_lo, s40
	s_and_saveexec_b32 s40, s13
	s_cbranch_execnz .LBB6_3789
	s_branch .LBB6_3790
.LBB6_4841:                             ;   in Loop: Header=BB6_3661 Depth=2
	s_or_saveexec_b32 s40, s40
	v_mov_b32_e32 v2, 0x7f800001
	s_xor_b32 exec_lo, exec_lo, s40
	s_cbranch_execz .LBB6_3794
.LBB6_4842:                             ;   in Loop: Header=BB6_3661 Depth=2
	v_cmp_ne_u16_sdwa s41, v36, v84 src0_sel:BYTE_0 src1_sel:DWORD
	v_mov_b32_e32 v2, 0
	s_andn2_b32 s13, s13, exec_lo
	s_and_b32 s41, s41, exec_lo
	s_or_b32 s13, s13, s41
	s_or_b32 exec_lo, exec_lo, s40
	s_and_saveexec_b32 s40, s13
	s_cbranch_execnz .LBB6_3795
	s_branch .LBB6_3796
.LBB6_4843:                             ;   in Loop: Header=BB6_3661 Depth=2
	s_or_saveexec_b32 s40, s40
	v_mov_b32_e32 v119, 0x7f800001
	s_xor_b32 exec_lo, exec_lo, s40
	s_cbranch_execz .LBB6_3810
.LBB6_4844:                             ;   in Loop: Header=BB6_3661 Depth=2
	v_cmp_ne_u16_sdwa s41, v122, v84 src0_sel:BYTE_0 src1_sel:DWORD
	v_mov_b32_e32 v119, 0
	s_andn2_b32 s13, s13, exec_lo
	s_and_b32 s41, s41, exec_lo
	s_or_b32 s13, s13, s41
	s_or_b32 exec_lo, exec_lo, s40
	s_and_saveexec_b32 s40, s13
	s_cbranch_execnz .LBB6_3811
	s_branch .LBB6_3812
.LBB6_4845:                             ;   in Loop: Header=BB6_3661 Depth=2
	s_or_saveexec_b32 s40, s40
	v_mov_b32_e32 v2, 0x7f800001
	s_xor_b32 exec_lo, exec_lo, s40
	s_cbranch_execz .LBB6_3816
.LBB6_4846:                             ;   in Loop: Header=BB6_3661 Depth=2
	v_cmp_ne_u16_sdwa s41, v39, v84 src0_sel:BYTE_0 src1_sel:DWORD
	v_mov_b32_e32 v2, 0
	s_andn2_b32 s13, s13, exec_lo
	s_and_b32 s41, s41, exec_lo
	s_or_b32 s13, s13, s41
	s_or_b32 exec_lo, exec_lo, s40
	s_and_saveexec_b32 s40, s13
	s_cbranch_execnz .LBB6_3817
	s_branch .LBB6_3818
.LBB6_4847:                             ;   in Loop: Header=BB6_3661 Depth=2
	s_or_saveexec_b32 s40, s40
	v_mov_b32_e32 v119, 0x7f800001
	s_xor_b32 exec_lo, exec_lo, s40
	s_cbranch_execz .LBB6_3824
.LBB6_4848:                             ;   in Loop: Header=BB6_3661 Depth=2
	v_cmp_ne_u16_sdwa s41, v122, v84 src0_sel:BYTE_0 src1_sel:DWORD
	v_mov_b32_e32 v119, 0
	s_andn2_b32 s13, s13, exec_lo
	s_and_b32 s41, s41, exec_lo
	s_or_b32 s13, s13, s41
	s_or_b32 exec_lo, exec_lo, s40
	s_and_saveexec_b32 s40, s13
	s_cbranch_execnz .LBB6_3825
	s_branch .LBB6_3826
.LBB6_4849:                             ;   in Loop: Header=BB6_3661 Depth=2
	s_or_saveexec_b32 s40, s40
	v_mov_b32_e32 v2, 0x7f800001
	s_xor_b32 exec_lo, exec_lo, s40
	s_cbranch_execz .LBB6_3830
.LBB6_4850:                             ;   in Loop: Header=BB6_3661 Depth=2
	v_cmp_ne_u16_sdwa s41, v39, v84 src0_sel:BYTE_0 src1_sel:DWORD
	v_mov_b32_e32 v2, 0
	s_andn2_b32 s13, s13, exec_lo
	s_and_b32 s41, s41, exec_lo
	s_or_b32 s13, s13, s41
	s_or_b32 exec_lo, exec_lo, s40
	s_and_saveexec_b32 s40, s13
	s_cbranch_execnz .LBB6_3831
	s_branch .LBB6_3832
.LBB6_4851:                             ;   in Loop: Header=BB6_3661 Depth=2
	s_or_saveexec_b32 s40, s40
	v_mov_b32_e32 v119, 0x7f800001
	s_xor_b32 exec_lo, exec_lo, s40
	s_cbranch_execz .LBB6_3846
.LBB6_4852:                             ;   in Loop: Header=BB6_3661 Depth=2
	v_cmp_ne_u16_sdwa s41, v121, v84 src0_sel:BYTE_0 src1_sel:DWORD
	v_mov_b32_e32 v119, 0
	s_andn2_b32 s13, s13, exec_lo
	s_and_b32 s41, s41, exec_lo
	s_or_b32 s13, s13, s41
	s_or_b32 exec_lo, exec_lo, s40
	s_and_saveexec_b32 s40, s13
	s_cbranch_execnz .LBB6_3847
	s_branch .LBB6_3848
.LBB6_4853:                             ;   in Loop: Header=BB6_3661 Depth=2
	s_or_saveexec_b32 s40, s40
	v_mov_b32_e32 v2, 0x7f800001
	s_xor_b32 exec_lo, exec_lo, s40
	s_cbranch_execz .LBB6_3852
.LBB6_4854:                             ;   in Loop: Header=BB6_3661 Depth=2
	v_cmp_ne_u16_sdwa s41, v50, v84 src0_sel:BYTE_0 src1_sel:DWORD
	v_mov_b32_e32 v2, 0
	s_andn2_b32 s13, s13, exec_lo
	s_and_b32 s41, s41, exec_lo
	s_or_b32 s13, s13, s41
	s_or_b32 exec_lo, exec_lo, s40
	s_and_saveexec_b32 s40, s13
	s_cbranch_execnz .LBB6_3853
	s_branch .LBB6_3854
.LBB6_4855:                             ;   in Loop: Header=BB6_3661 Depth=2
	s_or_saveexec_b32 s40, s40
	v_mov_b32_e32 v119, 0x7f800001
	s_xor_b32 exec_lo, exec_lo, s40
	s_cbranch_execz .LBB6_3860
.LBB6_4856:                             ;   in Loop: Header=BB6_3661 Depth=2
	v_cmp_ne_u16_sdwa s41, v121, v84 src0_sel:BYTE_0 src1_sel:DWORD
	v_mov_b32_e32 v119, 0
	s_andn2_b32 s13, s13, exec_lo
	s_and_b32 s41, s41, exec_lo
	s_or_b32 s13, s13, s41
	s_or_b32 exec_lo, exec_lo, s40
	s_and_saveexec_b32 s40, s13
	s_cbranch_execnz .LBB6_3861
	s_branch .LBB6_3862
.LBB6_4857:                             ;   in Loop: Header=BB6_3661 Depth=2
	s_or_saveexec_b32 s40, s40
	v_mov_b32_e32 v2, 0x7f800001
	s_xor_b32 exec_lo, exec_lo, s40
	s_cbranch_execz .LBB6_3866
.LBB6_4858:                             ;   in Loop: Header=BB6_3661 Depth=2
	v_cmp_ne_u16_sdwa s41, v50, v84 src0_sel:BYTE_0 src1_sel:DWORD
	v_mov_b32_e32 v2, 0
	s_andn2_b32 s13, s13, exec_lo
	s_and_b32 s41, s41, exec_lo
	s_or_b32 s13, s13, s41
	s_or_b32 exec_lo, exec_lo, s40
	s_and_saveexec_b32 s40, s13
	s_cbranch_execnz .LBB6_3867
	s_branch .LBB6_3868
.LBB6_4859:                             ;   in Loop: Header=BB6_3661 Depth=2
	s_or_saveexec_b32 s40, s40
	v_mov_b32_e32 v119, 0x7f800001
	s_xor_b32 exec_lo, exec_lo, s40
	s_cbranch_execz .LBB6_3882
.LBB6_4860:                             ;   in Loop: Header=BB6_3661 Depth=2
	v_cmp_ne_u16_sdwa s41, v120, v84 src0_sel:BYTE_0 src1_sel:DWORD
	v_mov_b32_e32 v119, 0
	s_andn2_b32 s13, s13, exec_lo
	s_and_b32 s41, s41, exec_lo
	s_or_b32 s13, s13, s41
	s_or_b32 exec_lo, exec_lo, s40
	s_and_saveexec_b32 s40, s13
	s_cbranch_execnz .LBB6_3883
	s_branch .LBB6_3884
.LBB6_4861:                             ;   in Loop: Header=BB6_3661 Depth=2
	s_or_saveexec_b32 s40, s40
	v_mov_b32_e32 v2, 0x7f800001
	s_xor_b32 exec_lo, exec_lo, s40
	s_cbranch_execz .LBB6_3888
.LBB6_4862:                             ;   in Loop: Header=BB6_3661 Depth=2
	v_cmp_ne_u16_sdwa s41, v99, v84 src0_sel:BYTE_0 src1_sel:DWORD
	v_mov_b32_e32 v2, 0
	s_andn2_b32 s13, s13, exec_lo
	s_and_b32 s41, s41, exec_lo
	s_or_b32 s13, s13, s41
	s_or_b32 exec_lo, exec_lo, s40
	s_and_saveexec_b32 s40, s13
	s_cbranch_execnz .LBB6_3889
	s_branch .LBB6_3890
.LBB6_4863:                             ;   in Loop: Header=BB6_3661 Depth=2
	s_or_saveexec_b32 s40, s40
	v_mov_b32_e32 v119, 0x7f800001
	s_xor_b32 exec_lo, exec_lo, s40
	s_cbranch_execz .LBB6_3896
.LBB6_4864:                             ;   in Loop: Header=BB6_3661 Depth=2
	v_cmp_ne_u16_sdwa s41, v120, v84 src0_sel:BYTE_0 src1_sel:DWORD
	v_mov_b32_e32 v119, 0
	s_andn2_b32 s13, s13, exec_lo
	s_and_b32 s41, s41, exec_lo
	s_or_b32 s13, s13, s41
	s_or_b32 exec_lo, exec_lo, s40
	s_and_saveexec_b32 s40, s13
	s_cbranch_execnz .LBB6_3897
	s_branch .LBB6_3898
.LBB6_4865:                             ;   in Loop: Header=BB6_3661 Depth=2
	s_or_saveexec_b32 s40, s40
	v_mov_b32_e32 v2, 0x7f800001
	s_xor_b32 exec_lo, exec_lo, s40
	s_cbranch_execz .LBB6_3902
.LBB6_4866:                             ;   in Loop: Header=BB6_3661 Depth=2
	v_cmp_ne_u16_sdwa s41, v99, v84 src0_sel:BYTE_0 src1_sel:DWORD
	v_mov_b32_e32 v2, 0
	s_andn2_b32 s13, s13, exec_lo
	s_and_b32 s41, s41, exec_lo
	s_or_b32 s13, s13, s41
	s_or_b32 exec_lo, exec_lo, s40
	s_and_saveexec_b32 s40, s13
	s_cbranch_execnz .LBB6_3903
	s_branch .LBB6_3904
.LBB6_4867:                             ;   in Loop: Header=BB6_3661 Depth=2
	s_or_saveexec_b32 s40, s40
	v_mov_b32_e32 v119, 0x7f800001
	s_xor_b32 exec_lo, exec_lo, s40
	s_cbranch_execz .LBB6_3918
.LBB6_4868:                             ;   in Loop: Header=BB6_3661 Depth=2
	v_cmp_ne_u16_sdwa s41, v111, v84 src0_sel:BYTE_0 src1_sel:DWORD
	v_mov_b32_e32 v119, 0
	s_andn2_b32 s13, s13, exec_lo
	s_and_b32 s41, s41, exec_lo
	s_or_b32 s13, s13, s41
	s_or_b32 exec_lo, exec_lo, s40
	s_and_saveexec_b32 s40, s13
	s_cbranch_execnz .LBB6_3919
	s_branch .LBB6_3920
.LBB6_4869:                             ;   in Loop: Header=BB6_3661 Depth=2
	s_or_saveexec_b32 s40, s40
	v_mov_b32_e32 v2, 0x7f800001
	s_xor_b32 exec_lo, exec_lo, s40
	s_cbranch_execz .LBB6_3924
.LBB6_4870:                             ;   in Loop: Header=BB6_3661 Depth=2
	v_cmp_ne_u16_sdwa s41, v102, v84 src0_sel:BYTE_0 src1_sel:DWORD
	v_mov_b32_e32 v2, 0
	s_andn2_b32 s13, s13, exec_lo
	s_and_b32 s41, s41, exec_lo
	s_or_b32 s13, s13, s41
	s_or_b32 exec_lo, exec_lo, s40
	s_and_saveexec_b32 s40, s13
	s_cbranch_execnz .LBB6_3925
	s_branch .LBB6_3926
.LBB6_4871:                             ;   in Loop: Header=BB6_3661 Depth=2
	s_or_saveexec_b32 s40, s40
	v_mov_b32_e32 v119, 0x7f800001
	s_xor_b32 exec_lo, exec_lo, s40
	s_cbranch_execz .LBB6_3932
.LBB6_4872:                             ;   in Loop: Header=BB6_3661 Depth=2
	v_cmp_ne_u16_sdwa s41, v111, v84 src0_sel:BYTE_0 src1_sel:DWORD
	v_mov_b32_e32 v119, 0
	s_andn2_b32 s13, s13, exec_lo
	s_and_b32 s41, s41, exec_lo
	s_or_b32 s13, s13, s41
	s_or_b32 exec_lo, exec_lo, s40
	s_and_saveexec_b32 s40, s13
	s_cbranch_execnz .LBB6_3933
	s_branch .LBB6_3934
.LBB6_4873:                             ;   in Loop: Header=BB6_3661 Depth=2
	s_or_saveexec_b32 s40, s40
	v_mov_b32_e32 v2, 0x7f800001
	s_xor_b32 exec_lo, exec_lo, s40
	s_cbranch_execz .LBB6_3938
.LBB6_4874:                             ;   in Loop: Header=BB6_3661 Depth=2
	v_cmp_ne_u16_sdwa s41, v102, v84 src0_sel:BYTE_0 src1_sel:DWORD
	v_mov_b32_e32 v2, 0
	s_andn2_b32 s13, s13, exec_lo
	s_and_b32 s41, s41, exec_lo
	s_or_b32 s13, s13, s41
	s_or_b32 exec_lo, exec_lo, s40
	s_and_saveexec_b32 s40, s13
	s_cbranch_execnz .LBB6_3939
	s_branch .LBB6_3940
.LBB6_4875:                             ;   in Loop: Header=BB6_3661 Depth=2
	s_or_saveexec_b32 s40, s40
	v_mov_b32_e32 v119, 0x7f800001
	s_xor_b32 exec_lo, exec_lo, s40
	s_cbranch_execz .LBB6_3954
.LBB6_4876:                             ;   in Loop: Header=BB6_3661 Depth=2
	v_cmp_ne_u16_sdwa s41, v110, v84 src0_sel:BYTE_0 src1_sel:DWORD
	v_mov_b32_e32 v119, 0
	s_andn2_b32 s13, s13, exec_lo
	s_and_b32 s41, s41, exec_lo
	s_or_b32 s13, s13, s41
	s_or_b32 exec_lo, exec_lo, s40
	s_and_saveexec_b32 s40, s13
	s_cbranch_execnz .LBB6_3955
	s_branch .LBB6_3956
.LBB6_4877:                             ;   in Loop: Header=BB6_3661 Depth=2
	s_or_saveexec_b32 s40, s40
	v_mov_b32_e32 v2, 0x7f800001
	s_xor_b32 exec_lo, exec_lo, s40
	s_cbranch_execz .LBB6_3960
.LBB6_4878:                             ;   in Loop: Header=BB6_3661 Depth=2
	v_cmp_ne_u16_sdwa s41, v113, v84 src0_sel:BYTE_0 src1_sel:DWORD
	v_mov_b32_e32 v2, 0
	s_andn2_b32 s13, s13, exec_lo
	s_and_b32 s41, s41, exec_lo
	s_or_b32 s13, s13, s41
	s_or_b32 exec_lo, exec_lo, s40
	s_and_saveexec_b32 s40, s13
	s_cbranch_execnz .LBB6_3961
	s_branch .LBB6_3962
.LBB6_4879:                             ;   in Loop: Header=BB6_3661 Depth=2
	s_or_saveexec_b32 s40, s40
	v_mov_b32_e32 v119, 0x7f800001
	s_xor_b32 exec_lo, exec_lo, s40
	s_cbranch_execz .LBB6_3968
.LBB6_4880:                             ;   in Loop: Header=BB6_3661 Depth=2
	v_cmp_ne_u16_sdwa s41, v110, v84 src0_sel:BYTE_0 src1_sel:DWORD
	v_mov_b32_e32 v119, 0
	s_andn2_b32 s13, s13, exec_lo
	s_and_b32 s41, s41, exec_lo
	s_or_b32 s13, s13, s41
	s_or_b32 exec_lo, exec_lo, s40
	s_and_saveexec_b32 s40, s13
	s_cbranch_execnz .LBB6_3969
	s_branch .LBB6_3970
.LBB6_4881:                             ;   in Loop: Header=BB6_3661 Depth=2
	s_or_saveexec_b32 s40, s40
	v_mov_b32_e32 v2, 0x7f800001
	s_xor_b32 exec_lo, exec_lo, s40
	s_cbranch_execz .LBB6_3974
.LBB6_4882:                             ;   in Loop: Header=BB6_3661 Depth=2
	v_cmp_ne_u16_sdwa s41, v113, v84 src0_sel:BYTE_0 src1_sel:DWORD
	v_mov_b32_e32 v2, 0
	s_andn2_b32 s13, s13, exec_lo
	s_and_b32 s41, s41, exec_lo
	s_or_b32 s13, s13, s41
	s_or_b32 exec_lo, exec_lo, s40
	s_and_saveexec_b32 s40, s13
	s_cbranch_execnz .LBB6_3975
	s_branch .LBB6_3976
.LBB6_4883:                             ;   in Loop: Header=BB6_3661 Depth=2
	s_or_saveexec_b32 s40, s40
	v_mov_b32_e32 v119, 0x7f800001
	s_xor_b32 exec_lo, exec_lo, s40
	s_cbranch_execz .LBB6_3990
.LBB6_4884:                             ;   in Loop: Header=BB6_3661 Depth=2
	v_cmp_ne_u16_sdwa s41, v109, v84 src0_sel:BYTE_0 src1_sel:DWORD
	v_mov_b32_e32 v119, 0
	s_andn2_b32 s13, s13, exec_lo
	s_and_b32 s41, s41, exec_lo
	s_or_b32 s13, s13, s41
	s_or_b32 exec_lo, exec_lo, s40
	s_and_saveexec_b32 s40, s13
	s_cbranch_execnz .LBB6_3991
	s_branch .LBB6_3992
.LBB6_4885:                             ;   in Loop: Header=BB6_3661 Depth=2
	s_or_saveexec_b32 s40, s40
	v_mov_b32_e32 v2, 0x7f800001
	s_xor_b32 exec_lo, exec_lo, s40
	s_cbranch_execz .LBB6_3996
.LBB6_4886:                             ;   in Loop: Header=BB6_3661 Depth=2
	v_cmp_ne_u16_sdwa s41, v62, v84 src0_sel:BYTE_0 src1_sel:DWORD
	v_mov_b32_e32 v2, 0
	s_andn2_b32 s13, s13, exec_lo
	s_and_b32 s41, s41, exec_lo
	s_or_b32 s13, s13, s41
	s_or_b32 exec_lo, exec_lo, s40
	s_and_saveexec_b32 s40, s13
	s_cbranch_execnz .LBB6_3997
	s_branch .LBB6_3998
.LBB6_4887:                             ;   in Loop: Header=BB6_3661 Depth=2
	s_or_saveexec_b32 s40, s40
	v_mov_b32_e32 v119, 0x7f800001
	s_xor_b32 exec_lo, exec_lo, s40
	s_cbranch_execz .LBB6_4004
.LBB6_4888:                             ;   in Loop: Header=BB6_3661 Depth=2
	v_cmp_ne_u16_sdwa s41, v109, v84 src0_sel:BYTE_0 src1_sel:DWORD
	v_mov_b32_e32 v119, 0
	s_andn2_b32 s13, s13, exec_lo
	s_and_b32 s41, s41, exec_lo
	s_or_b32 s13, s13, s41
	s_or_b32 exec_lo, exec_lo, s40
	s_and_saveexec_b32 s40, s13
	s_cbranch_execnz .LBB6_4005
	s_branch .LBB6_4006
.LBB6_4889:                             ;   in Loop: Header=BB6_3661 Depth=2
	s_or_saveexec_b32 s40, s40
	v_mov_b32_e32 v2, 0x7f800001
	s_xor_b32 exec_lo, exec_lo, s40
	s_cbranch_execz .LBB6_4010
.LBB6_4890:                             ;   in Loop: Header=BB6_3661 Depth=2
	v_cmp_ne_u16_sdwa s41, v62, v84 src0_sel:BYTE_0 src1_sel:DWORD
	v_mov_b32_e32 v2, 0
	s_andn2_b32 s13, s13, exec_lo
	s_and_b32 s41, s41, exec_lo
	s_or_b32 s13, s13, s41
	s_or_b32 exec_lo, exec_lo, s40
	s_and_saveexec_b32 s40, s13
	s_cbranch_execnz .LBB6_4011
	s_branch .LBB6_4012
.LBB6_4891:                             ;   in Loop: Header=BB6_3661 Depth=2
	s_or_saveexec_b32 s40, s40
	v_mov_b32_e32 v119, 0x7f800001
	s_xor_b32 exec_lo, exec_lo, s40
	s_cbranch_execz .LBB6_4026
.LBB6_4892:                             ;   in Loop: Header=BB6_3661 Depth=2
	v_cmp_ne_u16_sdwa s41, v108, v84 src0_sel:BYTE_0 src1_sel:DWORD
	v_mov_b32_e32 v119, 0
	s_andn2_b32 s13, s13, exec_lo
	s_and_b32 s41, s41, exec_lo
	s_or_b32 s13, s13, s41
	s_or_b32 exec_lo, exec_lo, s40
	s_and_saveexec_b32 s40, s13
	s_cbranch_execnz .LBB6_4027
	s_branch .LBB6_4028
.LBB6_4893:                             ;   in Loop: Header=BB6_3661 Depth=2
	s_or_saveexec_b32 s40, s40
	v_mov_b32_e32 v2, 0x7f800001
	s_xor_b32 exec_lo, exec_lo, s40
	s_cbranch_execz .LBB6_4032
.LBB6_4894:                             ;   in Loop: Header=BB6_3661 Depth=2
	v_cmp_ne_u16_sdwa s41, v73, v84 src0_sel:BYTE_0 src1_sel:DWORD
	v_mov_b32_e32 v2, 0
	s_andn2_b32 s13, s13, exec_lo
	s_and_b32 s41, s41, exec_lo
	s_or_b32 s13, s13, s41
	s_or_b32 exec_lo, exec_lo, s40
	s_and_saveexec_b32 s40, s13
	s_cbranch_execnz .LBB6_4033
	s_branch .LBB6_4034
.LBB6_4895:                             ;   in Loop: Header=BB6_3661 Depth=2
	s_or_saveexec_b32 s40, s40
	v_mov_b32_e32 v119, 0x7f800001
	s_xor_b32 exec_lo, exec_lo, s40
	s_cbranch_execz .LBB6_4040
.LBB6_4896:                             ;   in Loop: Header=BB6_3661 Depth=2
	v_cmp_ne_u16_sdwa s41, v108, v84 src0_sel:BYTE_0 src1_sel:DWORD
	v_mov_b32_e32 v119, 0
	s_andn2_b32 s13, s13, exec_lo
	s_and_b32 s41, s41, exec_lo
	s_or_b32 s13, s13, s41
	s_or_b32 exec_lo, exec_lo, s40
	s_and_saveexec_b32 s40, s13
	s_cbranch_execnz .LBB6_4041
	s_branch .LBB6_4042
.LBB6_4897:                             ;   in Loop: Header=BB6_3661 Depth=2
	s_or_saveexec_b32 s40, s40
	v_mov_b32_e32 v2, 0x7f800001
	s_xor_b32 exec_lo, exec_lo, s40
	s_cbranch_execz .LBB6_4046
.LBB6_4898:                             ;   in Loop: Header=BB6_3661 Depth=2
	v_cmp_ne_u16_sdwa s41, v73, v84 src0_sel:BYTE_0 src1_sel:DWORD
	v_mov_b32_e32 v2, 0
	s_andn2_b32 s13, s13, exec_lo
	s_and_b32 s41, s41, exec_lo
	s_or_b32 s13, s13, s41
	s_or_b32 exec_lo, exec_lo, s40
	s_and_saveexec_b32 s40, s13
	s_cbranch_execnz .LBB6_4047
	s_branch .LBB6_4048
.LBB6_4899:                             ;   in Loop: Header=BB6_3661 Depth=2
	s_or_saveexec_b32 s40, s40
	v_mov_b32_e32 v119, 0x7f800001
	s_xor_b32 exec_lo, exec_lo, s40
	s_cbranch_execz .LBB6_4062
.LBB6_4900:                             ;   in Loop: Header=BB6_3661 Depth=2
	v_cmp_ne_u16_sdwa s41, v107, v84 src0_sel:BYTE_0 src1_sel:DWORD
	v_mov_b32_e32 v119, 0
	s_andn2_b32 s13, s13, exec_lo
	s_and_b32 s41, s41, exec_lo
	s_or_b32 s13, s13, s41
	s_or_b32 exec_lo, exec_lo, s40
	s_and_saveexec_b32 s40, s13
	s_cbranch_execnz .LBB6_4063
	s_branch .LBB6_4064
.LBB6_4901:                             ;   in Loop: Header=BB6_3661 Depth=2
	s_or_saveexec_b32 s40, s40
	v_mov_b32_e32 v2, 0x7f800001
	s_xor_b32 exec_lo, exec_lo, s40
	s_cbranch_execz .LBB6_4068
.LBB6_4902:                             ;   in Loop: Header=BB6_3661 Depth=2
	v_cmp_ne_u16_sdwa s41, v76, v84 src0_sel:BYTE_0 src1_sel:DWORD
	v_mov_b32_e32 v2, 0
	s_andn2_b32 s13, s13, exec_lo
	s_and_b32 s41, s41, exec_lo
	s_or_b32 s13, s13, s41
	s_or_b32 exec_lo, exec_lo, s40
	s_and_saveexec_b32 s40, s13
	s_cbranch_execnz .LBB6_4069
	s_branch .LBB6_4070
.LBB6_4903:                             ;   in Loop: Header=BB6_3661 Depth=2
	s_or_saveexec_b32 s40, s40
	v_mov_b32_e32 v119, 0x7f800001
	s_xor_b32 exec_lo, exec_lo, s40
	s_cbranch_execz .LBB6_4076
.LBB6_4904:                             ;   in Loop: Header=BB6_3661 Depth=2
	v_cmp_ne_u16_sdwa s41, v107, v84 src0_sel:BYTE_0 src1_sel:DWORD
	v_mov_b32_e32 v119, 0
	s_andn2_b32 s13, s13, exec_lo
	s_and_b32 s41, s41, exec_lo
	s_or_b32 s13, s13, s41
	s_or_b32 exec_lo, exec_lo, s40
	s_and_saveexec_b32 s40, s13
	s_cbranch_execnz .LBB6_4077
	s_branch .LBB6_4078
.LBB6_4905:                             ;   in Loop: Header=BB6_3661 Depth=2
	s_or_saveexec_b32 s40, s40
	v_mov_b32_e32 v2, 0x7f800001
	s_xor_b32 exec_lo, exec_lo, s40
	s_cbranch_execz .LBB6_4082
.LBB6_4906:                             ;   in Loop: Header=BB6_3661 Depth=2
	v_cmp_ne_u16_sdwa s41, v76, v84 src0_sel:BYTE_0 src1_sel:DWORD
	v_mov_b32_e32 v2, 0
	s_andn2_b32 s13, s13, exec_lo
	s_and_b32 s41, s41, exec_lo
	s_or_b32 s13, s13, s41
	s_or_b32 exec_lo, exec_lo, s40
	s_and_saveexec_b32 s40, s13
	s_cbranch_execnz .LBB6_4083
	s_branch .LBB6_4084
.LBB6_4907:                             ;   in Loop: Header=BB6_3661 Depth=2
	s_or_saveexec_b32 s40, s40
	v_mov_b32_e32 v119, 0x7f800001
	s_xor_b32 exec_lo, exec_lo, s40
	s_cbranch_execz .LBB6_4098
.LBB6_4908:                             ;   in Loop: Header=BB6_3661 Depth=2
	v_cmp_ne_u16_sdwa s41, v106, v84 src0_sel:BYTE_0 src1_sel:DWORD
	v_mov_b32_e32 v119, 0
	s_andn2_b32 s13, s13, exec_lo
	s_and_b32 s41, s41, exec_lo
	s_or_b32 s13, s13, s41
	s_or_b32 exec_lo, exec_lo, s40
	s_and_saveexec_b32 s40, s13
	s_cbranch_execnz .LBB6_4099
	s_branch .LBB6_4100
.LBB6_4909:                             ;   in Loop: Header=BB6_3661 Depth=2
	s_or_saveexec_b32 s40, s40
	v_mov_b32_e32 v2, 0x7f800001
	s_xor_b32 exec_lo, exec_lo, s40
	s_cbranch_execz .LBB6_4104
.LBB6_4910:                             ;   in Loop: Header=BB6_3661 Depth=2
	v_cmp_ne_u16_sdwa s41, v79, v84 src0_sel:BYTE_0 src1_sel:DWORD
	v_mov_b32_e32 v2, 0
	s_andn2_b32 s13, s13, exec_lo
	s_and_b32 s41, s41, exec_lo
	s_or_b32 s13, s13, s41
	s_or_b32 exec_lo, exec_lo, s40
	s_and_saveexec_b32 s40, s13
	s_cbranch_execnz .LBB6_4105
	s_branch .LBB6_4106
.LBB6_4911:                             ;   in Loop: Header=BB6_3661 Depth=2
	s_or_saveexec_b32 s40, s40
	v_mov_b32_e32 v119, 0x7f800001
	s_xor_b32 exec_lo, exec_lo, s40
	s_cbranch_execz .LBB6_4112
.LBB6_4912:                             ;   in Loop: Header=BB6_3661 Depth=2
	v_cmp_ne_u16_sdwa s41, v106, v84 src0_sel:BYTE_0 src1_sel:DWORD
	v_mov_b32_e32 v119, 0
	s_andn2_b32 s13, s13, exec_lo
	s_and_b32 s41, s41, exec_lo
	s_or_b32 s13, s13, s41
	s_or_b32 exec_lo, exec_lo, s40
	s_and_saveexec_b32 s40, s13
	s_cbranch_execnz .LBB6_4113
	s_branch .LBB6_4114
.LBB6_4913:                             ;   in Loop: Header=BB6_3661 Depth=2
	s_or_saveexec_b32 s40, s40
	v_mov_b32_e32 v2, 0x7f800001
	s_xor_b32 exec_lo, exec_lo, s40
	s_cbranch_execz .LBB6_4118
.LBB6_4914:                             ;   in Loop: Header=BB6_3661 Depth=2
	v_cmp_ne_u16_sdwa s41, v79, v84 src0_sel:BYTE_0 src1_sel:DWORD
	v_mov_b32_e32 v2, 0
	s_andn2_b32 s13, s13, exec_lo
	s_and_b32 s41, s41, exec_lo
	s_or_b32 s13, s13, s41
	s_or_b32 exec_lo, exec_lo, s40
	s_and_saveexec_b32 s40, s13
	s_cbranch_execnz .LBB6_4119
	s_branch .LBB6_4120
.LBB6_4915:                             ;   in Loop: Header=BB6_3661 Depth=2
	s_or_saveexec_b32 s40, s40
	v_mov_b32_e32 v119, 0x7f800001
	s_xor_b32 exec_lo, exec_lo, s40
	s_cbranch_execz .LBB6_4134
.LBB6_4916:                             ;   in Loop: Header=BB6_3661 Depth=2
	v_cmp_ne_u16_sdwa s41, v105, v84 src0_sel:BYTE_0 src1_sel:DWORD
	v_mov_b32_e32 v119, 0
	s_andn2_b32 s13, s13, exec_lo
	s_and_b32 s41, s41, exec_lo
	s_or_b32 s13, s13, s41
	s_or_b32 exec_lo, exec_lo, s40
	s_and_saveexec_b32 s40, s13
	s_cbranch_execnz .LBB6_4135
	s_branch .LBB6_4136
.LBB6_4917:                             ;   in Loop: Header=BB6_3661 Depth=2
	s_or_saveexec_b32 s40, s40
	v_mov_b32_e32 v2, 0x7f800001
	s_xor_b32 exec_lo, exec_lo, s40
	s_cbranch_execz .LBB6_4140
.LBB6_4918:                             ;   in Loop: Header=BB6_3661 Depth=2
	v_cmp_ne_u16_sdwa s41, v90, v84 src0_sel:BYTE_0 src1_sel:DWORD
	v_mov_b32_e32 v2, 0
	s_andn2_b32 s13, s13, exec_lo
	s_and_b32 s41, s41, exec_lo
	s_or_b32 s13, s13, s41
	s_or_b32 exec_lo, exec_lo, s40
	s_and_saveexec_b32 s40, s13
	s_cbranch_execnz .LBB6_4141
	s_branch .LBB6_4142
.LBB6_4919:                             ;   in Loop: Header=BB6_3661 Depth=2
	s_or_saveexec_b32 s40, s40
	v_mov_b32_e32 v119, 0x7f800001
	s_xor_b32 exec_lo, exec_lo, s40
	s_cbranch_execz .LBB6_4148
.LBB6_4920:                             ;   in Loop: Header=BB6_3661 Depth=2
	v_cmp_ne_u16_sdwa s41, v105, v84 src0_sel:BYTE_0 src1_sel:DWORD
	v_mov_b32_e32 v119, 0
	s_andn2_b32 s13, s13, exec_lo
	s_and_b32 s41, s41, exec_lo
	s_or_b32 s13, s13, s41
	s_or_b32 exec_lo, exec_lo, s40
	s_and_saveexec_b32 s40, s13
	s_cbranch_execnz .LBB6_4149
	s_branch .LBB6_4150
.LBB6_4921:                             ;   in Loop: Header=BB6_3661 Depth=2
	s_or_saveexec_b32 s40, s40
	v_mov_b32_e32 v2, 0x7f800001
	s_xor_b32 exec_lo, exec_lo, s40
	s_cbranch_execz .LBB6_4154
.LBB6_4922:                             ;   in Loop: Header=BB6_3661 Depth=2
	v_cmp_ne_u16_sdwa s41, v90, v84 src0_sel:BYTE_0 src1_sel:DWORD
	v_mov_b32_e32 v2, 0
	s_andn2_b32 s13, s13, exec_lo
	s_and_b32 s41, s41, exec_lo
	s_or_b32 s13, s13, s41
	s_or_b32 exec_lo, exec_lo, s40
	s_and_saveexec_b32 s40, s13
	s_cbranch_execnz .LBB6_4155
	s_branch .LBB6_4156
.LBB6_4923:                             ;   in Loop: Header=BB6_3661 Depth=2
	s_or_saveexec_b32 s40, s40
	v_mov_b32_e32 v119, 0x7f800001
	s_xor_b32 exec_lo, exec_lo, s40
	s_cbranch_execz .LBB6_4170
.LBB6_4924:                             ;   in Loop: Header=BB6_3661 Depth=2
	v_cmp_ne_u16_sdwa s41, v104, v84 src0_sel:BYTE_0 src1_sel:DWORD
	v_mov_b32_e32 v119, 0
	s_andn2_b32 s13, s13, exec_lo
	s_and_b32 s41, s41, exec_lo
	s_or_b32 s13, s13, s41
	s_or_b32 exec_lo, exec_lo, s40
	s_and_saveexec_b32 s40, s13
	s_cbranch_execnz .LBB6_4171
	s_branch .LBB6_4172
.LBB6_4925:                             ;   in Loop: Header=BB6_3661 Depth=2
	s_or_saveexec_b32 s40, s40
	v_mov_b32_e32 v2, 0x7f800001
	s_xor_b32 exec_lo, exec_lo, s40
	s_cbranch_execz .LBB6_4176
.LBB6_4926:                             ;   in Loop: Header=BB6_3661 Depth=2
	v_cmp_ne_u16_sdwa s41, v93, v84 src0_sel:BYTE_0 src1_sel:DWORD
	v_mov_b32_e32 v2, 0
	s_andn2_b32 s13, s13, exec_lo
	s_and_b32 s41, s41, exec_lo
	s_or_b32 s13, s13, s41
	s_or_b32 exec_lo, exec_lo, s40
	s_and_saveexec_b32 s40, s13
	s_cbranch_execnz .LBB6_4177
	s_branch .LBB6_4178
.LBB6_4927:                             ;   in Loop: Header=BB6_3661 Depth=2
	s_or_saveexec_b32 s40, s40
	v_mov_b32_e32 v119, 0x7f800001
	s_xor_b32 exec_lo, exec_lo, s40
	s_cbranch_execz .LBB6_4184
.LBB6_4928:                             ;   in Loop: Header=BB6_3661 Depth=2
	v_cmp_ne_u16_sdwa s41, v104, v84 src0_sel:BYTE_0 src1_sel:DWORD
	v_mov_b32_e32 v119, 0
	s_andn2_b32 s13, s13, exec_lo
	s_and_b32 s41, s41, exec_lo
	s_or_b32 s13, s13, s41
	s_or_b32 exec_lo, exec_lo, s40
	s_and_saveexec_b32 s40, s13
	s_cbranch_execnz .LBB6_4185
	s_branch .LBB6_4186
.LBB6_4929:                             ;   in Loop: Header=BB6_3661 Depth=2
	s_or_saveexec_b32 s40, s40
	v_mov_b32_e32 v2, 0x7f800001
	s_xor_b32 exec_lo, exec_lo, s40
	s_cbranch_execz .LBB6_4190
.LBB6_4930:                             ;   in Loop: Header=BB6_3661 Depth=2
	v_cmp_ne_u16_sdwa s41, v93, v84 src0_sel:BYTE_0 src1_sel:DWORD
	v_mov_b32_e32 v2, 0
	s_andn2_b32 s13, s13, exec_lo
	s_and_b32 s41, s41, exec_lo
	s_or_b32 s13, s13, s41
	s_or_b32 exec_lo, exec_lo, s40
	s_and_saveexec_b32 s40, s13
	s_cbranch_execnz .LBB6_4191
	s_branch .LBB6_4192
.LBB6_4931:                             ;   in Loop: Header=BB6_3661 Depth=2
	s_or_saveexec_b32 s40, s40
	v_mov_b32_e32 v119, 0x7f800001
	s_xor_b32 exec_lo, exec_lo, s40
	s_cbranch_execz .LBB6_4206
.LBB6_4932:                             ;   in Loop: Header=BB6_3661 Depth=2
	v_cmp_ne_u16_sdwa s41, v95, v84 src0_sel:BYTE_0 src1_sel:DWORD
	v_mov_b32_e32 v119, 0
	s_andn2_b32 s13, s13, exec_lo
	s_and_b32 s41, s41, exec_lo
	s_or_b32 s13, s13, s41
	s_or_b32 exec_lo, exec_lo, s40
	s_and_saveexec_b32 s40, s13
	s_cbranch_execnz .LBB6_4207
	s_branch .LBB6_4208
.LBB6_4933:                             ;   in Loop: Header=BB6_3661 Depth=2
	s_or_saveexec_b32 s40, s40
	v_mov_b32_e32 v2, 0x7f800001
	s_xor_b32 exec_lo, exec_lo, s40
	s_cbranch_execz .LBB6_4212
.LBB6_4934:                             ;   in Loop: Header=BB6_3661 Depth=2
	v_cmp_ne_u16_sdwa s41, v94, v84 src0_sel:BYTE_0 src1_sel:DWORD
	v_mov_b32_e32 v2, 0
	s_andn2_b32 s13, s13, exec_lo
	s_and_b32 s41, s41, exec_lo
	s_or_b32 s13, s13, s41
	s_or_b32 exec_lo, exec_lo, s40
	s_and_saveexec_b32 s40, s13
	s_cbranch_execnz .LBB6_4213
	s_branch .LBB6_4214
.LBB6_4935:                             ;   in Loop: Header=BB6_3661 Depth=2
	s_or_saveexec_b32 s40, s40
	v_mov_b32_e32 v119, 0x7f800001
	s_xor_b32 exec_lo, exec_lo, s40
	s_cbranch_execz .LBB6_4220
.LBB6_4936:                             ;   in Loop: Header=BB6_3661 Depth=2
	v_cmp_ne_u16_sdwa s41, v95, v84 src0_sel:BYTE_0 src1_sel:DWORD
	v_mov_b32_e32 v119, 0
	s_andn2_b32 s13, s13, exec_lo
	s_and_b32 s41, s41, exec_lo
	s_or_b32 s13, s13, s41
	s_or_b32 exec_lo, exec_lo, s40
	s_and_saveexec_b32 s40, s13
	s_cbranch_execnz .LBB6_4221
	s_branch .LBB6_4222
.LBB6_4937:                             ;   in Loop: Header=BB6_3661 Depth=2
	s_or_saveexec_b32 s40, s40
	v_mov_b32_e32 v2, 0x7f800001
	s_xor_b32 exec_lo, exec_lo, s40
	s_cbranch_execz .LBB6_4226
.LBB6_4938:                             ;   in Loop: Header=BB6_3661 Depth=2
	v_cmp_ne_u16_sdwa s41, v94, v84 src0_sel:BYTE_0 src1_sel:DWORD
	v_mov_b32_e32 v2, 0
	s_andn2_b32 s13, s13, exec_lo
	s_and_b32 s41, s41, exec_lo
	s_or_b32 s13, s13, s41
	s_or_b32 exec_lo, exec_lo, s40
	s_and_saveexec_b32 s40, s13
	s_cbranch_execnz .LBB6_4227
	s_branch .LBB6_4228
.LBB6_4939:                             ;   in Loop: Header=BB6_3661 Depth=2
	s_or_saveexec_b32 s40, s40
	v_mov_b32_e32 v119, 0x7f800001
	s_xor_b32 exec_lo, exec_lo, s40
	s_cbranch_execz .LBB6_4242
.LBB6_4940:                             ;   in Loop: Header=BB6_3661 Depth=2
	v_cmp_ne_u16_sdwa s41, v92, v84 src0_sel:BYTE_0 src1_sel:DWORD
	v_mov_b32_e32 v119, 0
	s_andn2_b32 s13, s13, exec_lo
	s_and_b32 s41, s41, exec_lo
	s_or_b32 s13, s13, s41
	s_or_b32 exec_lo, exec_lo, s40
	s_and_saveexec_b32 s40, s13
	s_cbranch_execnz .LBB6_4243
	s_branch .LBB6_4244
.LBB6_4941:                             ;   in Loop: Header=BB6_3661 Depth=2
	s_or_saveexec_b32 s40, s40
	v_mov_b32_e32 v2, 0x7f800001
	s_xor_b32 exec_lo, exec_lo, s40
	s_cbranch_execz .LBB6_4248
.LBB6_4942:                             ;   in Loop: Header=BB6_3661 Depth=2
	v_cmp_ne_u16_sdwa s41, v91, v84 src0_sel:BYTE_0 src1_sel:DWORD
	v_mov_b32_e32 v2, 0
	s_andn2_b32 s13, s13, exec_lo
	s_and_b32 s41, s41, exec_lo
	s_or_b32 s13, s13, s41
	s_or_b32 exec_lo, exec_lo, s40
	s_and_saveexec_b32 s40, s13
	s_cbranch_execnz .LBB6_4249
	s_branch .LBB6_4250
.LBB6_4943:                             ;   in Loop: Header=BB6_3661 Depth=2
	s_or_saveexec_b32 s40, s40
	v_mov_b32_e32 v119, 0x7f800001
	s_xor_b32 exec_lo, exec_lo, s40
	s_cbranch_execz .LBB6_4256
.LBB6_4944:                             ;   in Loop: Header=BB6_3661 Depth=2
	v_cmp_ne_u16_sdwa s41, v92, v84 src0_sel:BYTE_0 src1_sel:DWORD
	v_mov_b32_e32 v119, 0
	s_andn2_b32 s13, s13, exec_lo
	s_and_b32 s41, s41, exec_lo
	s_or_b32 s13, s13, s41
	s_or_b32 exec_lo, exec_lo, s40
	s_and_saveexec_b32 s40, s13
	s_cbranch_execnz .LBB6_4257
	s_branch .LBB6_4258
.LBB6_4945:                             ;   in Loop: Header=BB6_3661 Depth=2
	s_or_saveexec_b32 s40, s40
	v_mov_b32_e32 v2, 0x7f800001
	s_xor_b32 exec_lo, exec_lo, s40
	s_cbranch_execz .LBB6_4262
.LBB6_4946:                             ;   in Loop: Header=BB6_3661 Depth=2
	v_cmp_ne_u16_sdwa s41, v91, v84 src0_sel:BYTE_0 src1_sel:DWORD
	v_mov_b32_e32 v2, 0
	s_andn2_b32 s13, s13, exec_lo
	s_and_b32 s41, s41, exec_lo
	s_or_b32 s13, s13, s41
	s_or_b32 exec_lo, exec_lo, s40
	s_and_saveexec_b32 s40, s13
	s_cbranch_execnz .LBB6_4263
	s_branch .LBB6_4264
.LBB6_4947:                             ;   in Loop: Header=BB6_3661 Depth=2
	s_or_saveexec_b32 s40, s40
	v_mov_b32_e32 v119, 0x7f800001
	s_xor_b32 exec_lo, exec_lo, s40
	s_cbranch_execz .LBB6_4278
.LBB6_4948:                             ;   in Loop: Header=BB6_3661 Depth=2
	v_cmp_ne_u16_sdwa s41, v89, v84 src0_sel:BYTE_0 src1_sel:DWORD
	v_mov_b32_e32 v119, 0
	s_andn2_b32 s13, s13, exec_lo
	s_and_b32 s41, s41, exec_lo
	s_or_b32 s13, s13, s41
	s_or_b32 exec_lo, exec_lo, s40
	s_and_saveexec_b32 s40, s13
	s_cbranch_execnz .LBB6_4279
	s_branch .LBB6_4280
.LBB6_4949:                             ;   in Loop: Header=BB6_3661 Depth=2
	s_or_saveexec_b32 s40, s40
	v_mov_b32_e32 v2, 0x7f800001
	s_xor_b32 exec_lo, exec_lo, s40
	s_cbranch_execz .LBB6_4284
.LBB6_4950:                             ;   in Loop: Header=BB6_3661 Depth=2
	v_cmp_ne_u16_sdwa s41, v88, v84 src0_sel:BYTE_0 src1_sel:DWORD
	v_mov_b32_e32 v2, 0
	s_andn2_b32 s13, s13, exec_lo
	s_and_b32 s41, s41, exec_lo
	s_or_b32 s13, s13, s41
	s_or_b32 exec_lo, exec_lo, s40
	s_and_saveexec_b32 s40, s13
	s_cbranch_execnz .LBB6_4285
	s_branch .LBB6_4286
.LBB6_4951:                             ;   in Loop: Header=BB6_3661 Depth=2
	s_or_saveexec_b32 s40, s40
	v_mov_b32_e32 v119, 0x7f800001
	s_xor_b32 exec_lo, exec_lo, s40
	s_cbranch_execz .LBB6_4292
.LBB6_4952:                             ;   in Loop: Header=BB6_3661 Depth=2
	v_cmp_ne_u16_sdwa s41, v89, v84 src0_sel:BYTE_0 src1_sel:DWORD
	v_mov_b32_e32 v119, 0
	s_andn2_b32 s13, s13, exec_lo
	s_and_b32 s41, s41, exec_lo
	s_or_b32 s13, s13, s41
	s_or_b32 exec_lo, exec_lo, s40
	s_and_saveexec_b32 s40, s13
	s_cbranch_execnz .LBB6_4293
	s_branch .LBB6_4294
.LBB6_4953:                             ;   in Loop: Header=BB6_3661 Depth=2
	s_or_saveexec_b32 s40, s40
	v_mov_b32_e32 v2, 0x7f800001
	s_xor_b32 exec_lo, exec_lo, s40
	s_cbranch_execz .LBB6_4298
.LBB6_4954:                             ;   in Loop: Header=BB6_3661 Depth=2
	v_cmp_ne_u16_sdwa s41, v88, v84 src0_sel:BYTE_0 src1_sel:DWORD
	v_mov_b32_e32 v2, 0
	s_andn2_b32 s13, s13, exec_lo
	s_and_b32 s41, s41, exec_lo
	s_or_b32 s13, s13, s41
	s_or_b32 exec_lo, exec_lo, s40
	s_and_saveexec_b32 s40, s13
	s_cbranch_execnz .LBB6_4299
	s_branch .LBB6_4300
.LBB6_4955:                             ;   in Loop: Header=BB6_3661 Depth=2
	s_or_saveexec_b32 s40, s40
	v_mov_b32_e32 v119, 0x7f800001
	s_xor_b32 exec_lo, exec_lo, s40
	s_cbranch_execz .LBB6_4314
.LBB6_4956:                             ;   in Loop: Header=BB6_3661 Depth=2
	v_cmp_ne_u16_sdwa s41, v78, v84 src0_sel:BYTE_0 src1_sel:DWORD
	v_mov_b32_e32 v119, 0
	s_andn2_b32 s13, s13, exec_lo
	s_and_b32 s41, s41, exec_lo
	s_or_b32 s13, s13, s41
	s_or_b32 exec_lo, exec_lo, s40
	s_and_saveexec_b32 s40, s13
	s_cbranch_execnz .LBB6_4315
	s_branch .LBB6_4316
.LBB6_4957:                             ;   in Loop: Header=BB6_3661 Depth=2
	s_or_saveexec_b32 s40, s40
	v_mov_b32_e32 v2, 0x7f800001
	s_xor_b32 exec_lo, exec_lo, s40
	s_cbranch_execz .LBB6_4320
.LBB6_4958:                             ;   in Loop: Header=BB6_3661 Depth=2
	v_cmp_ne_u16_sdwa s41, v77, v84 src0_sel:BYTE_0 src1_sel:DWORD
	v_mov_b32_e32 v2, 0
	s_andn2_b32 s13, s13, exec_lo
	s_and_b32 s41, s41, exec_lo
	s_or_b32 s13, s13, s41
	s_or_b32 exec_lo, exec_lo, s40
	s_and_saveexec_b32 s40, s13
	s_cbranch_execnz .LBB6_4321
	s_branch .LBB6_4322
.LBB6_4959:                             ;   in Loop: Header=BB6_3661 Depth=2
	s_or_saveexec_b32 s40, s40
	v_mov_b32_e32 v119, 0x7f800001
	s_xor_b32 exec_lo, exec_lo, s40
	s_cbranch_execz .LBB6_4328
.LBB6_4960:                             ;   in Loop: Header=BB6_3661 Depth=2
	v_cmp_ne_u16_sdwa s41, v78, v84 src0_sel:BYTE_0 src1_sel:DWORD
	v_mov_b32_e32 v119, 0
	s_andn2_b32 s13, s13, exec_lo
	s_and_b32 s41, s41, exec_lo
	s_or_b32 s13, s13, s41
	s_or_b32 exec_lo, exec_lo, s40
	s_and_saveexec_b32 s40, s13
	s_cbranch_execnz .LBB6_4329
	s_branch .LBB6_4330
.LBB6_4961:                             ;   in Loop: Header=BB6_3661 Depth=2
	s_or_saveexec_b32 s40, s40
	v_mov_b32_e32 v2, 0x7f800001
	s_xor_b32 exec_lo, exec_lo, s40
	s_cbranch_execz .LBB6_4334
.LBB6_4962:                             ;   in Loop: Header=BB6_3661 Depth=2
	v_cmp_ne_u16_sdwa s41, v77, v84 src0_sel:BYTE_0 src1_sel:DWORD
	v_mov_b32_e32 v2, 0
	s_andn2_b32 s13, s13, exec_lo
	s_and_b32 s41, s41, exec_lo
	s_or_b32 s13, s13, s41
	s_or_b32 exec_lo, exec_lo, s40
	s_and_saveexec_b32 s40, s13
	s_cbranch_execnz .LBB6_4335
	s_branch .LBB6_4336
.LBB6_4963:                             ;   in Loop: Header=BB6_3661 Depth=2
	s_or_saveexec_b32 s40, s40
	v_mov_b32_e32 v119, 0x7f800001
	s_xor_b32 exec_lo, exec_lo, s40
	s_cbranch_execz .LBB6_4350
.LBB6_4964:                             ;   in Loop: Header=BB6_3661 Depth=2
	v_cmp_ne_u16_sdwa s41, v75, v84 src0_sel:BYTE_0 src1_sel:DWORD
	v_mov_b32_e32 v119, 0
	s_andn2_b32 s13, s13, exec_lo
	s_and_b32 s41, s41, exec_lo
	s_or_b32 s13, s13, s41
	s_or_b32 exec_lo, exec_lo, s40
	s_and_saveexec_b32 s40, s13
	s_cbranch_execnz .LBB6_4351
	s_branch .LBB6_4352
.LBB6_4965:                             ;   in Loop: Header=BB6_3661 Depth=2
	s_or_saveexec_b32 s40, s40
	v_mov_b32_e32 v2, 0x7f800001
	s_xor_b32 exec_lo, exec_lo, s40
	s_cbranch_execz .LBB6_4356
.LBB6_4966:                             ;   in Loop: Header=BB6_3661 Depth=2
	v_cmp_ne_u16_sdwa s41, v74, v84 src0_sel:BYTE_0 src1_sel:DWORD
	v_mov_b32_e32 v2, 0
	s_andn2_b32 s13, s13, exec_lo
	s_and_b32 s41, s41, exec_lo
	s_or_b32 s13, s13, s41
	s_or_b32 exec_lo, exec_lo, s40
	s_and_saveexec_b32 s40, s13
	s_cbranch_execnz .LBB6_4357
	s_branch .LBB6_4358
.LBB6_4967:                             ;   in Loop: Header=BB6_3661 Depth=2
	s_or_saveexec_b32 s40, s40
	v_mov_b32_e32 v119, 0x7f800001
	s_xor_b32 exec_lo, exec_lo, s40
	s_cbranch_execz .LBB6_4364
.LBB6_4968:                             ;   in Loop: Header=BB6_3661 Depth=2
	v_cmp_ne_u16_sdwa s41, v75, v84 src0_sel:BYTE_0 src1_sel:DWORD
	v_mov_b32_e32 v119, 0
	s_andn2_b32 s13, s13, exec_lo
	s_and_b32 s41, s41, exec_lo
	s_or_b32 s13, s13, s41
	s_or_b32 exec_lo, exec_lo, s40
	s_and_saveexec_b32 s40, s13
	s_cbranch_execnz .LBB6_4365
	s_branch .LBB6_4366
.LBB6_4969:                             ;   in Loop: Header=BB6_3661 Depth=2
	s_or_saveexec_b32 s40, s40
	v_mov_b32_e32 v2, 0x7f800001
	s_xor_b32 exec_lo, exec_lo, s40
	s_cbranch_execz .LBB6_4370
.LBB6_4970:                             ;   in Loop: Header=BB6_3661 Depth=2
	v_cmp_ne_u16_sdwa s41, v74, v84 src0_sel:BYTE_0 src1_sel:DWORD
	v_mov_b32_e32 v2, 0
	s_andn2_b32 s13, s13, exec_lo
	s_and_b32 s41, s41, exec_lo
	s_or_b32 s13, s13, s41
	s_or_b32 exec_lo, exec_lo, s40
	s_and_saveexec_b32 s40, s13
	s_cbranch_execnz .LBB6_4371
	s_branch .LBB6_4372
.LBB6_4971:                             ;   in Loop: Header=BB6_3661 Depth=2
	s_or_saveexec_b32 s40, s40
	v_mov_b32_e32 v119, 0x7f800001
	s_xor_b32 exec_lo, exec_lo, s40
	s_cbranch_execz .LBB6_4386
.LBB6_4972:                             ;   in Loop: Header=BB6_3661 Depth=2
	v_cmp_ne_u16_sdwa s41, v72, v84 src0_sel:BYTE_0 src1_sel:DWORD
	v_mov_b32_e32 v119, 0
	s_andn2_b32 s13, s13, exec_lo
	s_and_b32 s41, s41, exec_lo
	s_or_b32 s13, s13, s41
	s_or_b32 exec_lo, exec_lo, s40
	s_and_saveexec_b32 s40, s13
	s_cbranch_execnz .LBB6_4387
	s_branch .LBB6_4388
.LBB6_4973:                             ;   in Loop: Header=BB6_3661 Depth=2
	s_or_saveexec_b32 s40, s40
	v_mov_b32_e32 v2, 0x7f800001
	s_xor_b32 exec_lo, exec_lo, s40
	s_cbranch_execz .LBB6_4392
.LBB6_4974:                             ;   in Loop: Header=BB6_3661 Depth=2
	v_cmp_ne_u16_sdwa s41, v63, v84 src0_sel:BYTE_0 src1_sel:DWORD
	v_mov_b32_e32 v2, 0
	s_andn2_b32 s13, s13, exec_lo
	s_and_b32 s41, s41, exec_lo
	s_or_b32 s13, s13, s41
	s_or_b32 exec_lo, exec_lo, s40
	s_and_saveexec_b32 s40, s13
	s_cbranch_execnz .LBB6_4393
	s_branch .LBB6_4394
.LBB6_4975:                             ;   in Loop: Header=BB6_3661 Depth=2
	s_or_saveexec_b32 s40, s40
	v_mov_b32_e32 v119, 0x7f800001
	s_xor_b32 exec_lo, exec_lo, s40
	s_cbranch_execz .LBB6_4400
.LBB6_4976:                             ;   in Loop: Header=BB6_3661 Depth=2
	v_cmp_ne_u16_sdwa s41, v72, v84 src0_sel:BYTE_0 src1_sel:DWORD
	v_mov_b32_e32 v119, 0
	s_andn2_b32 s13, s13, exec_lo
	s_and_b32 s41, s41, exec_lo
	s_or_b32 s13, s13, s41
	s_or_b32 exec_lo, exec_lo, s40
	s_and_saveexec_b32 s40, s13
	s_cbranch_execnz .LBB6_4401
	s_branch .LBB6_4402
.LBB6_4977:                             ;   in Loop: Header=BB6_3661 Depth=2
	s_or_saveexec_b32 s40, s40
	v_mov_b32_e32 v2, 0x7f800001
	s_xor_b32 exec_lo, exec_lo, s40
	s_cbranch_execz .LBB6_4406
.LBB6_4978:                             ;   in Loop: Header=BB6_3661 Depth=2
	v_cmp_ne_u16_sdwa s41, v63, v84 src0_sel:BYTE_0 src1_sel:DWORD
	v_mov_b32_e32 v2, 0
	s_andn2_b32 s13, s13, exec_lo
	s_and_b32 s41, s41, exec_lo
	s_or_b32 s13, s13, s41
	s_or_b32 exec_lo, exec_lo, s40
	s_and_saveexec_b32 s40, s13
	s_cbranch_execnz .LBB6_4407
	s_branch .LBB6_4408
.LBB6_4979:                             ;   in Loop: Header=BB6_3661 Depth=2
	s_or_saveexec_b32 s40, s40
	v_mov_b32_e32 v119, 0x7f800001
	s_xor_b32 exec_lo, exec_lo, s40
	s_cbranch_execz .LBB6_4422
.LBB6_4980:                             ;   in Loop: Header=BB6_3661 Depth=2
	v_cmp_ne_u16_sdwa s41, v115, v84 src0_sel:BYTE_0 src1_sel:DWORD
	v_mov_b32_e32 v119, 0
	s_andn2_b32 s13, s13, exec_lo
	s_and_b32 s41, s41, exec_lo
	s_or_b32 s13, s13, s41
	s_or_b32 exec_lo, exec_lo, s40
	s_and_saveexec_b32 s40, s13
	s_cbranch_execnz .LBB6_4423
	s_branch .LBB6_4424
.LBB6_4981:                             ;   in Loop: Header=BB6_3661 Depth=2
	s_or_saveexec_b32 s40, s40
	v_mov_b32_e32 v2, 0x7f800001
	s_xor_b32 exec_lo, exec_lo, s40
	s_cbranch_execz .LBB6_4428
.LBB6_4982:                             ;   in Loop: Header=BB6_3661 Depth=2
	v_cmp_ne_u16_sdwa s41, v114, v84 src0_sel:BYTE_0 src1_sel:DWORD
	v_mov_b32_e32 v2, 0
	s_andn2_b32 s13, s13, exec_lo
	s_and_b32 s41, s41, exec_lo
	s_or_b32 s13, s13, s41
	s_or_b32 exec_lo, exec_lo, s40
	s_and_saveexec_b32 s40, s13
	s_cbranch_execnz .LBB6_4429
	s_branch .LBB6_4430
.LBB6_4983:                             ;   in Loop: Header=BB6_3661 Depth=2
	s_or_saveexec_b32 s40, s40
	v_mov_b32_e32 v119, 0x7f800001
	s_xor_b32 exec_lo, exec_lo, s40
	s_cbranch_execz .LBB6_4436
.LBB6_4984:                             ;   in Loop: Header=BB6_3661 Depth=2
	v_cmp_ne_u16_sdwa s41, v115, v84 src0_sel:BYTE_0 src1_sel:DWORD
	v_mov_b32_e32 v119, 0
	s_andn2_b32 s13, s13, exec_lo
	s_and_b32 s41, s41, exec_lo
	s_or_b32 s13, s13, s41
	s_or_b32 exec_lo, exec_lo, s40
	s_and_saveexec_b32 s40, s13
	s_cbranch_execnz .LBB6_4437
	s_branch .LBB6_4438
.LBB6_4985:                             ;   in Loop: Header=BB6_3661 Depth=2
	s_or_saveexec_b32 s40, s40
	v_mov_b32_e32 v2, 0x7f800001
	s_xor_b32 exec_lo, exec_lo, s40
	s_cbranch_execz .LBB6_4442
.LBB6_4986:                             ;   in Loop: Header=BB6_3661 Depth=2
	v_cmp_ne_u16_sdwa s41, v114, v84 src0_sel:BYTE_0 src1_sel:DWORD
	v_mov_b32_e32 v2, 0
	s_andn2_b32 s13, s13, exec_lo
	s_and_b32 s41, s41, exec_lo
	s_or_b32 s13, s13, s41
	s_or_b32 exec_lo, exec_lo, s40
	s_and_saveexec_b32 s40, s13
	s_cbranch_execnz .LBB6_4443
	s_branch .LBB6_4444
.LBB6_4987:                             ;   in Loop: Header=BB6_3661 Depth=2
	s_or_saveexec_b32 s40, s40
	v_mov_b32_e32 v115, 0x7f800001
	s_xor_b32 exec_lo, exec_lo, s40
	s_cbranch_execz .LBB6_4458
.LBB6_4988:                             ;   in Loop: Header=BB6_3661 Depth=2
	v_cmp_ne_u16_sdwa s41, v112, v84 src0_sel:BYTE_0 src1_sel:DWORD
	v_mov_b32_e32 v115, 0
	s_andn2_b32 s13, s13, exec_lo
	s_and_b32 s41, s41, exec_lo
	s_or_b32 s13, s13, s41
	s_or_b32 exec_lo, exec_lo, s40
	s_and_saveexec_b32 s40, s13
	s_cbranch_execnz .LBB6_4459
	s_branch .LBB6_4460
.LBB6_4989:                             ;   in Loop: Header=BB6_3661 Depth=2
	s_or_saveexec_b32 s40, s40
	v_mov_b32_e32 v2, 0x7f800001
	s_xor_b32 exec_lo, exec_lo, s40
	s_cbranch_execz .LBB6_4464
.LBB6_4990:                             ;   in Loop: Header=BB6_3661 Depth=2
	v_cmp_ne_u16_sdwa s41, v103, v84 src0_sel:BYTE_0 src1_sel:DWORD
	v_mov_b32_e32 v2, 0
	s_andn2_b32 s13, s13, exec_lo
	s_and_b32 s41, s41, exec_lo
	s_or_b32 s13, s13, s41
	s_or_b32 exec_lo, exec_lo, s40
	s_and_saveexec_b32 s40, s13
	s_cbranch_execnz .LBB6_4465
	s_branch .LBB6_4466
.LBB6_4991:                             ;   in Loop: Header=BB6_3661 Depth=2
	s_or_saveexec_b32 s40, s40
	v_mov_b32_e32 v115, 0x7f800001
	s_xor_b32 exec_lo, exec_lo, s40
	s_cbranch_execz .LBB6_4472
.LBB6_4992:                             ;   in Loop: Header=BB6_3661 Depth=2
	v_cmp_ne_u16_sdwa s41, v112, v84 src0_sel:BYTE_0 src1_sel:DWORD
	v_mov_b32_e32 v115, 0
	s_andn2_b32 s13, s13, exec_lo
	s_and_b32 s41, s41, exec_lo
	s_or_b32 s13, s13, s41
	s_or_b32 exec_lo, exec_lo, s40
	s_and_saveexec_b32 s40, s13
	s_cbranch_execnz .LBB6_4473
	s_branch .LBB6_4474
.LBB6_4993:                             ;   in Loop: Header=BB6_3661 Depth=2
	s_or_saveexec_b32 s40, s40
	v_mov_b32_e32 v2, 0x7f800001
	s_xor_b32 exec_lo, exec_lo, s40
	s_cbranch_execz .LBB6_4478
.LBB6_4994:                             ;   in Loop: Header=BB6_3661 Depth=2
	v_cmp_ne_u16_sdwa s41, v103, v84 src0_sel:BYTE_0 src1_sel:DWORD
	v_mov_b32_e32 v2, 0
	s_andn2_b32 s13, s13, exec_lo
	s_and_b32 s41, s41, exec_lo
	s_or_b32 s13, s13, s41
	s_or_b32 exec_lo, exec_lo, s40
	s_and_saveexec_b32 s40, s13
	s_cbranch_execnz .LBB6_4479
	s_branch .LBB6_4480
.LBB6_4995:                             ;   in Loop: Header=BB6_3661 Depth=2
	s_or_saveexec_b32 s40, s40
	v_mov_b32_e32 v112, 0x7f800001
	s_xor_b32 exec_lo, exec_lo, s40
	s_cbranch_execz .LBB6_4494
.LBB6_4996:                             ;   in Loop: Header=BB6_3661 Depth=2
	v_cmp_ne_u16_sdwa s41, v101, v84 src0_sel:BYTE_0 src1_sel:DWORD
	v_mov_b32_e32 v112, 0
	s_andn2_b32 s13, s13, exec_lo
	s_and_b32 s41, s41, exec_lo
	s_or_b32 s13, s13, s41
	s_or_b32 exec_lo, exec_lo, s40
	s_and_saveexec_b32 s40, s13
	s_cbranch_execnz .LBB6_4495
	s_branch .LBB6_4496
.LBB6_4997:                             ;   in Loop: Header=BB6_3661 Depth=2
	s_or_saveexec_b32 s40, s40
	v_mov_b32_e32 v2, 0x7f800001
	s_xor_b32 exec_lo, exec_lo, s40
	s_cbranch_execz .LBB6_4500
.LBB6_4998:                             ;   in Loop: Header=BB6_3661 Depth=2
	v_cmp_ne_u16_sdwa s41, v100, v84 src0_sel:BYTE_0 src1_sel:DWORD
	v_mov_b32_e32 v2, 0
	s_andn2_b32 s13, s13, exec_lo
	s_and_b32 s41, s41, exec_lo
	s_or_b32 s13, s13, s41
	s_or_b32 exec_lo, exec_lo, s40
	s_and_saveexec_b32 s40, s13
	s_cbranch_execnz .LBB6_4501
	s_branch .LBB6_4502
.LBB6_4999:                             ;   in Loop: Header=BB6_3661 Depth=2
	s_or_saveexec_b32 s40, s40
	v_mov_b32_e32 v112, 0x7f800001
	s_xor_b32 exec_lo, exec_lo, s40
	s_cbranch_execz .LBB6_4508
.LBB6_5000:                             ;   in Loop: Header=BB6_3661 Depth=2
	v_cmp_ne_u16_sdwa s41, v101, v84 src0_sel:BYTE_0 src1_sel:DWORD
	v_mov_b32_e32 v112, 0
	s_andn2_b32 s13, s13, exec_lo
	s_and_b32 s41, s41, exec_lo
	s_or_b32 s13, s13, s41
	s_or_b32 exec_lo, exec_lo, s40
	s_and_saveexec_b32 s40, s13
	s_cbranch_execnz .LBB6_4509
	s_branch .LBB6_4510
.LBB6_5001:                             ;   in Loop: Header=BB6_3661 Depth=2
	s_or_saveexec_b32 s40, s40
	v_mov_b32_e32 v2, 0x7f800001
	s_xor_b32 exec_lo, exec_lo, s40
	s_cbranch_execz .LBB6_4514
.LBB6_5002:                             ;   in Loop: Header=BB6_3661 Depth=2
	v_cmp_ne_u16_sdwa s41, v100, v84 src0_sel:BYTE_0 src1_sel:DWORD
	v_mov_b32_e32 v2, 0
	s_andn2_b32 s13, s13, exec_lo
	s_and_b32 s41, s41, exec_lo
	s_or_b32 s13, s13, s41
	s_or_b32 exec_lo, exec_lo, s40
	s_and_saveexec_b32 s40, s13
	s_cbranch_execnz .LBB6_4515
	s_branch .LBB6_4516
.LBB6_5003:                             ;   in Loop: Header=BB6_3661 Depth=2
	s_or_saveexec_b32 s40, s40
	v_mov_b32_e32 v101, 0x7f800001
	s_xor_b32 exec_lo, exec_lo, s40
	s_cbranch_execz .LBB6_4530
.LBB6_5004:                             ;   in Loop: Header=BB6_3661 Depth=2
	v_cmp_ne_u16_sdwa s41, v98, v84 src0_sel:BYTE_0 src1_sel:DWORD
	v_mov_b32_e32 v101, 0
	s_andn2_b32 s13, s13, exec_lo
	s_and_b32 s41, s41, exec_lo
	s_or_b32 s13, s13, s41
	s_or_b32 exec_lo, exec_lo, s40
	s_and_saveexec_b32 s40, s13
	s_cbranch_execnz .LBB6_4531
	s_branch .LBB6_4532
.LBB6_5005:                             ;   in Loop: Header=BB6_3661 Depth=2
	s_or_saveexec_b32 s40, s40
	v_mov_b32_e32 v2, 0x7f800001
	s_xor_b32 exec_lo, exec_lo, s40
	s_cbranch_execz .LBB6_4536
.LBB6_5006:                             ;   in Loop: Header=BB6_3661 Depth=2
	v_cmp_ne_u16_sdwa s41, v51, v84 src0_sel:BYTE_0 src1_sel:DWORD
	v_mov_b32_e32 v2, 0
	s_andn2_b32 s13, s13, exec_lo
	s_and_b32 s41, s41, exec_lo
	s_or_b32 s13, s13, s41
	s_or_b32 exec_lo, exec_lo, s40
	s_and_saveexec_b32 s40, s13
	s_cbranch_execnz .LBB6_4537
	s_branch .LBB6_4538
.LBB6_5007:                             ;   in Loop: Header=BB6_3661 Depth=2
	s_or_saveexec_b32 s40, s40
	v_mov_b32_e32 v101, 0x7f800001
	s_xor_b32 exec_lo, exec_lo, s40
	s_cbranch_execz .LBB6_4544
.LBB6_5008:                             ;   in Loop: Header=BB6_3661 Depth=2
	v_cmp_ne_u16_sdwa s41, v98, v84 src0_sel:BYTE_0 src1_sel:DWORD
	v_mov_b32_e32 v101, 0
	s_andn2_b32 s13, s13, exec_lo
	s_and_b32 s41, s41, exec_lo
	s_or_b32 s13, s13, s41
	s_or_b32 exec_lo, exec_lo, s40
	s_and_saveexec_b32 s40, s13
	s_cbranch_execnz .LBB6_4545
	s_branch .LBB6_4546
.LBB6_5009:                             ;   in Loop: Header=BB6_3661 Depth=2
	s_or_saveexec_b32 s40, s40
	v_mov_b32_e32 v2, 0x7f800001
	s_xor_b32 exec_lo, exec_lo, s40
	s_cbranch_execz .LBB6_4550
.LBB6_5010:                             ;   in Loop: Header=BB6_3661 Depth=2
	v_cmp_ne_u16_sdwa s41, v51, v84 src0_sel:BYTE_0 src1_sel:DWORD
	v_mov_b32_e32 v2, 0
	s_andn2_b32 s13, s13, exec_lo
	s_and_b32 s41, s41, exec_lo
	s_or_b32 s13, s13, s41
	s_or_b32 exec_lo, exec_lo, s40
	s_and_saveexec_b32 s40, s13
	s_cbranch_execnz .LBB6_4551
	s_branch .LBB6_4552
.LBB6_5011:                             ;   in Loop: Header=BB6_3661 Depth=2
	s_or_saveexec_b32 s40, s40
	v_mov_b32_e32 v98, 0x7f800001
	s_xor_b32 exec_lo, exec_lo, s40
	s_cbranch_execz .LBB6_4566
.LBB6_5012:                             ;   in Loop: Header=BB6_3661 Depth=2
	v_cmp_ne_u16_sdwa s41, v49, v84 src0_sel:BYTE_0 src1_sel:DWORD
	v_mov_b32_e32 v98, 0
	s_andn2_b32 s13, s13, exec_lo
	s_and_b32 s41, s41, exec_lo
	s_or_b32 s13, s13, s41
	s_or_b32 exec_lo, exec_lo, s40
	s_and_saveexec_b32 s40, s13
	s_cbranch_execnz .LBB6_4567
	s_branch .LBB6_4568
.LBB6_5013:                             ;   in Loop: Header=BB6_3661 Depth=2
	s_or_saveexec_b32 s40, s40
	v_mov_b32_e32 v2, 0x7f800001
	s_xor_b32 exec_lo, exec_lo, s40
	s_cbranch_execz .LBB6_4572
.LBB6_5014:                             ;   in Loop: Header=BB6_3661 Depth=2
	v_cmp_ne_u16_sdwa s41, v48, v84 src0_sel:BYTE_0 src1_sel:DWORD
	v_mov_b32_e32 v2, 0
	s_andn2_b32 s13, s13, exec_lo
	s_and_b32 s41, s41, exec_lo
	s_or_b32 s13, s13, s41
	s_or_b32 exec_lo, exec_lo, s40
	s_and_saveexec_b32 s40, s13
	s_cbranch_execnz .LBB6_4573
	s_branch .LBB6_4574
.LBB6_5015:                             ;   in Loop: Header=BB6_3661 Depth=2
	s_or_saveexec_b32 s40, s40
	v_mov_b32_e32 v98, 0x7f800001
	s_xor_b32 exec_lo, exec_lo, s40
	s_cbranch_execz .LBB6_4580
.LBB6_5016:                             ;   in Loop: Header=BB6_3661 Depth=2
	v_cmp_ne_u16_sdwa s41, v49, v84 src0_sel:BYTE_0 src1_sel:DWORD
	v_mov_b32_e32 v98, 0
	s_andn2_b32 s13, s13, exec_lo
	s_and_b32 s41, s41, exec_lo
	s_or_b32 s13, s13, s41
	s_or_b32 exec_lo, exec_lo, s40
	s_and_saveexec_b32 s40, s13
	s_cbranch_execnz .LBB6_4581
	s_branch .LBB6_4582
.LBB6_5017:                             ;   in Loop: Header=BB6_3661 Depth=2
	s_or_saveexec_b32 s40, s40
	v_mov_b32_e32 v2, 0x7f800001
	s_xor_b32 exec_lo, exec_lo, s40
	s_cbranch_execz .LBB6_4586
.LBB6_5018:                             ;   in Loop: Header=BB6_3661 Depth=2
	v_cmp_ne_u16_sdwa s41, v48, v84 src0_sel:BYTE_0 src1_sel:DWORD
	v_mov_b32_e32 v2, 0
	s_andn2_b32 s13, s13, exec_lo
	s_and_b32 s41, s41, exec_lo
	s_or_b32 s13, s13, s41
	s_or_b32 exec_lo, exec_lo, s40
	s_and_saveexec_b32 s40, s13
	s_cbranch_execnz .LBB6_4587
	s_branch .LBB6_4588
.LBB6_5019:                             ;   in Loop: Header=BB6_3661 Depth=2
	s_or_saveexec_b32 s40, s40
	v_mov_b32_e32 v49, 0x7f800001
	s_xor_b32 exec_lo, exec_lo, s40
	s_cbranch_execz .LBB6_4602
.LBB6_5020:                             ;   in Loop: Header=BB6_3661 Depth=2
	v_cmp_ne_u16_sdwa s41, v38, v84 src0_sel:BYTE_0 src1_sel:DWORD
	v_mov_b32_e32 v49, 0
	s_andn2_b32 s13, s13, exec_lo
	s_and_b32 s41, s41, exec_lo
	s_or_b32 s13, s13, s41
	s_or_b32 exec_lo, exec_lo, s40
	s_and_saveexec_b32 s40, s13
	s_cbranch_execnz .LBB6_4603
	s_branch .LBB6_4604
.LBB6_5021:                             ;   in Loop: Header=BB6_3661 Depth=2
	s_or_saveexec_b32 s40, s40
	v_mov_b32_e32 v2, 0x7f800001
	s_xor_b32 exec_lo, exec_lo, s40
	s_cbranch_execz .LBB6_4608
.LBB6_5022:                             ;   in Loop: Header=BB6_3661 Depth=2
	v_cmp_ne_u16_sdwa s41, v37, v84 src0_sel:BYTE_0 src1_sel:DWORD
	v_mov_b32_e32 v2, 0
	s_andn2_b32 s13, s13, exec_lo
	s_and_b32 s41, s41, exec_lo
	s_or_b32 s13, s13, s41
	s_or_b32 exec_lo, exec_lo, s40
	s_and_saveexec_b32 s40, s13
	s_cbranch_execnz .LBB6_4609
	s_branch .LBB6_4610
.LBB6_5023:                             ;   in Loop: Header=BB6_3661 Depth=2
	s_or_saveexec_b32 s40, s40
	v_mov_b32_e32 v49, 0x7f800001
	s_xor_b32 exec_lo, exec_lo, s40
	s_cbranch_execz .LBB6_4616
.LBB6_5024:                             ;   in Loop: Header=BB6_3661 Depth=2
	v_cmp_ne_u16_sdwa s41, v38, v84 src0_sel:BYTE_0 src1_sel:DWORD
	v_mov_b32_e32 v49, 0
	s_andn2_b32 s13, s13, exec_lo
	s_and_b32 s41, s41, exec_lo
	s_or_b32 s13, s13, s41
	s_or_b32 exec_lo, exec_lo, s40
	s_and_saveexec_b32 s40, s13
	s_cbranch_execnz .LBB6_4617
	s_branch .LBB6_4618
.LBB6_5025:                             ;   in Loop: Header=BB6_3661 Depth=2
	s_or_saveexec_b32 s40, s40
	v_mov_b32_e32 v2, 0x7f800001
	s_xor_b32 exec_lo, exec_lo, s40
	s_cbranch_execz .LBB6_4622
.LBB6_5026:                             ;   in Loop: Header=BB6_3661 Depth=2
	v_cmp_ne_u16_sdwa s41, v37, v84 src0_sel:BYTE_0 src1_sel:DWORD
	v_mov_b32_e32 v2, 0
	s_andn2_b32 s13, s13, exec_lo
	s_and_b32 s41, s41, exec_lo
	s_or_b32 s13, s13, s41
	s_or_b32 exec_lo, exec_lo, s40
	s_and_saveexec_b32 s40, s13
	s_cbranch_execnz .LBB6_4623
	s_branch .LBB6_4624
.LBB6_5027:                             ;   in Loop: Header=BB6_3661 Depth=2
	s_or_saveexec_b32 s40, s40
	v_mov_b32_e32 v38, 0x7f800001
	s_xor_b32 exec_lo, exec_lo, s40
	s_cbranch_execz .LBB6_4638
.LBB6_5028:                             ;   in Loop: Header=BB6_3661 Depth=2
	v_cmp_ne_u16_sdwa s41, v35, v84 src0_sel:BYTE_0 src1_sel:DWORD
	v_mov_b32_e32 v38, 0
	s_andn2_b32 s13, s13, exec_lo
	s_and_b32 s41, s41, exec_lo
	s_or_b32 s13, s13, s41
	s_or_b32 exec_lo, exec_lo, s40
	s_and_saveexec_b32 s40, s13
	s_cbranch_execnz .LBB6_4639
	s_branch .LBB6_4640
.LBB6_5029:                             ;   in Loop: Header=BB6_3661 Depth=2
	s_or_saveexec_b32 s40, s40
	v_mov_b32_e32 v2, 0x7f800001
	s_xor_b32 exec_lo, exec_lo, s40
	s_cbranch_execz .LBB6_4644
.LBB6_5030:                             ;   in Loop: Header=BB6_3661 Depth=2
	v_cmp_ne_u16_sdwa s41, v34, v84 src0_sel:BYTE_0 src1_sel:DWORD
	v_mov_b32_e32 v2, 0
	s_andn2_b32 s13, s13, exec_lo
	s_and_b32 s41, s41, exec_lo
	s_or_b32 s13, s13, s41
	s_or_b32 exec_lo, exec_lo, s40
	s_and_saveexec_b32 s40, s13
	s_cbranch_execnz .LBB6_4645
	s_branch .LBB6_4646
.LBB6_5031:                             ;   in Loop: Header=BB6_3661 Depth=2
	s_or_saveexec_b32 s40, s40
	v_mov_b32_e32 v38, 0x7f800001
	s_xor_b32 exec_lo, exec_lo, s40
	s_cbranch_execz .LBB6_4652
.LBB6_5032:                             ;   in Loop: Header=BB6_3661 Depth=2
	v_cmp_ne_u16_sdwa s41, v35, v84 src0_sel:BYTE_0 src1_sel:DWORD
	v_mov_b32_e32 v38, 0
	s_andn2_b32 s13, s13, exec_lo
	s_and_b32 s41, s41, exec_lo
	s_or_b32 s13, s13, s41
	s_or_b32 exec_lo, exec_lo, s40
	s_and_saveexec_b32 s40, s13
	s_cbranch_execnz .LBB6_4653
	s_branch .LBB6_4654
.LBB6_5033:                             ;   in Loop: Header=BB6_3661 Depth=2
	s_or_saveexec_b32 s40, s40
	v_mov_b32_e32 v2, 0x7f800001
	s_xor_b32 exec_lo, exec_lo, s40
	s_cbranch_execz .LBB6_4658
.LBB6_5034:                             ;   in Loop: Header=BB6_3661 Depth=2
	v_cmp_ne_u16_sdwa s41, v34, v84 src0_sel:BYTE_0 src1_sel:DWORD
	v_mov_b32_e32 v2, 0
	s_andn2_b32 s13, s13, exec_lo
	s_and_b32 s41, s41, exec_lo
	s_or_b32 s13, s13, s41
	s_or_b32 exec_lo, exec_lo, s40
	s_and_saveexec_b32 s40, s13
	s_cbranch_execnz .LBB6_4659
	s_branch .LBB6_4660
.LBB6_5035:                             ;   in Loop: Header=BB6_3661 Depth=2
	s_or_saveexec_b32 s40, s40
	v_mov_b32_e32 v35, 0x7f800001
	s_xor_b32 exec_lo, exec_lo, s40
	s_cbranch_execz .LBB6_4674
.LBB6_5036:                             ;   in Loop: Header=BB6_3661 Depth=2
	v_cmp_ne_u16_sdwa s41, v32, v84 src0_sel:BYTE_0 src1_sel:DWORD
	v_mov_b32_e32 v35, 0
	s_andn2_b32 s13, s13, exec_lo
	s_and_b32 s41, s41, exec_lo
	s_or_b32 s13, s13, s41
	s_or_b32 exec_lo, exec_lo, s40
	s_and_saveexec_b32 s40, s13
	s_cbranch_execnz .LBB6_4675
	s_branch .LBB6_4676
.LBB6_5037:                             ;   in Loop: Header=BB6_3661 Depth=2
	s_or_saveexec_b32 s40, s40
	v_mov_b32_e32 v2, 0x7f800001
	s_xor_b32 exec_lo, exec_lo, s40
	s_cbranch_execz .LBB6_4680
.LBB6_5038:                             ;   in Loop: Header=BB6_3661 Depth=2
	v_cmp_ne_u16_sdwa s41, v29, v84 src0_sel:BYTE_0 src1_sel:DWORD
	v_mov_b32_e32 v2, 0
	s_andn2_b32 s13, s13, exec_lo
	s_and_b32 s41, s41, exec_lo
	s_or_b32 s13, s13, s41
	s_or_b32 exec_lo, exec_lo, s40
	s_and_saveexec_b32 s40, s13
	s_cbranch_execnz .LBB6_4681
	s_branch .LBB6_4682
.LBB6_5039:                             ;   in Loop: Header=BB6_3661 Depth=2
	s_or_saveexec_b32 s40, s40
	v_mov_b32_e32 v35, 0x7f800001
	s_xor_b32 exec_lo, exec_lo, s40
	s_cbranch_execz .LBB6_4688
.LBB6_5040:                             ;   in Loop: Header=BB6_3661 Depth=2
	v_cmp_ne_u16_sdwa s41, v32, v84 src0_sel:BYTE_0 src1_sel:DWORD
	v_mov_b32_e32 v35, 0
	s_andn2_b32 s13, s13, exec_lo
	s_and_b32 s41, s41, exec_lo
	s_or_b32 s13, s13, s41
	s_or_b32 exec_lo, exec_lo, s40
	s_and_saveexec_b32 s40, s13
	s_cbranch_execnz .LBB6_4689
	s_branch .LBB6_4690
.LBB6_5041:                             ;   in Loop: Header=BB6_3661 Depth=2
	s_or_saveexec_b32 s40, s40
	v_mov_b32_e32 v2, 0x7f800001
	s_xor_b32 exec_lo, exec_lo, s40
	s_cbranch_execz .LBB6_4694
.LBB6_5042:                             ;   in Loop: Header=BB6_3661 Depth=2
	v_cmp_ne_u16_sdwa s41, v29, v84 src0_sel:BYTE_0 src1_sel:DWORD
	v_mov_b32_e32 v2, 0
	s_andn2_b32 s13, s13, exec_lo
	s_and_b32 s41, s41, exec_lo
	s_or_b32 s13, s13, s41
	s_or_b32 exec_lo, exec_lo, s40
	s_and_saveexec_b32 s40, s13
	s_cbranch_execnz .LBB6_4695
	s_branch .LBB6_4696
.LBB6_5043:                             ;   in Loop: Header=BB6_3661 Depth=2
	s_or_saveexec_b32 s40, s40
	v_mov_b32_e32 v32, 0x7f800001
	s_xor_b32 exec_lo, exec_lo, s40
	s_cbranch_execz .LBB6_4710
.LBB6_5044:                             ;   in Loop: Header=BB6_3661 Depth=2
	v_cmp_ne_u16_sdwa s41, v28, v84 src0_sel:BYTE_0 src1_sel:DWORD
	v_mov_b32_e32 v32, 0
	s_andn2_b32 s13, s13, exec_lo
	s_and_b32 s41, s41, exec_lo
	s_or_b32 s13, s13, s41
	s_or_b32 exec_lo, exec_lo, s40
	s_and_saveexec_b32 s40, s13
	s_cbranch_execnz .LBB6_4711
	s_branch .LBB6_4712
.LBB6_5045:                             ;   in Loop: Header=BB6_3661 Depth=2
	s_or_saveexec_b32 s40, s40
	v_mov_b32_e32 v2, 0x7f800001
	s_xor_b32 exec_lo, exec_lo, s40
	s_cbranch_execz .LBB6_4716
.LBB6_5046:                             ;   in Loop: Header=BB6_3661 Depth=2
	v_cmp_ne_u16_sdwa s41, v26, v84 src0_sel:BYTE_0 src1_sel:DWORD
	v_mov_b32_e32 v2, 0
	s_andn2_b32 s13, s13, exec_lo
	s_and_b32 s41, s41, exec_lo
	s_or_b32 s13, s13, s41
	s_or_b32 exec_lo, exec_lo, s40
	s_and_saveexec_b32 s40, s13
	s_cbranch_execnz .LBB6_4717
	s_branch .LBB6_4718
.LBB6_5047:                             ;   in Loop: Header=BB6_3661 Depth=2
	s_or_saveexec_b32 s40, s40
	v_mov_b32_e32 v32, 0x7f800001
	s_xor_b32 exec_lo, exec_lo, s40
	s_cbranch_execz .LBB6_4724
.LBB6_5048:                             ;   in Loop: Header=BB6_3661 Depth=2
	v_cmp_ne_u16_sdwa s41, v28, v84 src0_sel:BYTE_0 src1_sel:DWORD
	v_mov_b32_e32 v32, 0
	s_andn2_b32 s13, s13, exec_lo
	s_and_b32 s41, s41, exec_lo
	s_or_b32 s13, s13, s41
	s_or_b32 exec_lo, exec_lo, s40
	s_and_saveexec_b32 s40, s13
	s_cbranch_execnz .LBB6_4725
	s_branch .LBB6_4726
.LBB6_5049:                             ;   in Loop: Header=BB6_3661 Depth=2
	s_or_saveexec_b32 s40, s40
	v_mov_b32_e32 v2, 0x7f800001
	s_xor_b32 exec_lo, exec_lo, s40
	s_cbranch_execz .LBB6_4730
.LBB6_5050:                             ;   in Loop: Header=BB6_3661 Depth=2
	v_cmp_ne_u16_sdwa s41, v26, v84 src0_sel:BYTE_0 src1_sel:DWORD
	v_mov_b32_e32 v2, 0
	s_andn2_b32 s13, s13, exec_lo
	s_and_b32 s41, s41, exec_lo
	s_or_b32 s13, s13, s41
	s_or_b32 exec_lo, exec_lo, s40
	s_and_saveexec_b32 s40, s13
	s_cbranch_execnz .LBB6_4731
	s_branch .LBB6_4732
.LBB6_5051:                             ;   in Loop: Header=BB6_3661 Depth=2
	s_or_saveexec_b32 s40, s40
	v_mov_b32_e32 v28, 0x7f800001
	s_xor_b32 exec_lo, exec_lo, s40
	s_cbranch_execz .LBB6_4746
.LBB6_5052:                             ;   in Loop: Header=BB6_3661 Depth=2
	v_cmp_ne_u16_sdwa s41, v25, v84 src0_sel:BYTE_0 src1_sel:DWORD
	v_mov_b32_e32 v28, 0
	s_andn2_b32 s13, s13, exec_lo
	s_and_b32 s41, s41, exec_lo
	s_or_b32 s13, s13, s41
	s_or_b32 exec_lo, exec_lo, s40
	s_and_saveexec_b32 s40, s13
	s_cbranch_execnz .LBB6_4747
	s_branch .LBB6_4748
.LBB6_5053:                             ;   in Loop: Header=BB6_3661 Depth=2
	s_or_saveexec_b32 s40, s40
	v_mov_b32_e32 v2, 0x7f800001
	s_xor_b32 exec_lo, exec_lo, s40
	s_cbranch_execz .LBB6_4752
.LBB6_5054:                             ;   in Loop: Header=BB6_3661 Depth=2
	v_cmp_ne_u16_sdwa s41, v24, v84 src0_sel:BYTE_0 src1_sel:DWORD
	v_mov_b32_e32 v2, 0
	s_andn2_b32 s13, s13, exec_lo
	s_and_b32 s41, s41, exec_lo
	s_or_b32 s13, s13, s41
	s_or_b32 exec_lo, exec_lo, s40
	s_and_saveexec_b32 s40, s13
	s_cbranch_execnz .LBB6_4753
	s_branch .LBB6_4754
.LBB6_5055:                             ;   in Loop: Header=BB6_3661 Depth=2
	s_or_saveexec_b32 s40, s40
	v_mov_b32_e32 v28, 0x7f800001
	s_xor_b32 exec_lo, exec_lo, s40
	s_cbranch_execz .LBB6_4760
.LBB6_5056:                             ;   in Loop: Header=BB6_3661 Depth=2
	v_cmp_ne_u16_sdwa s41, v25, v84 src0_sel:BYTE_0 src1_sel:DWORD
	v_mov_b32_e32 v28, 0
	s_andn2_b32 s13, s13, exec_lo
	s_and_b32 s41, s41, exec_lo
	s_or_b32 s13, s13, s41
	s_or_b32 exec_lo, exec_lo, s40
	s_and_saveexec_b32 s40, s13
	s_cbranch_execnz .LBB6_4761
	s_branch .LBB6_4762
.LBB6_5057:                             ;   in Loop: Header=BB6_3661 Depth=2
	s_or_saveexec_b32 s40, s40
	v_mov_b32_e32 v2, 0x7f800001
	s_xor_b32 exec_lo, exec_lo, s40
	s_cbranch_execz .LBB6_4766
.LBB6_5058:                             ;   in Loop: Header=BB6_3661 Depth=2
	v_cmp_ne_u16_sdwa s41, v24, v84 src0_sel:BYTE_0 src1_sel:DWORD
	v_mov_b32_e32 v2, 0
	s_andn2_b32 s13, s13, exec_lo
	s_and_b32 s41, s41, exec_lo
	s_or_b32 s13, s13, s41
	s_or_b32 exec_lo, exec_lo, s40
	s_and_saveexec_b32 s40, s13
	s_cbranch_execnz .LBB6_4767
	s_branch .LBB6_4768
.LBB6_5059:                             ;   in Loop: Header=BB6_3661 Depth=2
	s_or_saveexec_b32 s40, s40
	v_mov_b32_e32 v25, 0x7f800001
	s_xor_b32 exec_lo, exec_lo, s40
	s_cbranch_execz .LBB6_4782
.LBB6_5060:                             ;   in Loop: Header=BB6_3661 Depth=2
	v_cmp_ne_u16_sdwa s41, v22, v84 src0_sel:BYTE_0 src1_sel:DWORD
	v_mov_b32_e32 v25, 0
	s_andn2_b32 s13, s13, exec_lo
	s_and_b32 s41, s41, exec_lo
	s_or_b32 s13, s13, s41
	s_or_b32 exec_lo, exec_lo, s40
	s_and_saveexec_b32 s40, s13
	s_cbranch_execnz .LBB6_4783
	s_branch .LBB6_4784
.LBB6_5061:                             ;   in Loop: Header=BB6_3661 Depth=2
	s_or_saveexec_b32 s40, s40
	v_mov_b32_e32 v2, 0x7f800001
	s_xor_b32 exec_lo, exec_lo, s40
	s_cbranch_execz .LBB6_4788
.LBB6_5062:                             ;   in Loop: Header=BB6_3661 Depth=2
	v_cmp_ne_u16_sdwa s41, v21, v84 src0_sel:BYTE_0 src1_sel:DWORD
	v_mov_b32_e32 v2, 0
	s_andn2_b32 s13, s13, exec_lo
	s_and_b32 s41, s41, exec_lo
	s_or_b32 s13, s13, s41
	s_or_b32 exec_lo, exec_lo, s40
	s_and_saveexec_b32 s40, s13
	s_cbranch_execnz .LBB6_4789
	s_branch .LBB6_4790
.LBB6_5063:                             ;   in Loop: Header=BB6_3661 Depth=2
	s_or_saveexec_b32 s40, s40
	v_mov_b32_e32 v25, 0x7f800001
	s_xor_b32 exec_lo, exec_lo, s40
	s_cbranch_execz .LBB6_4796
.LBB6_5064:                             ;   in Loop: Header=BB6_3661 Depth=2
	v_cmp_ne_u16_sdwa s41, v22, v84 src0_sel:BYTE_0 src1_sel:DWORD
	v_mov_b32_e32 v25, 0
	s_andn2_b32 s13, s13, exec_lo
	s_and_b32 s41, s41, exec_lo
	s_or_b32 s13, s13, s41
	s_or_b32 exec_lo, exec_lo, s40
	s_and_saveexec_b32 s40, s13
	s_cbranch_execnz .LBB6_4797
	s_branch .LBB6_4798
.LBB6_5065:                             ;   in Loop: Header=BB6_3661 Depth=2
	s_or_saveexec_b32 s40, s40
	v_mov_b32_e32 v2, 0x7f800001
	s_xor_b32 exec_lo, exec_lo, s40
	s_cbranch_execz .LBB6_4802
.LBB6_5066:                             ;   in Loop: Header=BB6_3661 Depth=2
	v_cmp_ne_u16_sdwa s41, v21, v84 src0_sel:BYTE_0 src1_sel:DWORD
	v_mov_b32_e32 v2, 0
	s_andn2_b32 s13, s13, exec_lo
	s_and_b32 s41, s41, exec_lo
	s_or_b32 s13, s13, s41
	s_or_b32 exec_lo, exec_lo, s40
	s_and_saveexec_b32 s40, s13
	s_cbranch_execnz .LBB6_4803
	s_branch .LBB6_4804
.LBB6_5067:                             ;   in Loop: Header=BB6_49 Depth=1
	s_or_b32 exec_lo, exec_lo, s29
	v_ashrrev_i32_e32 v102, 31, v118
.LBB6_5068:                             ;   in Loop: Header=BB6_49 Depth=1
	s_or_b32 exec_lo, exec_lo, s27
	v_and_b32_e32 v2, 0xfffffc00, v17
	v_cmp_ne_u32_e32 vcc_lo, v17, v2
	s_and_b32 exec_lo, exec_lo, vcc_lo
	s_cbranch_execz .LBB6_5116
; %bb.5069:                             ;   in Loop: Header=BB6_49 Depth=1
	v_lshlrev_b32_e32 v3, 5, v19
	v_lshlrev_b32_e32 v10, 5, v20
	v_sub_nc_u32_e32 v3, v18, v3
	v_sub_nc_u32_e32 v3, v3, v10
	v_and_b32_e32 v10, 0x3ff, v17
	v_sub_nc_u32_e32 v17, v10, v3
	v_cmp_lt_i32_e32 vcc_lo, 0, v17
	s_and_b32 exec_lo, exec_lo, vcc_lo
	s_cbranch_execz .LBB6_5116
; %bb.5070:                             ;   in Loop: Header=BB6_49 Depth=1
	s_trap 2
	ds_read_b128 v[10:13], v0
	ds_read_b64 v[14:15], v0
	v_add3_u32 v2, v2, v16, v3
	s_bitcmp1_b32 s26, 0
	s_mov_b32 s26, 0
	s_cselect_b32 s27, -1, 0
	v_ashrrev_i32_e32 v3, 31, v2
	s_waitcnt lgkmcnt(1)
	v_add_co_u32 v10, vcc_lo, v10, v2
	v_add_co_ci_u32_e64 v11, null, v11, v3, vcc_lo
	v_add_co_u32 v12, vcc_lo, v12, v2
	v_add_co_ci_u32_e64 v13, null, v13, v3, vcc_lo
	s_waitcnt lgkmcnt(0)
	v_add_co_u32 v14, vcc_lo, v14, v2
	v_add_co_ci_u32_e64 v15, null, v15, v3, vcc_lo
	s_branch .LBB6_5074
.LBB6_5071:                             ;   in Loop: Header=BB6_5074 Depth=2
	s_or_b32 exec_lo, exec_lo, s13
	v_lshrrev_b32_e32 v2, 21, v18
	v_cmp_gt_i32_e32 vcc_lo, 32, v16
	v_min_i32_e32 v3, 31, v16
	v_and_b32_sdwa v18, v20, v58 dst_sel:DWORD dst_unused:UNUSED_PAD src0_sel:BYTE_3 src1_sel:DWORD
	v_cndmask_b32_e32 v2, 3, v2, vcc_lo
	v_lshlrev_b32_e32 v3, 2, v3
	v_and_b32_e32 v19, 3, v2
	v_or_b32_e32 v2, v16, v2
	v_or3_b32 v3, v3, v18, v19
	v_cmp_ne_u32_e32 vcc_lo, 0, v2
	v_cndmask_b32_e32 v2, 0, v3, vcc_lo
.LBB6_5072:                             ;   in Loop: Header=BB6_5074 Depth=2
	s_or_b32 exec_lo, exec_lo, s29
.LBB6_5073:                             ;   in Loop: Header=BB6_5074 Depth=2
	s_or_b32 exec_lo, exec_lo, s28
	v_sub_nc_u32_e32 v17, v17, v46
	v_add_co_u32 v10, vcc_lo, v10, v46
	v_add_co_ci_u32_e64 v11, null, 0, v11, vcc_lo
	v_add_co_u32 v12, vcc_lo, v12, v46
	flat_store_byte v[14:15], v2 glc slc
	v_add_co_ci_u32_e64 v13, null, 0, v13, vcc_lo
	v_cmp_gt_i32_e32 vcc_lo, 1, v17
	v_add_co_u32 v14, s13, v14, v46
	v_add_co_ci_u32_e64 v15, null, 0, v15, s13
	s_or_b32 s26, vcc_lo, s26
	s_andn2_b32 exec_lo, exec_lo, s26
	s_cbranch_execz .LBB6_5116
.LBB6_5074:                             ;   Parent Loop BB6_49 Depth=1
                                        ; =>  This Inner Loop Header: Depth=2
	flat_load_ubyte v18, v[12:13] slc
	flat_load_ubyte v19, v[10:11] slc
	s_mov_b32 s13, -1
	s_waitcnt vmcnt(1) lgkmcnt(1)
	v_and_b32_e32 v2, 3, v18
	v_bfe_u32 v20, v18, 2, 5
	v_lshlrev_b32_e32 v21, 24, v18
	s_waitcnt vmcnt(0) lgkmcnt(0)
	v_cmp_gt_i16_sdwa s28, v19, v57 src0_sel:BYTE_0 src1_sel:DWORD
	v_ffbh_u32_e32 v3, v2
	v_cmp_eq_u32_e32 vcc_lo, 0, v20
	v_min_u32_e32 v3, 32, v3
	v_subrev_nc_u32_e32 v16, 29, v3
	v_sub_nc_u32_e32 v3, 30, v3
	v_lshlrev_b32_e32 v16, v16, v18
	v_cndmask_b32_e32 v3, v20, v3, vcc_lo
                                        ; implicit-def: $vgpr20
	v_and_b32_e32 v16, 3, v16
	v_lshl_add_u32 v3, v3, 23, 0x37800000
	v_cndmask_b32_e32 v2, v2, v16, vcc_lo
	v_and_b32_e32 v16, 0x80000000, v21
	s_and_b32 vcc_lo, exec_lo, s27
	v_lshlrev_b32_e32 v2, 21, v2
	v_or3_b32 v16, v16, v3, v2
	s_cbranch_vccz .LBB6_5088
; %bb.5075:                             ;   in Loop: Header=BB6_5074 Depth=2
	s_mov_b32 s13, 0
	s_and_saveexec_b32 s29, s28
	s_xor_b32 s28, exec_lo, s29
	s_cbranch_execz .LBB6_5108
; %bb.5076:                             ;   in Loop: Header=BB6_5074 Depth=2
	v_cmp_eq_u16_sdwa s40, v19, v58 src0_sel:BYTE_0 src1_sel:DWORD
	s_mov_b32 s13, -1
	s_and_saveexec_b32 s29, s40
; %bb.5077:                             ;   in Loop: Header=BB6_5074 Depth=2
	s_xor_b32 s13, exec_lo, -1
; %bb.5078:                             ;   in Loop: Header=BB6_5074 Depth=2
	s_or_b32 exec_lo, exec_lo, s29
	s_and_b32 s13, s13, exec_lo
	s_or_saveexec_b32 s28, s28
	v_mov_b32_e32 v20, 0x7f800001
	s_xor_b32 exec_lo, exec_lo, s28
	s_cbranch_execnz .LBB6_5109
.LBB6_5079:                             ;   in Loop: Header=BB6_5074 Depth=2
	s_or_b32 exec_lo, exec_lo, s28
	s_and_saveexec_b32 s28, s13
	s_cbranch_execz .LBB6_5081
.LBB6_5080:                             ;   in Loop: Header=BB6_5074 Depth=2
	v_and_b32_e32 v2, 3, v19
	v_lshrrev_b16 v20, 2, v19
	v_lshlrev_b32_e32 v22, 24, v19
	v_ffbh_u32_e32 v3, v2
	v_and_b32_e32 v20, 31, v20
	v_min_u32_e32 v3, 32, v3
	v_cmp_eq_u32_e32 vcc_lo, 0, v20
	v_subrev_nc_u32_e32 v21, 29, v3
	v_sub_nc_u32_e32 v3, 30, v3
	v_lshlrev_b32_e32 v21, v21, v19
	v_cndmask_b32_e32 v3, v20, v3, vcc_lo
	v_and_b32_e32 v20, 0x80000000, v22
	v_and_b32_e32 v21, 3, v21
	v_lshl_add_u32 v3, v3, 23, 0x37800000
	v_cndmask_b32_e32 v2, v2, v21, vcc_lo
	v_lshlrev_b32_e32 v2, 21, v2
	v_or3_b32 v20, v20, v3, v2
.LBB6_5081:                             ;   in Loop: Header=BB6_5074 Depth=2
	s_or_b32 exec_lo, exec_lo, s28
	v_cmp_gt_i16_sdwa s28, v18, v57 src0_sel:BYTE_0 src1_sel:DWORD
	s_mov_b32 s13, 0
	s_and_saveexec_b32 s29, s28
	s_xor_b32 s28, exec_lo, s29
	s_cbranch_execz .LBB6_5110
; %bb.5082:                             ;   in Loop: Header=BB6_5074 Depth=2
	v_cmp_eq_u16_sdwa s40, v18, v58 src0_sel:BYTE_0 src1_sel:DWORD
	s_mov_b32 s13, -1
	s_and_saveexec_b32 s29, s40
; %bb.5083:                             ;   in Loop: Header=BB6_5074 Depth=2
	s_xor_b32 s13, exec_lo, -1
; %bb.5084:                             ;   in Loop: Header=BB6_5074 Depth=2
	s_or_b32 exec_lo, exec_lo, s29
	s_and_b32 s13, s13, exec_lo
	s_or_saveexec_b32 s28, s28
	v_mov_b32_e32 v2, 0x7f800001
	s_xor_b32 exec_lo, exec_lo, s28
	s_cbranch_execnz .LBB6_5111
.LBB6_5085:                             ;   in Loop: Header=BB6_5074 Depth=2
	s_or_b32 exec_lo, exec_lo, s28
	s_and_saveexec_b32 s28, s13
.LBB6_5086:                             ;   in Loop: Header=BB6_5074 Depth=2
	v_mov_b32_e32 v2, v16
.LBB6_5087:                             ;   in Loop: Header=BB6_5074 Depth=2
	s_or_b32 exec_lo, exec_lo, s28
	v_max_f32_e32 v2, v2, v2
	v_max_f32_e32 v3, v20, v20
	s_mov_b32 s13, 0
	v_max_f32_e32 v20, v3, v2
.LBB6_5088:                             ;   in Loop: Header=BB6_5074 Depth=2
	s_and_b32 vcc_lo, exec_lo, s13
	s_cbranch_vccz .LBB6_5102
; %bb.5089:                             ;   in Loop: Header=BB6_5074 Depth=2
	v_cmp_gt_i16_sdwa s28, v19, v57 src0_sel:BYTE_0 src1_sel:DWORD
	s_mov_b32 s13, 0
	s_and_saveexec_b32 s29, s28
	s_xor_b32 s28, exec_lo, s29
	s_cbranch_execz .LBB6_5112
; %bb.5090:                             ;   in Loop: Header=BB6_5074 Depth=2
	v_cmp_eq_u16_sdwa s40, v19, v58 src0_sel:BYTE_0 src1_sel:DWORD
	s_mov_b32 s13, -1
	s_and_saveexec_b32 s29, s40
; %bb.5091:                             ;   in Loop: Header=BB6_5074 Depth=2
	s_xor_b32 s13, exec_lo, -1
; %bb.5092:                             ;   in Loop: Header=BB6_5074 Depth=2
	s_or_b32 exec_lo, exec_lo, s29
	s_and_b32 s13, s13, exec_lo
	s_or_saveexec_b32 s28, s28
	v_mov_b32_e32 v20, 0x7f800001
	s_xor_b32 exec_lo, exec_lo, s28
	s_cbranch_execnz .LBB6_5113
.LBB6_5093:                             ;   in Loop: Header=BB6_5074 Depth=2
	s_or_b32 exec_lo, exec_lo, s28
	s_and_saveexec_b32 s28, s13
	s_cbranch_execz .LBB6_5095
.LBB6_5094:                             ;   in Loop: Header=BB6_5074 Depth=2
	v_and_b32_e32 v2, 3, v19
	v_lshrrev_b16 v20, 2, v19
	v_ffbh_u32_e32 v3, v2
	v_and_b32_e32 v20, 31, v20
	v_min_u32_e32 v3, 32, v3
	v_cmp_eq_u32_e32 vcc_lo, 0, v20
	v_subrev_nc_u32_e32 v21, 29, v3
	v_sub_nc_u32_e32 v3, 30, v3
	v_lshlrev_b32_e32 v21, v21, v19
	v_lshlrev_b32_e32 v19, 24, v19
	v_cndmask_b32_e32 v3, v20, v3, vcc_lo
	v_and_b32_e32 v21, 3, v21
	v_and_b32_e32 v19, 0x80000000, v19
	v_lshl_add_u32 v3, v3, 23, 0x37800000
	v_cndmask_b32_e32 v2, v2, v21, vcc_lo
	v_lshlrev_b32_e32 v2, 21, v2
	v_or3_b32 v20, v19, v3, v2
.LBB6_5095:                             ;   in Loop: Header=BB6_5074 Depth=2
	s_or_b32 exec_lo, exec_lo, s28
	v_cmp_gt_i16_sdwa s28, v18, v57 src0_sel:BYTE_0 src1_sel:DWORD
	s_mov_b32 s13, 0
	s_and_saveexec_b32 s29, s28
	s_xor_b32 s28, exec_lo, s29
	s_cbranch_execz .LBB6_5114
; %bb.5096:                             ;   in Loop: Header=BB6_5074 Depth=2
	v_cmp_eq_u16_sdwa s40, v18, v58 src0_sel:BYTE_0 src1_sel:DWORD
	s_mov_b32 s13, -1
	s_and_saveexec_b32 s29, s40
; %bb.5097:                             ;   in Loop: Header=BB6_5074 Depth=2
	s_xor_b32 s13, exec_lo, -1
; %bb.5098:                             ;   in Loop: Header=BB6_5074 Depth=2
	s_or_b32 exec_lo, exec_lo, s29
	s_and_b32 s13, s13, exec_lo
                                        ; implicit-def: $vgpr18
	s_or_saveexec_b32 s28, s28
	v_mov_b32_e32 v2, 0x7f800001
	s_xor_b32 exec_lo, exec_lo, s28
	s_cbranch_execnz .LBB6_5115
.LBB6_5099:                             ;   in Loop: Header=BB6_5074 Depth=2
	s_or_b32 exec_lo, exec_lo, s28
	s_and_saveexec_b32 s28, s13
.LBB6_5100:                             ;   in Loop: Header=BB6_5074 Depth=2
	v_mov_b32_e32 v2, v16
.LBB6_5101:                             ;   in Loop: Header=BB6_5074 Depth=2
	s_or_b32 exec_lo, exec_lo, s28
	v_max_f32_e32 v2, v2, v2
	v_max_f32_e32 v3, v20, v20
	v_min_f32_e32 v20, v3, v2
.LBB6_5102:                             ;   in Loop: Header=BB6_5074 Depth=2
	v_and_b32_e32 v2, 0x7f800000, v20
	v_cmp_ne_u32_e32 vcc_lo, 0x7f800000, v2
	v_mov_b32_e32 v2, 0x80
	s_and_saveexec_b32 s28, vcc_lo
	s_cbranch_execz .LBB6_5073
; %bb.5103:                             ;   in Loop: Header=BB6_5074 Depth=2
	v_mov_b32_e32 v2, 0
	s_mov_b32 s29, exec_lo
	v_cmpx_ne_u32_e32 0, v20
	s_cbranch_execz .LBB6_5072
; %bb.5104:                             ;   in Loop: Header=BB6_5074 Depth=2
	v_bfe_u32 v2, v20, 23, 8
	v_and_b32_e32 v3, 0x7fffff, v20
	v_sub_nc_u32_e32 v16, 0x70, v2
	v_cmp_gt_u32_e32 vcc_lo, 0x71, v2
	v_or_b32_e32 v18, 0x800000, v3
	v_cndmask_b32_e32 v16, 0, v16, vcc_lo
	v_cmp_eq_u32_e32 vcc_lo, 0, v2
	v_add_nc_u32_e32 v2, 0xffffff91, v2
	v_cndmask_b32_e64 v16, v16, 0x6f, vcc_lo
	v_cndmask_b32_e32 v3, v18, v3, vcc_lo
	v_cndmask_b32_e64 v2, v2, 0xffffff92, vcc_lo
	v_lshl_add_u32 v19, 0x200000, v16, -1
	v_lshrrev_b32_e32 v18, v16, v3
	v_lshlrev_b32_e64 v22, v16, 0x100000
	v_add_nc_u32_e32 v2, v16, v2
	v_and_b32_e32 v3, v19, v3
	v_bfe_u32 v21, v18, 21, 1
	v_cmp_eq_u32_e64 s13, v3, v22
	v_add_nc_u32_e32 v19, -1, v21
	v_cndmask_b32_e64 v3, 0, v19, s13
	v_lshrrev_b32_e32 v19, 23, v18
	s_mov_b32 s13, exec_lo
	v_add_nc_u32_e32 v3, v3, v18
	v_and_b32_e32 v16, 0x1fffff, v3
	v_xor_b32_e32 v3, 1, v19
	v_add_nc_u32_e32 v18, v16, v18
                                        ; implicit-def: $vgpr16
	v_cmpx_ne_u32_e64 v2, v3
	s_xor_b32 s13, exec_lo, s13
; %bb.5105:                             ;   in Loop: Header=BB6_5074 Depth=2
	v_cmp_lt_u32_e32 vcc_lo, 0xffffff, v18
	v_sub_nc_u32_e32 v2, v2, v3
	v_cndmask_b32_e64 v3, 0, 1, vcc_lo
	v_add_co_ci_u32_e64 v16, null, 0, v2, vcc_lo
	v_lshrrev_b32_e32 v18, v3, v18
; %bb.5106:                             ;   in Loop: Header=BB6_5074 Depth=2
	s_andn2_saveexec_b32 s13, s13
	s_cbranch_execz .LBB6_5071
; %bb.5107:                             ;   in Loop: Header=BB6_5074 Depth=2
	v_bfe_u32 v16, v18, 23, 1
	s_branch .LBB6_5071
.LBB6_5108:                             ;   in Loop: Header=BB6_5074 Depth=2
	s_or_saveexec_b32 s28, s28
	v_mov_b32_e32 v20, 0x7f800001
	s_xor_b32 exec_lo, exec_lo, s28
	s_cbranch_execz .LBB6_5079
.LBB6_5109:                             ;   in Loop: Header=BB6_5074 Depth=2
	v_cmp_ne_u16_sdwa s29, v19, v84 src0_sel:BYTE_0 src1_sel:DWORD
	v_mov_b32_e32 v20, 0
	s_andn2_b32 s13, s13, exec_lo
	s_and_b32 s29, s29, exec_lo
	s_or_b32 s13, s13, s29
	s_or_b32 exec_lo, exec_lo, s28
	s_and_saveexec_b32 s28, s13
	s_cbranch_execnz .LBB6_5080
	s_branch .LBB6_5081
.LBB6_5110:                             ;   in Loop: Header=BB6_5074 Depth=2
	s_or_saveexec_b32 s28, s28
	v_mov_b32_e32 v2, 0x7f800001
	s_xor_b32 exec_lo, exec_lo, s28
	s_cbranch_execz .LBB6_5085
.LBB6_5111:                             ;   in Loop: Header=BB6_5074 Depth=2
	v_cmp_ne_u16_sdwa s29, v18, v84 src0_sel:BYTE_0 src1_sel:DWORD
	v_mov_b32_e32 v2, 0
	s_andn2_b32 s13, s13, exec_lo
	s_and_b32 s29, s29, exec_lo
	s_or_b32 s13, s13, s29
	s_or_b32 exec_lo, exec_lo, s28
	s_and_saveexec_b32 s28, s13
	s_cbranch_execnz .LBB6_5086
	s_branch .LBB6_5087
.LBB6_5112:                             ;   in Loop: Header=BB6_5074 Depth=2
	s_or_saveexec_b32 s28, s28
	v_mov_b32_e32 v20, 0x7f800001
	s_xor_b32 exec_lo, exec_lo, s28
	s_cbranch_execz .LBB6_5093
.LBB6_5113:                             ;   in Loop: Header=BB6_5074 Depth=2
	v_cmp_ne_u16_sdwa s29, v19, v84 src0_sel:BYTE_0 src1_sel:DWORD
	v_mov_b32_e32 v20, 0
	s_andn2_b32 s13, s13, exec_lo
	s_and_b32 s29, s29, exec_lo
	s_or_b32 s13, s13, s29
	s_or_b32 exec_lo, exec_lo, s28
	s_and_saveexec_b32 s28, s13
	s_cbranch_execnz .LBB6_5094
	s_branch .LBB6_5095
.LBB6_5114:                             ;   in Loop: Header=BB6_5074 Depth=2
	s_or_saveexec_b32 s28, s28
	v_mov_b32_e32 v2, 0x7f800001
	s_xor_b32 exec_lo, exec_lo, s28
	s_cbranch_execz .LBB6_5099
.LBB6_5115:                             ;   in Loop: Header=BB6_5074 Depth=2
	v_cmp_ne_u16_sdwa s29, v18, v84 src0_sel:BYTE_0 src1_sel:DWORD
	v_mov_b32_e32 v2, 0
	s_andn2_b32 s13, s13, exec_lo
	s_and_b32 s29, s29, exec_lo
	s_or_b32 s13, s13, s29
	s_or_b32 exec_lo, exec_lo, s28
	s_and_saveexec_b32 s28, s13
	s_cbranch_execnz .LBB6_5100
	s_branch .LBB6_5101
.LBB6_5116:                             ;   in Loop: Header=BB6_49 Depth=1
	s_or_b32 exec_lo, exec_lo, s14
	v_cmp_ne_u32_e64 s13, 0, v85
	s_and_saveexec_b32 s14, s6
	s_cbranch_execz .LBB6_5135
.LBB6_5117:                             ;   in Loop: Header=BB6_49 Depth=1
	s_and_saveexec_b32 s26, s20
	s_xor_b32 s26, exec_lo, s26
	s_cbranch_execz .LBB6_5132
; %bb.5118:                             ;   in Loop: Header=BB6_49 Depth=1
	s_and_saveexec_b32 s27, s7
	s_cbranch_execz .LBB6_5131
; %bb.5119:                             ;   in Loop: Header=BB6_49 Depth=1
	s_mov_b32 s29, exec_lo
	s_mov_b32 s28, exec_lo
	v_mbcnt_lo_u32_b32 v2, s29, 0
	s_waitcnt vmcnt(0) lgkmcnt(0)
	s_waitcnt_vscnt null, 0x0
	buffer_gl1_inv
	buffer_gl0_inv
	v_cmpx_eq_u32_e32 0, v2
	s_cbranch_execz .LBB6_5121
; %bb.5120:                             ;   in Loop: Header=BB6_49 Depth=1
	s_bcnt1_i32_b32 s29, s29
	v_mov_b32_e32 v3, v84
	v_mov_b32_e32 v2, s29
	ds_add_u64 v0, v[2:3]
	s_trap 2
.LBB6_5121:                             ;   in Loop: Header=BB6_49 Depth=1
	s_or_b32 exec_lo, exec_lo, s28
	s_trap 2
	ds_read_b64 v[2:3], v0
	s_waitcnt lgkmcnt(0)
	buffer_gl0_inv
	v_add_co_u32 v68, vcc_lo, v68, v41
	v_add_co_ci_u32_e64 v69, null, 0, v69, vcc_lo
	s_mov_b32 s28, exec_lo
	v_cmpx_lt_u64_e64 v[2:3], v[68:69]
	s_cbranch_execz .LBB6_5130
; %bb.5122:                             ;   in Loop: Header=BB6_49 Depth=1
	s_mov_b32 s29, 0
	s_mov_b32 s42, 0
                                        ; implicit-def: $sgpr40
                                        ; implicit-def: $sgpr41
	s_inst_prefetch 0x1
	s_branch .LBB6_5124
	.p2align	6
.LBB6_5123:                             ;   in Loop: Header=BB6_5124 Depth=2
	s_or_b32 exec_lo, exec_lo, s44
	s_and_b32 s43, exec_lo, s45
	s_or_b32 s29, s43, s29
	s_andn2_b32 s40, s40, exec_lo
	s_and_b32 s43, s41, exec_lo
	s_or_b32 s40, s40, s43
	s_andn2_b32 exec_lo, exec_lo, s29
	s_cbranch_execz .LBB6_5128
.LBB6_5124:                             ;   Parent Loop BB6_49 Depth=1
                                        ; =>  This Inner Loop Header: Depth=2
	s_add_i32 s42, s42, 1
	s_cmpk_lg_i32 s42, 0x2710
	s_cselect_b32 s43, -1, 0
	s_and_b32 vcc_lo, exec_lo, s43
	s_cbranch_vccz .LBB6_5126
; %bb.5125:                             ;   in Loop: Header=BB6_5124 Depth=2
	s_mov_b32 s45, -1
	s_or_b32 s41, s41, exec_lo
	s_and_saveexec_b32 s44, s43
	s_cbranch_execz .LBB6_5123
	s_branch .LBB6_5127
	.p2align	6
.LBB6_5126:                             ;   in Loop: Header=BB6_5124 Depth=2
	s_trap 2
	ds_read_b64 v[2:3], v0
	s_andn2_b32 s43, s43, exec_lo
	s_mov_b32 s42, 0
	s_waitcnt lgkmcnt(0)
	flat_load_dword v2, v[2:3] glc dlc
	s_waitcnt vmcnt(0) lgkmcnt(0)
	buffer_gl1_inv
	buffer_gl0_inv
	v_cmp_eq_u32_e32 vcc_lo, 0, v2
	s_and_b32 s44, vcc_lo, exec_lo
	s_or_b32 s43, s43, s44
	s_mov_b32 s45, -1
	s_or_b32 s41, s41, exec_lo
	s_and_saveexec_b32 s44, s43
	s_cbranch_execz .LBB6_5123
.LBB6_5127:                             ;   in Loop: Header=BB6_5124 Depth=2
	s_sleep 1
	s_trap 2
	ds_read_b64 v[2:3], v0
	s_waitcnt lgkmcnt(0)
	buffer_gl0_inv
	s_andn2_b32 s41, s41, exec_lo
	v_cmp_ge_u64_e32 vcc_lo, v[2:3], v[68:69]
	s_orn2_b32 s45, vcc_lo, exec_lo
	s_branch .LBB6_5123
.LBB6_5128:                             ;   in Loop: Header=BB6_49 Depth=1
	s_inst_prefetch 0x2
	s_or_b32 exec_lo, exec_lo, s29
	s_and_saveexec_b32 s29, s40
	s_xor_b32 s29, exec_lo, s29
	s_cbranch_execz .LBB6_5130
; %bb.5129:                             ;   in Loop: Header=BB6_49 Depth=1
	ds_write_b32 v0, v47
	s_trap 2
.LBB6_5130:                             ;   in Loop: Header=BB6_49 Depth=1
	s_or_b32 exec_lo, exec_lo, s28
	;;#ASMSTART
	s_wakeup
	;;#ASMEND
.LBB6_5131:                             ;   in Loop: Header=BB6_49 Depth=1
	s_or_b32 exec_lo, exec_lo, s27
.LBB6_5132:                             ;   in Loop: Header=BB6_49 Depth=1
	s_andn2_saveexec_b32 s26, s26
	s_cbranch_execz .LBB6_5134
; %bb.5133:                             ;   in Loop: Header=BB6_49 Depth=1
	s_waitcnt vmcnt(0) lgkmcnt(0)
	s_waitcnt_vscnt null, 0x0
	buffer_gl1_inv
	buffer_gl0_inv
	s_barrier
.LBB6_5134:                             ;   in Loop: Header=BB6_49 Depth=1
	s_or_b32 exec_lo, exec_lo, s26
.LBB6_5135:                             ;   in Loop: Header=BB6_49 Depth=1
	s_or_b32 exec_lo, exec_lo, s14
	v_and_b32_e32 v2, 16, v117
	v_cmp_ne_u32_e32 vcc_lo, 0, v2
	s_and_b32 s14, vcc_lo, s13
	s_and_saveexec_b32 s13, s14
	s_cbranch_execz .LBB6_5137
; %bb.5136:                             ;   in Loop: Header=BB6_49 Depth=1
	s_waitcnt vmcnt(0) lgkmcnt(0)
	s_waitcnt_vscnt null, 0x0
	buffer_gl1_inv
	buffer_gl0_inv
.LBB6_5137:                             ;   in Loop: Header=BB6_49 Depth=1
	s_or_b32 exec_lo, exec_lo, s13
	v_cmp_ne_u32_e32 vcc_lo, 0, v2
	s_xor_b32 s13, s12, -1
	s_and_b32 s14, vcc_lo, s13
	s_and_saveexec_b32 s13, s14
	s_cbranch_execz .LBB6_5139
; %bb.5138:                             ;   in Loop: Header=BB6_49 Depth=1
	s_waitcnt vmcnt(0) lgkmcnt(0)
	s_waitcnt_vscnt null, 0x0
	flat_store_dword v[82:83], v47
.LBB6_5139:                             ;   in Loop: Header=BB6_49 Depth=1
	s_or_b32 exec_lo, exec_lo, s13
	v_and_b32_e32 v2, 48, v117
	s_mov_b32 s13, exec_lo
	v_cmpx_ne_u32_e32 0, v2
	s_cbranch_execz .LBB6_5141
; %bb.5140:                             ;   in Loop: Header=BB6_49 Depth=1
	v_add_co_u32 v8, vcc_lo, v8, 1
	v_add_co_ci_u32_e64 v9, null, 0, v9, vcc_lo
	s_waitcnt vmcnt(0) lgkmcnt(0)
	s_waitcnt_vscnt null, 0x0
	flat_store_dwordx2 v[64:65], v[8:9]
.LBB6_5141:                             ;   in Loop: Header=BB6_49 Depth=1
	s_or_b32 exec_lo, exec_lo, s13
	v_mov_b32_e32 v2, v97
.LBB6_5142:                             ;   in Loop: Header=BB6_49 Depth=1
	s_or_b32 exec_lo, exec_lo, s25
	s_and_saveexec_b32 s14, s24
	s_cbranch_execnz .LBB6_5143
; %bb.10572:                            ;   in Loop: Header=BB6_49 Depth=1
	s_getpc_b64 s[34:35]
.Lpost_getpc15:
	s_add_u32 s34, s34, (.LBB6_48-.Lpost_getpc15)&4294967295
	s_addc_u32 s35, s35, (.LBB6_48-.Lpost_getpc15)>>32
	s_setpc_b64 s[34:35]
.LBB6_5143:                             ;   in Loop: Header=BB6_49 Depth=1
	v_sub_nc_u32_e32 v2, v96, v2
	v_and_b32_e32 v3, 12, v117
	s_mov_b32 s24, exec_lo
	v_min_i32_e32 v10, v97, v2
	v_cmpx_ne_u32_e32 0, v3
	s_cbranch_execz .LBB6_5169
; %bb.5144:                             ;   in Loop: Header=BB6_49 Depth=1
	v_and_b32_e32 v16, 8, v117
	s_mov_b32 s25, exec_lo
	s_waitcnt vmcnt(0)
	v_add_co_u32 v2, vcc_lo, v70, v16
	v_add_co_ci_u32_e64 v3, null, 0, v71, vcc_lo
	s_waitcnt lgkmcnt(0)
	v_add_co_u32 v12, vcc_lo, v8, 1
	v_add_co_ci_u32_e64 v13, null, 0, v9, vcc_lo
	v_cmpx_lt_u64_e64 v[2:3], v[12:13]
	s_cbranch_execz .LBB6_5156
; %bb.5145:                             ;   in Loop: Header=BB6_49 Depth=1
	v_and_b32_e32 v2, 64, v117
	s_mov_b32 s26, 0
	s_mov_b32 s40, 0
                                        ; implicit-def: $sgpr27
                                        ; implicit-def: $sgpr28
                                        ; implicit-def: $sgpr29
	v_cmp_eq_u32_e32 vcc_lo, 0, v2
	s_branch .LBB6_5149
.LBB6_5146:                             ;   in Loop: Header=BB6_5149 Depth=2
	s_waitcnt vmcnt(0) lgkmcnt(0)
	v_add_co_u32 v2, s13, v70, v16
	v_add_co_ci_u32_e64 v3, null, 0, v71, s13
	s_or_b32 s43, s43, exec_lo
	v_cmp_ge_u64_e64 s13, v[2:3], v[12:13]
	s_orn2_b32 s42, s13, exec_lo
.LBB6_5147:                             ;   in Loop: Header=BB6_5149 Depth=2
	s_or_b32 exec_lo, exec_lo, s45
	s_andn2_b32 s13, s29, exec_lo
	s_and_b32 s29, s43, exec_lo
	s_andn2_b32 s28, s28, exec_lo
	s_and_b32 s42, s42, exec_lo
	s_or_b32 s29, s13, s29
	s_or_b32 s28, s28, s42
.LBB6_5148:                             ;   in Loop: Header=BB6_5149 Depth=2
	s_or_b32 exec_lo, exec_lo, s41
	s_and_b32 s13, exec_lo, s28
	s_or_b32 s26, s13, s26
	s_andn2_b32 s13, s27, exec_lo
	s_and_b32 s27, s29, exec_lo
	s_or_b32 s27, s13, s27
	s_andn2_b32 exec_lo, exec_lo, s26
	s_cbranch_execz .LBB6_5153
.LBB6_5149:                             ;   Parent Loop BB6_49 Depth=1
                                        ; =>  This Inner Loop Header: Depth=2
	s_sleep 1
	s_waitcnt vmcnt(0) lgkmcnt(0)
	flat_load_dwordx2 v[70:71], v[64:65] glc dlc
	s_or_b32 s29, s29, exec_lo
	s_or_b32 s28, s28, exec_lo
                                        ; implicit-def: $vgpr9
	s_and_saveexec_b32 s41, vcc_lo
	s_cbranch_execz .LBB6_5148
; %bb.5150:                             ;   in Loop: Header=BB6_5149 Depth=2
	s_cmpk_lt_i32 s40, 0x270f
	s_mov_b32 s42, -1
	s_cselect_b32 s44, -1, 0
	s_cmpk_gt_i32 s40, 0x270e
	s_cbranch_scc0 .LBB6_5152
; %bb.5151:                             ;   in Loop: Header=BB6_5149 Depth=2
	s_trap 2
	ds_read_b64 v[2:3], v0
	s_andn2_b32 s40, s44, exec_lo
	s_mov_b32 s43, 0
	s_waitcnt vmcnt(0) lgkmcnt(0)
	s_waitcnt_vscnt null, 0x0
	flat_load_dword v9, v[2:3] glc dlc
	s_waitcnt vmcnt(0) lgkmcnt(0)
	buffer_gl1_inv
	buffer_gl0_inv
	v_cmp_eq_u32_e64 s13, 0, v9
	s_and_b32 s13, s13, exec_lo
	s_or_b32 s44, s40, s13
	s_mov_b32 s40, 0
	s_and_saveexec_b32 s45, s44
	s_cbranch_execz .LBB6_5147
	s_branch .LBB6_5146
.LBB6_5152:                             ;   in Loop: Header=BB6_5149 Depth=2
	s_add_i32 s40, s40, 1
	s_mov_b32 s43, -1
                                        ; implicit-def: $vgpr9
	s_and_saveexec_b32 s45, s44
	s_cbranch_execz .LBB6_5147
	s_branch .LBB6_5146
.LBB6_5153:                             ;   in Loop: Header=BB6_49 Depth=1
	s_or_b32 exec_lo, exec_lo, s26
	s_xor_b32 s13, s27, -1
	s_and_saveexec_b32 s26, s13
	s_xor_b32 s13, exec_lo, s26
	s_cbranch_execz .LBB6_5155
; %bb.5154:                             ;   in Loop: Header=BB6_49 Depth=1
	v_or_b32_e32 v117, 64, v117
	s_waitcnt vmcnt(0) lgkmcnt(0)
	s_waitcnt_vscnt null, 0x0
	ds_write_b32 v0, v9
	s_trap 2
.LBB6_5155:                             ;   in Loop: Header=BB6_49 Depth=1
	s_or_b32 exec_lo, exec_lo, s13
.LBB6_5156:                             ;   in Loop: Header=BB6_49 Depth=1
	s_or_b32 exec_lo, exec_lo, s25
	v_and_b32_e32 v2, 0x108, v117
	v_and_b32_e32 v17, 7, v8
	s_mov_b32 s13, exec_lo
	;;#ASMSTART
	s_wakeup
	;;#ASMEND
	v_cmpx_ne_u32_e32 0x108, v2
	s_xor_b32 s13, exec_lo, s13
                                        ; implicit-def: $vgpr18
; %bb.5157:                             ;   in Loop: Header=BB6_49 Depth=1
	v_mov_b32_e32 v18, v84
; %bb.5158:                             ;   in Loop: Header=BB6_49 Depth=1
	s_andn2_saveexec_b32 s13, s13
	s_cbranch_execz .LBB6_5160
; %bb.5159:                             ;   in Loop: Header=BB6_49 Depth=1
	v_mad_u64_u32 v[2:3], null, v17, 24, v[6:7]
	v_ashrrev_i32_e32 v11, 31, v10
	v_mov_b32_e32 v18, v84
	flat_store_dwordx2 v[2:3], v[10:11] offset:8
.LBB6_5160:                             ;   in Loop: Header=BB6_49 Depth=1
	s_or_b32 exec_lo, exec_lo, s13
	v_and_b32_e32 v2, 0x100, v117
	s_mov_b32 s13, -1
	s_mov_b32 s25, exec_lo
                                        ; implicit-def: $vgpr8_vgpr9
	v_cmpx_ne_u32_e32 0, v2
	s_cbranch_execz .LBB6_5164
; %bb.5161:                             ;   in Loop: Header=BB6_49 Depth=1
	v_mad_u64_u32 v[14:15], null, v17, 24, v[6:7]
	s_mov_b32 s26, exec_lo
                                        ; implicit-def: $vgpr8_vgpr9
	v_mov_b32_e32 v2, v15
	v_mad_u64_u32 v[2:3], null, v18, 24, v[2:3]
	v_mov_b32_e32 v15, v2
	flat_load_dword v2, v[14:15]
	s_waitcnt vmcnt(0) lgkmcnt(0)
	v_cmp_ne_u32_e32 vcc_lo, 1, v2
	v_cmpx_eq_u32_e32 1, v2
	s_cbranch_execz .LBB6_5163
; %bb.5162:                             ;   in Loop: Header=BB6_49 Depth=1
	flat_load_dword v8, v[14:15] offset:4 glc dlc
	s_waitcnt vmcnt(0) lgkmcnt(0)
	v_ashrrev_i32_e32 v9, 31, v8
.LBB6_5163:                             ;   in Loop: Header=BB6_49 Depth=1
	s_or_b32 exec_lo, exec_lo, s26
	s_orn2_b32 s13, vcc_lo, exec_lo
.LBB6_5164:                             ;   in Loop: Header=BB6_49 Depth=1
	s_or_b32 exec_lo, exec_lo, s25
	s_and_saveexec_b32 s25, s13
; %bb.5165:                             ;   in Loop: Header=BB6_49 Depth=1
	v_mul_lo_u32 v2, v18, v118
	v_mul_lo_u32 v3, v17, v102
	v_mad_u64_u32 v[8:9], null, v17, v118, 0
	v_add3_u32 v9, v9, v3, v2
; %bb.5166:                             ;   in Loop: Header=BB6_49 Depth=1
	s_or_b32 exec_lo, exec_lo, s25
	v_cmp_eq_u32_e32 vcc_lo, 0, v16
	v_and_b32_e32 v14, 0x2000, v117
	s_mov_b32 s13, exec_lo
	v_cndmask_b32_e32 v11, 0xc8, v56, vcc_lo
	v_add_co_u32 v2, vcc_lo, v66, v8
	v_add_co_ci_u32_e64 v3, null, v67, v9, vcc_lo
	v_add_nc_u32_e32 v8, v0, v11
	ds_write_b64 v8, v[2:3] offset:584
	v_cmpx_ne_u32_e32 0, v14
	s_cbranch_execz .LBB6_5168
; %bb.5167:                             ;   in Loop: Header=BB6_49 Depth=1
	ds_read_b64 v[2:3], v0 offset:872
	s_waitcnt lgkmcnt(0)
	v_add_co_u32 v2, vcc_lo, v2, 1
	v_add_co_ci_u32_e64 v3, null, 0, v3, vcc_lo
	ds_write_b64 v0, v[2:3] offset:872
.LBB6_5168:                             ;   in Loop: Header=BB6_49 Depth=1
	s_or_b32 exec_lo, exec_lo, s13
	v_mov_b32_e32 v8, v12
	v_mov_b32_e32 v9, v13
.LBB6_5169:                             ;   in Loop: Header=BB6_49 Depth=1
	s_or_b32 exec_lo, exec_lo, s24
	s_and_saveexec_b32 s13, s6
	s_cbranch_execz .LBB6_5188
; %bb.5170:                             ;   in Loop: Header=BB6_49 Depth=1
	s_and_saveexec_b32 s24, s20
	s_xor_b32 s24, exec_lo, s24
	s_cbranch_execz .LBB6_5185
; %bb.5171:                             ;   in Loop: Header=BB6_49 Depth=1
	s_and_saveexec_b32 s25, s7
	s_cbranch_execz .LBB6_5184
; %bb.5172:                             ;   in Loop: Header=BB6_49 Depth=1
	s_mov_b32 s27, exec_lo
	s_mov_b32 s26, exec_lo
	v_mbcnt_lo_u32_b32 v2, s27, 0
	s_waitcnt vmcnt(0) lgkmcnt(0)
	s_waitcnt_vscnt null, 0x0
	buffer_gl1_inv
	buffer_gl0_inv
	v_cmpx_eq_u32_e32 0, v2
	s_cbranch_execz .LBB6_5174
; %bb.5173:                             ;   in Loop: Header=BB6_49 Depth=1
	s_bcnt1_i32_b32 s27, s27
	v_mov_b32_e32 v3, v84
	v_mov_b32_e32 v2, s27
	ds_add_u64 v0, v[2:3]
	s_trap 2
.LBB6_5174:                             ;   in Loop: Header=BB6_49 Depth=1
	s_or_b32 exec_lo, exec_lo, s26
	s_trap 2
	ds_read_b64 v[2:3], v0
	s_waitcnt lgkmcnt(0)
	buffer_gl0_inv
	v_add_co_u32 v68, vcc_lo, v68, v41
	v_add_co_ci_u32_e64 v69, null, 0, v69, vcc_lo
	s_mov_b32 s26, exec_lo
	v_cmpx_lt_u64_e64 v[2:3], v[68:69]
	s_cbranch_execz .LBB6_5183
; %bb.5175:                             ;   in Loop: Header=BB6_49 Depth=1
	s_mov_b32 s27, 0
	s_mov_b32 s40, 0
                                        ; implicit-def: $sgpr28
                                        ; implicit-def: $sgpr29
	s_inst_prefetch 0x1
	s_branch .LBB6_5177
	.p2align	6
.LBB6_5176:                             ;   in Loop: Header=BB6_5177 Depth=2
	s_or_b32 exec_lo, exec_lo, s42
	s_and_b32 s41, exec_lo, s43
	s_or_b32 s27, s41, s27
	s_andn2_b32 s28, s28, exec_lo
	s_and_b32 s41, s29, exec_lo
	s_or_b32 s28, s28, s41
	s_andn2_b32 exec_lo, exec_lo, s27
	s_cbranch_execz .LBB6_5181
.LBB6_5177:                             ;   Parent Loop BB6_49 Depth=1
                                        ; =>  This Inner Loop Header: Depth=2
	s_add_i32 s40, s40, 1
	s_cmpk_lg_i32 s40, 0x2710
	s_cselect_b32 s41, -1, 0
	s_and_b32 vcc_lo, exec_lo, s41
	s_cbranch_vccz .LBB6_5179
; %bb.5178:                             ;   in Loop: Header=BB6_5177 Depth=2
	s_mov_b32 s43, -1
	s_or_b32 s29, s29, exec_lo
	s_and_saveexec_b32 s42, s41
	s_cbranch_execz .LBB6_5176
	s_branch .LBB6_5180
	.p2align	6
.LBB6_5179:                             ;   in Loop: Header=BB6_5177 Depth=2
	s_trap 2
	ds_read_b64 v[2:3], v0
	s_andn2_b32 s41, s41, exec_lo
	s_mov_b32 s40, 0
	s_waitcnt lgkmcnt(0)
	flat_load_dword v2, v[2:3] glc dlc
	s_waitcnt vmcnt(0) lgkmcnt(0)
	buffer_gl1_inv
	buffer_gl0_inv
	v_cmp_eq_u32_e32 vcc_lo, 0, v2
	s_and_b32 s42, vcc_lo, exec_lo
	s_or_b32 s41, s41, s42
	s_mov_b32 s43, -1
	s_or_b32 s29, s29, exec_lo
	s_and_saveexec_b32 s42, s41
	s_cbranch_execz .LBB6_5176
.LBB6_5180:                             ;   in Loop: Header=BB6_5177 Depth=2
	s_sleep 1
	s_trap 2
	ds_read_b64 v[2:3], v0
	s_waitcnt lgkmcnt(0)
	buffer_gl0_inv
	s_andn2_b32 s29, s29, exec_lo
	v_cmp_ge_u64_e32 vcc_lo, v[2:3], v[68:69]
	s_orn2_b32 s43, vcc_lo, exec_lo
	s_branch .LBB6_5176
.LBB6_5181:                             ;   in Loop: Header=BB6_49 Depth=1
	s_inst_prefetch 0x2
	s_or_b32 exec_lo, exec_lo, s27
	s_and_saveexec_b32 s27, s28
	s_xor_b32 s27, exec_lo, s27
	s_cbranch_execz .LBB6_5183
; %bb.5182:                             ;   in Loop: Header=BB6_49 Depth=1
	ds_write_b32 v0, v47
	s_trap 2
.LBB6_5183:                             ;   in Loop: Header=BB6_49 Depth=1
	s_or_b32 exec_lo, exec_lo, s26
	;;#ASMSTART
	s_wakeup
	;;#ASMEND
.LBB6_5184:                             ;   in Loop: Header=BB6_49 Depth=1
	s_or_b32 exec_lo, exec_lo, s25
.LBB6_5185:                             ;   in Loop: Header=BB6_49 Depth=1
	s_andn2_saveexec_b32 s24, s24
	s_cbranch_execz .LBB6_5187
; %bb.5186:                             ;   in Loop: Header=BB6_49 Depth=1
	s_waitcnt vmcnt(0) lgkmcnt(0)
	s_waitcnt_vscnt null, 0x0
	buffer_gl1_inv
	buffer_gl0_inv
	s_barrier
.LBB6_5187:                             ;   in Loop: Header=BB6_49 Depth=1
	s_or_b32 exec_lo, exec_lo, s24
.LBB6_5188:                             ;   in Loop: Header=BB6_49 Depth=1
	s_or_b32 exec_lo, exec_lo, s13
	s_trap 2
	ds_read_b32 v2, v0
	v_cmp_lt_i32_e32 vcc_lo, 0, v10
	s_waitcnt lgkmcnt(0)
	v_readfirstlane_b32 s13, v2
	v_and_b32_e32 v2, 16, v117
	s_cmp_eq_u32 s13, 0
	v_cmp_ne_u32_e64 s13, 0, v2
	s_cselect_b32 s24, -1, 0
	s_and_b32 s24, vcc_lo, s24
	s_and_b32 s24, s13, s24
	s_and_saveexec_b32 s13, s24
	s_cbranch_execz .LBB6_5190
; %bb.5189:                             ;   in Loop: Header=BB6_49 Depth=1
	s_waitcnt vmcnt(0)
	s_waitcnt_vscnt null, 0x0
	buffer_gl1_inv
	buffer_gl0_inv
.LBB6_5190:                             ;   in Loop: Header=BB6_49 Depth=1
	s_or_b32 exec_lo, exec_lo, s13
	v_cmp_ne_u32_e32 vcc_lo, 0, v2
	s_xor_b32 s13, s12, -1
	s_and_b32 s24, vcc_lo, s13
	s_and_saveexec_b32 s13, s24
	s_cbranch_execz .LBB6_5192
; %bb.5191:                             ;   in Loop: Header=BB6_49 Depth=1
	s_waitcnt vmcnt(0)
	s_waitcnt_vscnt null, 0x0
	flat_store_dword v[82:83], v47
.LBB6_5192:                             ;   in Loop: Header=BB6_49 Depth=1
	s_or_b32 exec_lo, exec_lo, s13
	v_and_b32_e32 v2, 48, v117
	s_mov_b32 s13, exec_lo
	v_cmpx_ne_u32_e32 0, v2
	s_cbranch_execnz .LBB6_5193
; %bb.10574:                            ;   in Loop: Header=BB6_49 Depth=1
	s_getpc_b64 s[34:35]
.Lpost_getpc16:
	s_add_u32 s34, s34, (.LBB6_47-.Lpost_getpc16)&4294967295
	s_addc_u32 s35, s35, (.LBB6_47-.Lpost_getpc16)>>32
	s_setpc_b64 s[34:35]
.LBB6_5193:                             ;   in Loop: Header=BB6_49 Depth=1
	v_add_co_u32 v8, vcc_lo, v8, 1
	v_add_co_ci_u32_e64 v9, null, 0, v9, vcc_lo
	s_waitcnt vmcnt(0) lgkmcnt(0)
	s_waitcnt_vscnt null, 0x0
	flat_store_dwordx2 v[64:65], v[8:9]
; %bb.10550:                            ;   in Loop: Header=BB6_49 Depth=1
	s_getpc_b64 s[34:35]
.Lpost_getpc4:
	s_add_u32 s34, s34, (.LBB6_47-.Lpost_getpc4)&4294967295
	s_addc_u32 s35, s35, (.LBB6_47-.Lpost_getpc4)>>32
	s_setpc_b64 s[34:35]
.LBB6_5194:
	s_or_b32 exec_lo, exec_lo, s21
.LBB6_5195:
	s_or_b32 exec_lo, exec_lo, s19
                                        ; implicit-def: $vgpr52_vgpr53
                                        ; implicit-def: $vgpr4_vgpr5
                                        ; implicit-def: $vgpr118
                                        ; implicit-def: $vgpr70_vgpr71
                                        ; implicit-def: $vgpr66_vgpr67
                                        ; implicit-def: $vgpr64_vgpr65
                                        ; implicit-def: $vgpr0
                                        ; implicit-def: $vgpr25
                                        ; implicit-def: $vgpr80
.LBB6_5196:
	s_andn2_saveexec_b32 s14, s18
	s_cbranch_execnz .LBB6_5197
; %bb.10576:
	s_getpc_b64 s[34:35]
.Lpost_getpc17:
	s_add_u32 s34, s34, (.LBB6_10336-.Lpost_getpc17)&4294967295
	s_addc_u32 s35, s35, (.LBB6_10336-.Lpost_getpc17)>>32
	s_setpc_b64 s[34:35]
.LBB6_5197:
	v_mov_b32_e32 v68, 0
	v_mov_b32_e32 v69, 0
	s_mov_b32 s18, exec_lo
	v_cmpx_ne_u64_e32 0, v[4:5]
	s_cbranch_execnz .LBB6_5198
; %bb.10578:
	s_getpc_b64 s[34:35]
.Lpost_getpc18:
	s_add_u32 s34, s34, (.LBB6_10335-.Lpost_getpc18)&4294967295
	s_addc_u32 s35, s35, (.LBB6_10335-.Lpost_getpc18)>>32
	s_setpc_b64 s[34:35]
.LBB6_5198:
	v_and_b32_e32 v2, 31, v31
	v_lshrrev_b32_e32 v87, 5, v0
	v_and_b32_e32 v112, 31, v0
	v_lshrrev_b32_e32 v113, 5, v1
	s_ashr_i32 s6, s16, 31
	v_cmp_eq_u32_e64 s7, 0, v2
	v_lshlrev_b32_e32 v2, 11, v87
	s_lshr_b32 s6, s6, 24
	v_cmp_eq_u32_e32 vcc_lo, 32, v1
	s_waitcnt vmcnt(1) lgkmcnt(1)
	v_mov_b32_e32 v82, 0
	v_mov_b32_e32 v68, 0
	v_cmp_ge_u32_e64 s5, v0, v1
	s_add_i32 s12, s16, s6
	v_cmp_ne_u32_e64 s6, 32, v1
	s_waitcnt vmcnt(0)
	v_cmp_ne_u32_sdwa s19, v1, v116 src0_sel:DWORD src1_sel:WORD_0
	v_mov_b32_e32 v30, 0
	v_cmp_le_u32_e64 s10, v112, v25
	v_cmp_eq_u32_e64 s11, 0, v112
	v_lshl_or_b32 v114, v112, 4, v2
	v_lshlrev_b32_e32 v115, 11, v113
	v_lshlrev_b32_e32 v119, 9, v113
	v_lshlrev_b32_e32 v40, 10, v113
	v_and_b32_e32 v41, 0x1fe0, v1
	v_mov_b32_e32 v83, 0
	v_mov_b32_e32 v43, 0x7f
	;; [unrolled: 1-line block ×7, first 2 shown]
	s_ashr_i32 s21, s12, 8
	s_mov_b32 s20, 0
	s_xor_b32 s22, vcc_lo, -1
	s_trap 2
	s_branch .LBB6_5201
.LBB6_5199:                             ;   in Loop: Header=BB6_5201 Depth=1
	s_or_b32 exec_lo, exec_lo, s12
.LBB6_5200:                             ;   in Loop: Header=BB6_5201 Depth=1
	s_or_b32 exec_lo, exec_lo, s13
	v_add_co_u32 v82, vcc_lo, v82, v80
	v_add_co_ci_u32_e64 v83, null, 0, v83, vcc_lo
	v_cmp_ge_u64_e32 vcc_lo, v[82:83], v[4:5]
	s_or_b32 s20, vcc_lo, s20
	s_andn2_b32 exec_lo, exec_lo, s20
	s_cbranch_execnz .LBB6_5201
; %bb.10580:
	s_getpc_b64 s[34:35]
.Lpost_getpc19:
	s_add_u32 s34, s34, (.LBB6_10334-.Lpost_getpc19)&4294967295
	s_addc_u32 s35, s35, (.LBB6_10334-.Lpost_getpc19)>>32
	s_setpc_b64 s[34:35]
.LBB6_5201:                             ; =>This Loop Header: Depth=1
                                        ;     Child Loop BB6_5210 Depth 2
                                        ;     Child Loop BB6_5234 Depth 2
	;; [unrolled: 1-line block ×10, first 2 shown]
	v_sub_co_u32 v2, vcc_lo, v4, v82
	v_sub_co_ci_u32_e64 v3, null, v5, v83, vcc_lo
	v_mov_b32_e32 v14, 0
	v_cmp_lt_u64_e32 vcc_lo, v[80:81], v[2:3]
	v_cndmask_b32_e32 v84, v2, v80, vcc_lo
	v_cndmask_b32_e64 v85, v3, 0, vcc_lo
	v_add_nc_u32_e32 v2, 15, v84
	v_cmp_eq_u64_e32 vcc_lo, 0, v[84:85]
	v_and_b32_e32 v2, 0x7ffffff0, v2
	s_or_b32 s23, s5, vcc_lo
	s_xor_b32 s12, s23, -1
	v_max_i32_e32 v56, s21, v2
	s_and_saveexec_b32 s24, s12
	s_cbranch_execnz .LBB6_5202
; %bb.10582:                            ;   in Loop: Header=BB6_5201 Depth=1
	s_getpc_b64 s[34:35]
.Lpost_getpc20:
	s_add_u32 s34, s34, (.LBB6_10288-.Lpost_getpc20)&4294967295
	s_addc_u32 s35, s35, (.LBB6_10288-.Lpost_getpc20)>>32
	s_setpc_b64 s[34:35]
.LBB6_5202:                             ;   in Loop: Header=BB6_5201 Depth=1
	s_and_saveexec_b32 s13, s4
	s_cbranch_execz .LBB6_5204
; %bb.5203:                             ;   in Loop: Header=BB6_5201 Depth=1
	s_trap 2
	ds_read2_b64 v[10:13], v0 offset1:1
	ds_read_b64 v[2:3], v0
	v_add_co_u32 v14, vcc_lo, v82, v52
	v_add_co_ci_u32_e64 v15, null, v83, v53, vcc_lo
	s_waitcnt lgkmcnt(1)
	v_add_co_u32 v10, vcc_lo, v10, v14
	v_add_co_ci_u32_e64 v11, null, v11, v15, vcc_lo
	s_waitcnt lgkmcnt(0)
	v_add_co_u32 v16, vcc_lo, v2, v14
	v_add_co_ci_u32_e64 v17, null, v3, v15, vcc_lo
	v_cmp_ne_u64_e32 vcc_lo, 0, v[2:3]
	v_add_co_u32 v2, s12, v12, v14
	v_add_co_ci_u32_e64 v3, null, v13, v15, s12
	v_cndmask_b32_e32 v13, 0, v17, vcc_lo
	v_cndmask_b32_e32 v12, 0, v16, vcc_lo
	ds_write_b64 v0, v[10:11]
	ds_write_b64 v0, v[2:3]
	;; [unrolled: 1-line block ×3, first 2 shown]
.LBB6_5204:                             ;   in Loop: Header=BB6_5201 Depth=1
	s_or_b32 exec_lo, exec_lo, s13
	v_and_b32_e32 v2, 4, v117
	s_mov_b32 s13, exec_lo
	v_cmpx_ne_u32_e32 0, v2
	s_cbranch_execz .LBB6_5226
; %bb.5205:                             ;   in Loop: Header=BB6_5201 Depth=1
	s_waitcnt lgkmcnt(0)
	v_add_co_u32 v10, vcc_lo, v8, 1
	v_add_co_ci_u32_e64 v11, null, 0, v9, vcc_lo
	s_mov_b32 s25, exec_lo
	s_waitcnt vmcnt(0)
	v_cmpx_lt_u64_e64 v[70:71], v[10:11]
	s_cbranch_execz .LBB6_5217
; %bb.5206:                             ;   in Loop: Header=BB6_5201 Depth=1
	v_and_b32_e32 v2, 64, v117
	s_mov_b32 s26, 0
	s_mov_b32 s40, 0
                                        ; implicit-def: $sgpr27
                                        ; implicit-def: $sgpr28
                                        ; implicit-def: $sgpr29
	v_cmp_eq_u32_e32 vcc_lo, 0, v2
	s_branch .LBB6_5210
.LBB6_5207:                             ;   in Loop: Header=BB6_5210 Depth=2
	s_waitcnt vmcnt(0) lgkmcnt(0)
	v_cmp_ge_u64_e64 s12, v[70:71], v[10:11]
	s_or_b32 s43, s43, exec_lo
	s_orn2_b32 s42, s12, exec_lo
.LBB6_5208:                             ;   in Loop: Header=BB6_5210 Depth=2
	s_or_b32 exec_lo, exec_lo, s45
	s_andn2_b32 s12, s29, exec_lo
	s_and_b32 s29, s43, exec_lo
	s_andn2_b32 s28, s28, exec_lo
	s_and_b32 s42, s42, exec_lo
	s_or_b32 s29, s12, s29
	s_or_b32 s28, s28, s42
.LBB6_5209:                             ;   in Loop: Header=BB6_5210 Depth=2
	s_or_b32 exec_lo, exec_lo, s41
	s_and_b32 s12, exec_lo, s28
	s_or_b32 s26, s12, s26
	s_andn2_b32 s12, s27, exec_lo
	s_and_b32 s27, s29, exec_lo
	s_or_b32 s27, s12, s27
	s_andn2_b32 exec_lo, exec_lo, s26
	s_cbranch_execz .LBB6_5214
.LBB6_5210:                             ;   Parent Loop BB6_5201 Depth=1
                                        ; =>  This Inner Loop Header: Depth=2
	s_sleep 1
	s_waitcnt vmcnt(0) lgkmcnt(0)
	flat_load_dwordx2 v[70:71], v[64:65] glc dlc
	s_or_b32 s29, s29, exec_lo
	s_or_b32 s28, s28, exec_lo
                                        ; implicit-def: $vgpr9
	s_and_saveexec_b32 s41, vcc_lo
	s_cbranch_execz .LBB6_5209
; %bb.5211:                             ;   in Loop: Header=BB6_5210 Depth=2
	s_cmpk_lt_i32 s40, 0x270f
	s_mov_b32 s42, -1
	s_cselect_b32 s44, -1, 0
	s_cmpk_gt_i32 s40, 0x270e
	s_cbranch_scc0 .LBB6_5213
; %bb.5212:                             ;   in Loop: Header=BB6_5210 Depth=2
	s_trap 2
	ds_read_b64 v[2:3], v0
	s_andn2_b32 s40, s44, exec_lo
	s_mov_b32 s43, 0
	s_waitcnt vmcnt(0) lgkmcnt(0)
	s_waitcnt_vscnt null, 0x0
	flat_load_dword v9, v[2:3] glc dlc
	s_waitcnt vmcnt(0) lgkmcnt(0)
	buffer_gl1_inv
	buffer_gl0_inv
	v_cmp_eq_u32_e64 s12, 0, v9
	s_and_b32 s12, s12, exec_lo
	s_or_b32 s44, s40, s12
	s_mov_b32 s40, 0
	s_and_saveexec_b32 s45, s44
	s_cbranch_execz .LBB6_5208
	s_branch .LBB6_5207
.LBB6_5213:                             ;   in Loop: Header=BB6_5210 Depth=2
	s_add_i32 s40, s40, 1
	s_mov_b32 s43, -1
                                        ; implicit-def: $vgpr9
	s_and_saveexec_b32 s45, s44
	s_cbranch_execz .LBB6_5208
	s_branch .LBB6_5207
.LBB6_5214:                             ;   in Loop: Header=BB6_5201 Depth=1
	s_or_b32 exec_lo, exec_lo, s26
	s_xor_b32 s12, s27, -1
	s_and_saveexec_b32 s26, s12
	s_xor_b32 s12, exec_lo, s26
	s_cbranch_execz .LBB6_5216
; %bb.5215:                             ;   in Loop: Header=BB6_5201 Depth=1
	v_or_b32_e32 v117, 64, v117
	s_waitcnt vmcnt(0) lgkmcnt(0)
	s_waitcnt_vscnt null, 0x0
	ds_write_b32 v0, v9
	s_trap 2
.LBB6_5216:                             ;   in Loop: Header=BB6_5201 Depth=1
	s_or_b32 exec_lo, exec_lo, s12
.LBB6_5217:                             ;   in Loop: Header=BB6_5201 Depth=1
	s_or_b32 exec_lo, exec_lo, s25
	v_and_b32_e32 v2, 0x100, v117
	v_and_b32_e32 v14, 7, v8
	s_mov_b32 s12, -1
	s_mov_b32 s25, exec_lo
	;;#ASMSTART
	s_wakeup
	;;#ASMEND
                                        ; implicit-def: $vgpr8_vgpr9
	v_cmpx_ne_u32_e32 0, v2
	s_cbranch_execz .LBB6_5221
; %bb.5218:                             ;   in Loop: Header=BB6_5201 Depth=1
	v_mad_u64_u32 v[12:13], null, v14, 24, v[6:7]
	s_mov_b32 s26, exec_lo
                                        ; implicit-def: $vgpr8_vgpr9
	flat_load_dword v2, v[12:13]
	s_waitcnt vmcnt(0) lgkmcnt(0)
	v_cmp_ne_u32_e32 vcc_lo, 1, v2
	v_cmpx_eq_u32_e32 1, v2
	s_cbranch_execz .LBB6_5220
; %bb.5219:                             ;   in Loop: Header=BB6_5201 Depth=1
	flat_load_dword v8, v[12:13] offset:4 glc dlc
	s_waitcnt vmcnt(0) lgkmcnt(0)
	v_ashrrev_i32_e32 v9, 31, v8
.LBB6_5220:                             ;   in Loop: Header=BB6_5201 Depth=1
	s_or_b32 exec_lo, exec_lo, s26
	s_orn2_b32 s12, vcc_lo, exec_lo
.LBB6_5221:                             ;   in Loop: Header=BB6_5201 Depth=1
	s_or_b32 exec_lo, exec_lo, s25
	s_and_saveexec_b32 s25, s12
; %bb.5222:                             ;   in Loop: Header=BB6_5201 Depth=1
	v_mad_i64_i32 v[8:9], null, v14, v118, 0
; %bb.5223:                             ;   in Loop: Header=BB6_5201 Depth=1
	s_or_b32 exec_lo, exec_lo, s25
	v_add_co_u32 v2, vcc_lo, v66, v8
	v_and_b32_e32 v12, 0x2000, v117
	v_add_co_ci_u32_e64 v3, null, v67, v9, vcc_lo
	s_mov_b32 s12, exec_lo
	ds_write_b64 v0, v[2:3] offset:728
	v_cmpx_ne_u32_e32 0, v12
	s_cbranch_execz .LBB6_5225
; %bb.5224:                             ;   in Loop: Header=BB6_5201 Depth=1
	ds_read_b64 v[2:3], v0 offset:872
	s_waitcnt lgkmcnt(0)
	v_add_co_u32 v2, vcc_lo, v2, 1
	v_add_co_ci_u32_e64 v3, null, 0, v3, vcc_lo
	ds_write_b64 v0, v[2:3] offset:872
.LBB6_5225:                             ;   in Loop: Header=BB6_5201 Depth=1
	s_or_b32 exec_lo, exec_lo, s12
	v_mov_b32_e32 v8, v10
	v_mov_b32_e32 v9, v11
.LBB6_5226:                             ;   in Loop: Header=BB6_5201 Depth=1
	s_or_b32 exec_lo, exec_lo, s13
	s_and_saveexec_b32 s12, s6
	s_cbranch_execz .LBB6_5245
; %bb.5227:                             ;   in Loop: Header=BB6_5201 Depth=1
	s_and_saveexec_b32 s13, s19
	s_xor_b32 s13, exec_lo, s13
	s_cbranch_execz .LBB6_5242
; %bb.5228:                             ;   in Loop: Header=BB6_5201 Depth=1
	s_and_saveexec_b32 s25, s7
	s_cbranch_execz .LBB6_5241
; %bb.5229:                             ;   in Loop: Header=BB6_5201 Depth=1
	s_mov_b32 s27, exec_lo
	s_mov_b32 s26, exec_lo
	v_mbcnt_lo_u32_b32 v2, s27, 0
	s_waitcnt vmcnt(0) lgkmcnt(0)
	s_waitcnt_vscnt null, 0x0
	buffer_gl1_inv
	buffer_gl0_inv
	v_cmpx_eq_u32_e32 0, v2
	s_cbranch_execz .LBB6_5231
; %bb.5230:                             ;   in Loop: Header=BB6_5201 Depth=1
	s_bcnt1_i32_b32 s27, s27
	v_mov_b32_e32 v29, s27
	ds_add_u64 v0, v[29:30]
	s_trap 2
.LBB6_5231:                             ;   in Loop: Header=BB6_5201 Depth=1
	s_or_b32 exec_lo, exec_lo, s26
	s_trap 2
	ds_read_b64 v[2:3], v0
	s_waitcnt lgkmcnt(0)
	buffer_gl0_inv
	v_add_co_u32 v68, vcc_lo, v68, v113
	v_add_co_ci_u32_e64 v69, null, 0, v69, vcc_lo
	s_mov_b32 s26, exec_lo
	v_cmpx_lt_u64_e64 v[2:3], v[68:69]
	s_cbranch_execz .LBB6_5240
; %bb.5232:                             ;   in Loop: Header=BB6_5201 Depth=1
	s_mov_b32 s27, 0
	s_mov_b32 s40, 0
                                        ; implicit-def: $sgpr28
                                        ; implicit-def: $sgpr29
	s_inst_prefetch 0x1
	s_branch .LBB6_5234
	.p2align	6
.LBB6_5233:                             ;   in Loop: Header=BB6_5234 Depth=2
	s_or_b32 exec_lo, exec_lo, s42
	s_and_b32 s41, exec_lo, s43
	s_or_b32 s27, s41, s27
	s_andn2_b32 s28, s28, exec_lo
	s_and_b32 s41, s29, exec_lo
	s_or_b32 s28, s28, s41
	s_andn2_b32 exec_lo, exec_lo, s27
	s_cbranch_execz .LBB6_5238
.LBB6_5234:                             ;   Parent Loop BB6_5201 Depth=1
                                        ; =>  This Inner Loop Header: Depth=2
	s_add_i32 s40, s40, 1
	s_cmpk_lg_i32 s40, 0x2710
	s_cselect_b32 s41, -1, 0
	s_and_b32 vcc_lo, exec_lo, s41
	s_cbranch_vccz .LBB6_5236
; %bb.5235:                             ;   in Loop: Header=BB6_5234 Depth=2
	s_mov_b32 s43, -1
	s_or_b32 s29, s29, exec_lo
	s_and_saveexec_b32 s42, s41
	s_cbranch_execz .LBB6_5233
	s_branch .LBB6_5237
	.p2align	6
.LBB6_5236:                             ;   in Loop: Header=BB6_5234 Depth=2
	s_trap 2
	ds_read_b64 v[2:3], v0
	s_andn2_b32 s41, s41, exec_lo
	s_mov_b32 s40, 0
	s_waitcnt lgkmcnt(0)
	flat_load_dword v2, v[2:3] glc dlc
	s_waitcnt vmcnt(0) lgkmcnt(0)
	buffer_gl1_inv
	buffer_gl0_inv
	v_cmp_eq_u32_e32 vcc_lo, 0, v2
	s_and_b32 s42, vcc_lo, exec_lo
	s_or_b32 s41, s41, s42
	s_mov_b32 s43, -1
	s_or_b32 s29, s29, exec_lo
	s_and_saveexec_b32 s42, s41
	s_cbranch_execz .LBB6_5233
.LBB6_5237:                             ;   in Loop: Header=BB6_5234 Depth=2
	s_sleep 1
	s_trap 2
	ds_read_b64 v[2:3], v0
	s_waitcnt lgkmcnt(0)
	buffer_gl0_inv
	s_andn2_b32 s29, s29, exec_lo
	v_cmp_ge_u64_e32 vcc_lo, v[2:3], v[68:69]
	s_orn2_b32 s43, vcc_lo, exec_lo
	s_branch .LBB6_5233
.LBB6_5238:                             ;   in Loop: Header=BB6_5201 Depth=1
	s_inst_prefetch 0x2
	s_or_b32 exec_lo, exec_lo, s27
	s_and_saveexec_b32 s27, s28
	s_xor_b32 s27, exec_lo, s27
	s_cbranch_execz .LBB6_5240
; %bb.5239:                             ;   in Loop: Header=BB6_5201 Depth=1
	v_mov_b32_e32 v2, 1
	ds_write_b32 v0, v2
	s_trap 2
.LBB6_5240:                             ;   in Loop: Header=BB6_5201 Depth=1
	s_or_b32 exec_lo, exec_lo, s26
	;;#ASMSTART
	s_wakeup
	;;#ASMEND
.LBB6_5241:                             ;   in Loop: Header=BB6_5201 Depth=1
	s_or_b32 exec_lo, exec_lo, s25
.LBB6_5242:                             ;   in Loop: Header=BB6_5201 Depth=1
	s_andn2_saveexec_b32 s13, s13
	s_cbranch_execz .LBB6_5244
; %bb.5243:                             ;   in Loop: Header=BB6_5201 Depth=1
	s_waitcnt vmcnt(0) lgkmcnt(0)
	s_waitcnt_vscnt null, 0x0
	buffer_gl1_inv
	buffer_gl0_inv
	s_barrier
.LBB6_5244:                             ;   in Loop: Header=BB6_5201 Depth=1
	s_or_b32 exec_lo, exec_lo, s13
.LBB6_5245:                             ;   in Loop: Header=BB6_5201 Depth=1
	s_or_b32 exec_lo, exec_lo, s12
	s_trap 2
	ds_read_b32 v10, v0
	v_and_b32_e32 v2, 0x4000, v117
	v_cmp_ne_u32_e32 vcc_lo, 0, v2
	s_and_b32 s13, s22, vcc_lo
	s_and_saveexec_b32 s12, s13
	s_cbranch_execz .LBB6_5264
; %bb.5246:                             ;   in Loop: Header=BB6_5201 Depth=1
	s_and_saveexec_b32 s13, s19
	s_xor_b32 s13, exec_lo, s13
	s_cbranch_execz .LBB6_5261
; %bb.5247:                             ;   in Loop: Header=BB6_5201 Depth=1
	s_and_saveexec_b32 s25, s7
	s_cbranch_execz .LBB6_5260
; %bb.5248:                             ;   in Loop: Header=BB6_5201 Depth=1
	s_mov_b32 s27, exec_lo
	s_mov_b32 s26, exec_lo
	v_mbcnt_lo_u32_b32 v2, s27, 0
	s_waitcnt vmcnt(0) lgkmcnt(0)
	s_waitcnt_vscnt null, 0x0
	buffer_gl1_inv
	buffer_gl0_inv
	v_cmpx_eq_u32_e32 0, v2
	s_cbranch_execz .LBB6_5250
; %bb.5249:                             ;   in Loop: Header=BB6_5201 Depth=1
	s_bcnt1_i32_b32 s27, s27
	v_mov_b32_e32 v29, s27
	ds_add_u64 v0, v[29:30]
	s_trap 2
.LBB6_5250:                             ;   in Loop: Header=BB6_5201 Depth=1
	s_or_b32 exec_lo, exec_lo, s26
	s_trap 2
	ds_read_b64 v[2:3], v0
	s_waitcnt lgkmcnt(0)
	buffer_gl0_inv
	v_add_co_u32 v68, vcc_lo, v68, v113
	v_add_co_ci_u32_e64 v69, null, 0, v69, vcc_lo
	s_mov_b32 s26, exec_lo
	v_cmpx_lt_u64_e64 v[2:3], v[68:69]
	s_cbranch_execz .LBB6_5259
; %bb.5251:                             ;   in Loop: Header=BB6_5201 Depth=1
	s_mov_b32 s27, 0
	s_mov_b32 s40, 0
                                        ; implicit-def: $sgpr28
                                        ; implicit-def: $sgpr29
	s_inst_prefetch 0x1
	s_branch .LBB6_5253
	.p2align	6
.LBB6_5252:                             ;   in Loop: Header=BB6_5253 Depth=2
	s_or_b32 exec_lo, exec_lo, s42
	s_and_b32 s41, exec_lo, s43
	s_or_b32 s27, s41, s27
	s_andn2_b32 s28, s28, exec_lo
	s_and_b32 s41, s29, exec_lo
	s_or_b32 s28, s28, s41
	s_andn2_b32 exec_lo, exec_lo, s27
	s_cbranch_execz .LBB6_5257
.LBB6_5253:                             ;   Parent Loop BB6_5201 Depth=1
                                        ; =>  This Inner Loop Header: Depth=2
	s_add_i32 s40, s40, 1
	s_cmpk_lg_i32 s40, 0x2710
	s_cselect_b32 s41, -1, 0
	s_and_b32 vcc_lo, exec_lo, s41
	s_cbranch_vccz .LBB6_5255
; %bb.5254:                             ;   in Loop: Header=BB6_5253 Depth=2
	s_mov_b32 s43, -1
	s_or_b32 s29, s29, exec_lo
	s_and_saveexec_b32 s42, s41
	s_cbranch_execz .LBB6_5252
	s_branch .LBB6_5256
	.p2align	6
.LBB6_5255:                             ;   in Loop: Header=BB6_5253 Depth=2
	s_trap 2
	ds_read_b64 v[2:3], v0
	s_andn2_b32 s41, s41, exec_lo
	s_mov_b32 s40, 0
	s_waitcnt lgkmcnt(0)
	flat_load_dword v2, v[2:3] glc dlc
	s_waitcnt vmcnt(0) lgkmcnt(0)
	buffer_gl1_inv
	buffer_gl0_inv
	v_cmp_eq_u32_e32 vcc_lo, 0, v2
	s_and_b32 s42, vcc_lo, exec_lo
	s_or_b32 s41, s41, s42
	s_mov_b32 s43, -1
	s_or_b32 s29, s29, exec_lo
	s_and_saveexec_b32 s42, s41
	s_cbranch_execz .LBB6_5252
.LBB6_5256:                             ;   in Loop: Header=BB6_5253 Depth=2
	s_sleep 1
	s_trap 2
	ds_read_b64 v[2:3], v0
	s_waitcnt lgkmcnt(0)
	buffer_gl0_inv
	s_andn2_b32 s29, s29, exec_lo
	v_cmp_ge_u64_e32 vcc_lo, v[2:3], v[68:69]
	s_orn2_b32 s43, vcc_lo, exec_lo
	s_branch .LBB6_5252
.LBB6_5257:                             ;   in Loop: Header=BB6_5201 Depth=1
	s_inst_prefetch 0x2
	s_or_b32 exec_lo, exec_lo, s27
	s_and_saveexec_b32 s27, s28
	s_xor_b32 s27, exec_lo, s27
	s_cbranch_execz .LBB6_5259
; %bb.5258:                             ;   in Loop: Header=BB6_5201 Depth=1
	v_mov_b32_e32 v2, 1
	ds_write_b32 v0, v2
	s_trap 2
.LBB6_5259:                             ;   in Loop: Header=BB6_5201 Depth=1
	s_or_b32 exec_lo, exec_lo, s26
	;;#ASMSTART
	s_wakeup
	;;#ASMEND
.LBB6_5260:                             ;   in Loop: Header=BB6_5201 Depth=1
	s_or_b32 exec_lo, exec_lo, s25
.LBB6_5261:                             ;   in Loop: Header=BB6_5201 Depth=1
	s_andn2_saveexec_b32 s13, s13
	s_cbranch_execz .LBB6_5263
; %bb.5262:                             ;   in Loop: Header=BB6_5201 Depth=1
	s_waitcnt vmcnt(0) lgkmcnt(0)
	s_waitcnt_vscnt null, 0x0
	buffer_gl1_inv
	buffer_gl0_inv
	s_barrier
.LBB6_5263:                             ;   in Loop: Header=BB6_5201 Depth=1
	s_or_b32 exec_lo, exec_lo, s13
.LBB6_5264:                             ;   in Loop: Header=BB6_5201 Depth=1
	s_or_b32 exec_lo, exec_lo, s12
	s_trap 2
	ds_read_b64 v[85:86], v0
	v_min_u32_e32 v56, v56, v84
	s_waitcnt lgkmcnt(0)
	v_cmp_eq_u64_e32 vcc_lo, 0, v[85:86]
	s_cbranch_vccnz .LBB6_5272
; %bb.5265:                             ;   in Loop: Header=BB6_5201 Depth=1
	s_trap 2
	ds_read_b64 v[96:97], v0
	s_waitcnt lgkmcnt(0)
	v_cmp_eq_u64_e32 vcc_lo, 0, v[96:97]
	s_cbranch_vccnz .LBB6_5272
; %bb.5266:                             ;   in Loop: Header=BB6_5201 Depth=1
	s_trap 2
	ds_read_b64 v[2:3], v0
	s_mov_b32 s12, -1
	s_waitcnt lgkmcnt(0)
	v_readfirstlane_b32 s25, v2
	s_and_saveexec_b32 s13, s10
	s_cbranch_execz .LBB6_5268
; %bb.5267:                             ;   in Loop: Header=BB6_5201 Depth=1
	ds_read_b32 v2, v0 offset:720
	s_waitcnt lgkmcnt(0)
	v_and_b32_e32 v2, 15, v2
	v_cmp_eq_u32_e32 vcc_lo, 0, v2
	s_orn2_b32 s12, vcc_lo, exec_lo
.LBB6_5268:                             ;   in Loop: Header=BB6_5201 Depth=1
	s_or_b32 exec_lo, exec_lo, s13
	s_and_saveexec_b32 s13, s11
	s_cbranch_execz .LBB6_5270
; %bb.5269:                             ;   in Loop: Header=BB6_5201 Depth=1
	ds_read_b32 v2, v0 offset:784
	s_waitcnt lgkmcnt(0)
	v_and_b32_e32 v2, 15, v2
	v_cmp_eq_u32_e32 vcc_lo, 0, v2
	s_and_b32 s26, s12, vcc_lo
	s_andn2_b32 s12, s12, exec_lo
	s_and_b32 s26, s26, exec_lo
	s_or_b32 s12, s12, s26
.LBB6_5270:                             ;   in Loop: Header=BB6_5201 Depth=1
	s_or_b32 exec_lo, exec_lo, s13
	v_cmp_eq_u32_e32 vcc_lo, 0, v10
	s_xor_b32 s12, s12, -1
	v_mov_b32_e32 v16, 0
	v_cndmask_b32_e64 v2, 0, 1, s12
	v_mov_b32_e32 v18, v0
	v_cndmask_b32_e32 v57, 0, v56, vcc_lo
	s_mov_b32 s12, -1
	v_cmp_ne_u32_e32 vcc_lo, 0, v2
	v_mov_b32_e32 v17, v57
	s_cbranch_vccz .LBB6_5273
; %bb.5271:                             ;   in Loop: Header=BB6_5201 Depth=1
	s_and_saveexec_b32 s13, s12
	s_cbranch_execnz .LBB6_8804
; %bb.10552:                            ;   in Loop: Header=BB6_5201 Depth=1
	s_getpc_b64 s[34:35]
.Lpost_getpc5:
	s_add_u32 s34, s34, (.LBB6_10264-.Lpost_getpc5)&4294967295
	s_addc_u32 s35, s35, (.LBB6_10264-.Lpost_getpc5)>>32
	s_setpc_b64 s[34:35]
.LBB6_5272:                             ;   in Loop: Header=BB6_5201 Depth=1
	s_mov_b32 s12, 0
	s_and_saveexec_b32 s13, s6
	s_cbranch_execz .LBB6_10554
; %bb.10584:                            ;   in Loop: Header=BB6_5201 Depth=1
	s_getpc_b64 s[34:35]
.Lpost_getpc21:
	s_add_u32 s34, s34, (.LBB6_10265-.Lpost_getpc21)&4294967295
	s_addc_u32 s35, s35, (.LBB6_10265-.Lpost_getpc21)>>32
	s_setpc_b64 s[34:35]
.LBB6_10554:                            ;   in Loop: Header=BB6_5201 Depth=1
	s_getpc_b64 s[34:35]
.Lpost_getpc6:
	s_add_u32 s34, s34, (.LBB6_10283-.Lpost_getpc6)&4294967295
	s_addc_u32 s35, s35, (.LBB6_10283-.Lpost_getpc6)>>32
	s_setpc_b64 s[34:35]
.LBB6_5273:                             ;   in Loop: Header=BB6_5201 Depth=1
	v_lshrrev_b32_e32 v2, 11, v57
	s_mov_b32 s13, exec_lo
	v_sub_nc_u32_e32 v58, v2, v87
	v_cmpx_lt_i32_e32 0, v58
	s_cbranch_execz .LBB6_8093
; %bb.5274:                             ;   in Loop: Header=BB6_5201 Depth=1
	s_trap 2
	ds_read_b64 v[2:3], v0
	v_add_co_u32 v98, vcc_lo, v85, v114
	v_add_co_ci_u32_e64 v99, null, 0, v86, vcc_lo
	s_bitcmp1_b32 s25, 0
	s_mov_b32 s26, 0
	s_cselect_b32 s27, -1, 0
	s_waitcnt lgkmcnt(0)
	v_add_co_u32 v100, vcc_lo, v2, v114
	v_add_co_ci_u32_e64 v101, null, 0, v3, vcc_lo
	v_add_co_u32 v102, vcc_lo, v96, v114
	v_add_co_ci_u32_e64 v103, null, 0, v97, vcc_lo
	s_branch .LBB6_5278
.LBB6_5275:                             ;   in Loop: Header=BB6_5278 Depth=2
	s_or_b32 exec_lo, exec_lo, s12
	v_lshrrev_b32_e32 v2, 21, v2
	v_min_i32_e32 v3, 31, v125
	v_cmp_gt_i32_e32 vcc_lo, 32, v125
	v_and_b32_sdwa v13, v124, v44 dst_sel:DWORD dst_unused:UNUSED_PAD src0_sel:BYTE_3 src1_sel:DWORD
	v_lshlrev_b32_e32 v3, 2, v3
	v_cndmask_b32_e32 v2, 3, v2, vcc_lo
	v_and_b32_e32 v3, 0xfc, v3
	v_and_b32_e32 v17, 3, v2
	v_or_b32_e32 v2, v125, v2
	v_or3_b32 v3, v13, v3, v17
	v_cmp_ne_u32_e32 vcc_lo, 0, v2
	v_lshlrev_b32_e32 v3, 8, v3
	v_cndmask_b32_e32 v13, 0, v3, vcc_lo
.LBB6_5276:                             ;   in Loop: Header=BB6_5278 Depth=2
	s_or_b32 exec_lo, exec_lo, s29
.LBB6_5277:                             ;   in Loop: Header=BB6_5278 Depth=2
	s_or_b32 exec_lo, exec_lo, s28
	v_or_b32_sdwa v2, v19, v95 dst_sel:WORD_1 dst_unused:UNUSED_PAD src0_sel:DWORD src1_sel:DWORD
	v_or_b32_sdwa v3, v18, v93 dst_sel:WORD_1 dst_unused:UNUSED_PAD src0_sel:DWORD src1_sel:DWORD
	;; [unrolled: 1-line block ×5, first 2 shown]
	v_or3_b32 v18, v94, v22, v2
	v_or_b32_sdwa v2, v26, v77 dst_sel:WORD_1 dst_unused:UNUSED_PAD src0_sel:DWORD src1_sel:DWORD
	v_or3_b32 v17, v92, v35, v3
	v_or_b32_sdwa v3, v29, v91 dst_sel:WORD_1 dst_unused:UNUSED_PAD src0_sel:DWORD src1_sel:DWORD
	v_or3_b32 v22, v78, v32, v21
	v_or3_b32 v19, v104, v23, v19
	;; [unrolled: 1-line block ×3, first 2 shown]
	v_or_b32_sdwa v2, v28, v89 dst_sel:WORD_1 dst_unused:UNUSED_PAD src0_sel:DWORD src1_sel:DWORD
	v_or_b32_sdwa v26, v37, v63 dst_sel:WORD_1 dst_unused:UNUSED_PAD src0_sel:DWORD src1_sel:DWORD
	;; [unrolled: 1-line block ×4, first 2 shown]
	v_or3_b32 v20, v106, v24, v20
	v_or3_b32 v23, v88, v33, v2
	v_or_b32_sdwa v2, v39, v75 dst_sel:WORD_1 dst_unused:UNUSED_PAD src0_sel:DWORD src1_sel:DWORD
	v_or3_b32 v24, v90, v34, v3
	v_or_b32_sdwa v3, v11, v111 dst_sel:WORD_1 dst_unused:UNUSED_PAD src0_sel:DWORD src1_sel:DWORD
	v_or_b32_sdwa v10, v10, v109 dst_sel:WORD_1 dst_unused:UNUSED_PAD src0_sel:DWORD src1_sel:DWORD
	;; [unrolled: 1-line block ×4, first 2 shown]
	v_or3_b32 v27, v62, v48, v26
	v_or3_b32 v26, v60, v59, v28
	;; [unrolled: 1-line block ×4, first 2 shown]
	v_sub_nc_u32_e32 v58, v58, v113
	v_add_co_u32 v98, vcc_lo, v98, v115
	v_or3_b32 v11, v110, v14, v3
	v_or3_b32 v10, v108, v25, v10
	;; [unrolled: 1-line block ×4, first 2 shown]
	v_add_co_ci_u32_e64 v99, null, 0, v99, vcc_lo
	v_add_co_u32 v100, vcc_lo, v100, v115
	global_store_dwordx4 v[102:103], v[26:29], off glc slc
	global_store_dwordx4 v[102:103], v[21:24], off offset:512 glc slc
	global_store_dwordx4 v[102:103], v[17:20], off offset:1024 glc slc
	;; [unrolled: 1-line block ×3, first 2 shown]
	v_add_co_ci_u32_e64 v101, null, 0, v101, vcc_lo
	v_cmp_gt_i32_e32 vcc_lo, 1, v58
	v_add_co_u32 v102, s12, v102, v115
	v_add_co_ci_u32_e64 v103, null, 0, v103, s12
	s_or_b32 s26, vcc_lo, s26
	s_andn2_b32 exec_lo, exec_lo, s26
	s_cbranch_execz .LBB6_8092
.LBB6_5278:                             ;   Parent Loop BB6_5201 Depth=1
                                        ; =>  This Inner Loop Header: Depth=2
	s_clause 0x3
	global_load_dwordx4 v[48:51], v[98:99], off slc
	global_load_dwordx4 v[32:35], v[98:99], off offset:512 slc
	global_load_dwordx4 v[22:25], v[98:99], off offset:1024 slc
	;; [unrolled: 1-line block ×3, first 2 shown]
	s_clause 0x3
	global_load_dwordx4 v[36:39], v[100:101], off slc
	global_load_dwordx4 v[26:29], v[100:101], off offset:512 slc
	global_load_dwordx4 v[18:21], v[100:101], off offset:1024 slc
	;; [unrolled: 1-line block ×3, first 2 shown]
	s_and_b32 vcc_lo, exec_lo, s27
	s_mov_b32 s12, -1
                                        ; implicit-def: $vgpr60
	s_waitcnt vmcnt(7)
	v_cmp_gt_i16_sdwa s28, v48, v43 src0_sel:BYTE_0 src1_sel:DWORD
	s_cbranch_vccz .LBB6_5292
; %bb.5279:                             ;   in Loop: Header=BB6_5278 Depth=2
	s_mov_b32 s12, 0
	s_and_saveexec_b32 s29, s28
	s_xor_b32 s28, exec_lo, s29
	s_cbranch_execz .LBB6_7580
; %bb.5280:                             ;   in Loop: Header=BB6_5278 Depth=2
	v_cmp_eq_u16_sdwa s40, v48, v44 src0_sel:BYTE_0 src1_sel:DWORD
	s_mov_b32 s12, -1
	s_and_saveexec_b32 s29, s40
; %bb.5281:                             ;   in Loop: Header=BB6_5278 Depth=2
	s_xor_b32 s12, exec_lo, -1
; %bb.5282:                             ;   in Loop: Header=BB6_5278 Depth=2
	s_or_b32 exec_lo, exec_lo, s29
	s_and_b32 s12, s12, exec_lo
	s_or_saveexec_b32 s28, s28
	v_mov_b32_e32 v59, 0x7f800001
	s_xor_b32 exec_lo, exec_lo, s28
	s_cbranch_execnz .LBB6_7581
.LBB6_5283:                             ;   in Loop: Header=BB6_5278 Depth=2
	s_or_b32 exec_lo, exec_lo, s28
	s_and_saveexec_b32 s28, s12
	s_cbranch_execz .LBB6_5285
.LBB6_5284:                             ;   in Loop: Header=BB6_5278 Depth=2
	v_and_b32_e32 v2, 3, v48
	v_bfe_u32 v59, v48, 2, 5
	v_lshlrev_b32_e32 v60, 24, v48
	v_ffbh_u32_e32 v3, v2
	v_cmp_eq_u32_e32 vcc_lo, 0, v59
	v_min_u32_e32 v3, 32, v3
	v_subrev_nc_u32_e32 v42, 29, v3
	v_sub_nc_u32_e32 v3, 30, v3
	v_lshlrev_b32_e32 v42, v42, v48
	v_cndmask_b32_e32 v3, v59, v3, vcc_lo
	v_and_b32_e32 v42, 3, v42
	v_lshl_add_u32 v3, v3, 23, 0x37800000
	v_cndmask_b32_e32 v2, v2, v42, vcc_lo
	v_and_b32_e32 v42, 0x80000000, v60
	v_lshlrev_b32_e32 v2, 21, v2
	v_or3_b32 v59, v42, v3, v2
.LBB6_5285:                             ;   in Loop: Header=BB6_5278 Depth=2
	s_or_b32 exec_lo, exec_lo, s28
	s_waitcnt vmcnt(3)
	v_cmp_gt_i16_sdwa s28, v36, v43 src0_sel:BYTE_0 src1_sel:DWORD
	s_mov_b32 s12, 0
	s_and_saveexec_b32 s29, s28
	s_xor_b32 s28, exec_lo, s29
	s_cbranch_execz .LBB6_7582
; %bb.5286:                             ;   in Loop: Header=BB6_5278 Depth=2
	v_cmp_eq_u16_sdwa s40, v36, v44 src0_sel:BYTE_0 src1_sel:DWORD
	s_mov_b32 s12, -1
	s_and_saveexec_b32 s29, s40
; %bb.5287:                             ;   in Loop: Header=BB6_5278 Depth=2
	s_xor_b32 s12, exec_lo, -1
; %bb.5288:                             ;   in Loop: Header=BB6_5278 Depth=2
	s_or_b32 exec_lo, exec_lo, s29
	s_and_b32 s12, s12, exec_lo
	s_or_saveexec_b32 s28, s28
	v_mov_b32_e32 v2, 0x7f800001
	s_xor_b32 exec_lo, exec_lo, s28
	s_cbranch_execnz .LBB6_7583
.LBB6_5289:                             ;   in Loop: Header=BB6_5278 Depth=2
	s_or_b32 exec_lo, exec_lo, s28
	s_and_saveexec_b32 s28, s12
	s_cbranch_execz .LBB6_5291
.LBB6_5290:                             ;   in Loop: Header=BB6_5278 Depth=2
	v_and_b32_e32 v2, 3, v36
	v_bfe_u32 v60, v36, 2, 5
	v_lshlrev_b32_e32 v61, 24, v36
	v_ffbh_u32_e32 v3, v2
	v_cmp_eq_u32_e32 vcc_lo, 0, v60
	v_min_u32_e32 v3, 32, v3
	v_subrev_nc_u32_e32 v42, 29, v3
	v_sub_nc_u32_e32 v3, 30, v3
	v_lshlrev_b32_e32 v42, v42, v36
	v_cndmask_b32_e32 v3, v60, v3, vcc_lo
	v_and_b32_e32 v42, 3, v42
	v_lshl_add_u32 v3, v3, 23, 0x37800000
	v_cndmask_b32_e32 v2, v2, v42, vcc_lo
	v_and_b32_e32 v42, 0x80000000, v61
	v_lshlrev_b32_e32 v2, 21, v2
	v_or3_b32 v2, v42, v3, v2
.LBB6_5291:                             ;   in Loop: Header=BB6_5278 Depth=2
	s_or_b32 exec_lo, exec_lo, s28
	v_max_f32_e32 v2, v2, v2
	v_max_f32_e32 v3, v59, v59
	s_mov_b32 s12, 0
	v_max_f32_e32 v60, v3, v2
.LBB6_5292:                             ;   in Loop: Header=BB6_5278 Depth=2
	s_and_b32 vcc_lo, exec_lo, s12
	s_cbranch_vccz .LBB6_5306
; %bb.5293:                             ;   in Loop: Header=BB6_5278 Depth=2
	v_cmp_gt_i16_sdwa s28, v48, v43 src0_sel:BYTE_0 src1_sel:DWORD
	s_mov_b32 s12, 0
	s_and_saveexec_b32 s29, s28
	s_xor_b32 s28, exec_lo, s29
	s_cbranch_execz .LBB6_7584
; %bb.5294:                             ;   in Loop: Header=BB6_5278 Depth=2
	v_cmp_eq_u16_sdwa s40, v48, v44 src0_sel:BYTE_0 src1_sel:DWORD
	s_mov_b32 s12, -1
	s_and_saveexec_b32 s29, s40
; %bb.5295:                             ;   in Loop: Header=BB6_5278 Depth=2
	s_xor_b32 s12, exec_lo, -1
; %bb.5296:                             ;   in Loop: Header=BB6_5278 Depth=2
	s_or_b32 exec_lo, exec_lo, s29
	s_and_b32 s12, s12, exec_lo
	s_or_saveexec_b32 s28, s28
	v_mov_b32_e32 v59, 0x7f800001
	s_xor_b32 exec_lo, exec_lo, s28
	s_cbranch_execnz .LBB6_7585
.LBB6_5297:                             ;   in Loop: Header=BB6_5278 Depth=2
	s_or_b32 exec_lo, exec_lo, s28
	s_and_saveexec_b32 s28, s12
	s_cbranch_execz .LBB6_5299
.LBB6_5298:                             ;   in Loop: Header=BB6_5278 Depth=2
	v_and_b32_e32 v2, 3, v48
	v_bfe_u32 v59, v48, 2, 5
	v_lshlrev_b32_e32 v60, 24, v48
	v_ffbh_u32_e32 v3, v2
	v_cmp_eq_u32_e32 vcc_lo, 0, v59
	v_min_u32_e32 v3, 32, v3
	v_subrev_nc_u32_e32 v42, 29, v3
	v_sub_nc_u32_e32 v3, 30, v3
	v_lshlrev_b32_e32 v42, v42, v48
	v_cndmask_b32_e32 v3, v59, v3, vcc_lo
	v_and_b32_e32 v42, 3, v42
	v_lshl_add_u32 v3, v3, 23, 0x37800000
	v_cndmask_b32_e32 v2, v2, v42, vcc_lo
	v_and_b32_e32 v42, 0x80000000, v60
	v_lshlrev_b32_e32 v2, 21, v2
	v_or3_b32 v59, v42, v3, v2
.LBB6_5299:                             ;   in Loop: Header=BB6_5278 Depth=2
	s_or_b32 exec_lo, exec_lo, s28
	s_waitcnt vmcnt(3)
	v_cmp_gt_i16_sdwa s28, v36, v43 src0_sel:BYTE_0 src1_sel:DWORD
	s_mov_b32 s12, 0
	s_and_saveexec_b32 s29, s28
	s_xor_b32 s28, exec_lo, s29
	s_cbranch_execz .LBB6_7586
; %bb.5300:                             ;   in Loop: Header=BB6_5278 Depth=2
	v_cmp_eq_u16_sdwa s40, v36, v44 src0_sel:BYTE_0 src1_sel:DWORD
	s_mov_b32 s12, -1
	s_and_saveexec_b32 s29, s40
; %bb.5301:                             ;   in Loop: Header=BB6_5278 Depth=2
	s_xor_b32 s12, exec_lo, -1
; %bb.5302:                             ;   in Loop: Header=BB6_5278 Depth=2
	s_or_b32 exec_lo, exec_lo, s29
	s_and_b32 s12, s12, exec_lo
	s_or_saveexec_b32 s28, s28
	v_mov_b32_e32 v2, 0x7f800001
	s_xor_b32 exec_lo, exec_lo, s28
	s_cbranch_execnz .LBB6_7587
.LBB6_5303:                             ;   in Loop: Header=BB6_5278 Depth=2
	s_or_b32 exec_lo, exec_lo, s28
	s_and_saveexec_b32 s28, s12
	s_cbranch_execz .LBB6_5305
.LBB6_5304:                             ;   in Loop: Header=BB6_5278 Depth=2
	v_and_b32_e32 v2, 3, v36
	v_bfe_u32 v60, v36, 2, 5
	v_lshlrev_b32_e32 v61, 24, v36
	v_ffbh_u32_e32 v3, v2
	v_cmp_eq_u32_e32 vcc_lo, 0, v60
	v_min_u32_e32 v3, 32, v3
	v_subrev_nc_u32_e32 v42, 29, v3
	v_sub_nc_u32_e32 v3, 30, v3
	v_lshlrev_b32_e32 v42, v42, v36
	v_cndmask_b32_e32 v3, v60, v3, vcc_lo
	v_and_b32_e32 v42, 3, v42
	v_lshl_add_u32 v3, v3, 23, 0x37800000
	v_cndmask_b32_e32 v2, v2, v42, vcc_lo
	v_and_b32_e32 v42, 0x80000000, v61
	v_lshlrev_b32_e32 v2, 21, v2
	v_or3_b32 v2, v42, v3, v2
.LBB6_5305:                             ;   in Loop: Header=BB6_5278 Depth=2
	s_or_b32 exec_lo, exec_lo, s28
	v_max_f32_e32 v2, v2, v2
	v_max_f32_e32 v3, v59, v59
	v_min_f32_e32 v60, v3, v2
.LBB6_5306:                             ;   in Loop: Header=BB6_5278 Depth=2
	v_and_b32_e32 v2, 0x7f800000, v60
	v_mov_b32_e32 v59, 0x80
	s_mov_b32 s28, exec_lo
	v_cmpx_ne_u32_e32 0x7f800000, v2
	s_cbranch_execz .LBB6_5314
; %bb.5307:                             ;   in Loop: Header=BB6_5278 Depth=2
	v_mov_b32_e32 v59, 0
	s_mov_b32 s29, exec_lo
	v_cmpx_ne_u32_e32 0, v60
	s_cbranch_execz .LBB6_5313
; %bb.5308:                             ;   in Loop: Header=BB6_5278 Depth=2
	v_bfe_u32 v2, v60, 23, 8
	v_and_b32_e32 v3, 0x7fffff, v60
	v_sub_nc_u32_e32 v42, 0x70, v2
	v_cmp_gt_u32_e32 vcc_lo, 0x71, v2
	v_or_b32_e32 v59, 0x800000, v3
	v_cndmask_b32_e32 v42, 0, v42, vcc_lo
	v_cmp_eq_u32_e32 vcc_lo, 0, v2
	v_add_nc_u32_e32 v2, 0xffffff91, v2
	v_cndmask_b32_e64 v42, v42, 0x6f, vcc_lo
	v_cndmask_b32_e32 v3, v59, v3, vcc_lo
	v_cndmask_b32_e64 v2, v2, 0xffffff92, vcc_lo
	v_lshl_add_u32 v61, 0x200000, v42, -1
	v_lshrrev_b32_e32 v59, v42, v3
	v_lshlrev_b32_e64 v63, v42, 0x100000
	v_add_nc_u32_e32 v2, v42, v2
	v_and_b32_e32 v3, v61, v3
	v_bfe_u32 v62, v59, 21, 1
	v_cmp_eq_u32_e64 s12, v3, v63
	v_add_nc_u32_e32 v61, -1, v62
	v_cndmask_b32_e64 v3, 0, v61, s12
	v_lshrrev_b32_e32 v61, 23, v59
	s_mov_b32 s12, exec_lo
	v_add_nc_u32_e32 v3, v3, v59
	v_and_b32_e32 v42, 0x1fffff, v3
	v_xor_b32_e32 v3, 1, v61
	v_add_nc_u32_e32 v61, v42, v59
                                        ; implicit-def: $vgpr59
	v_cmpx_ne_u32_e64 v2, v3
	s_xor_b32 s12, exec_lo, s12
; %bb.5309:                             ;   in Loop: Header=BB6_5278 Depth=2
	v_cmp_lt_u32_e32 vcc_lo, 0xffffff, v61
	v_sub_nc_u32_e32 v2, v2, v3
	v_cndmask_b32_e64 v3, 0, 1, vcc_lo
	v_add_co_ci_u32_e64 v59, null, 0, v2, vcc_lo
	v_lshrrev_b32_e32 v61, v3, v61
; %bb.5310:                             ;   in Loop: Header=BB6_5278 Depth=2
	s_andn2_saveexec_b32 s12, s12
; %bb.5311:                             ;   in Loop: Header=BB6_5278 Depth=2
	v_bfe_u32 v59, v61, 23, 1
; %bb.5312:                             ;   in Loop: Header=BB6_5278 Depth=2
	s_or_b32 exec_lo, exec_lo, s12
	v_lshrrev_b32_e32 v2, 21, v61
	v_min_i32_e32 v3, 31, v59
	v_cmp_gt_i32_e32 vcc_lo, 32, v59
	v_and_b32_sdwa v42, v60, v44 dst_sel:DWORD dst_unused:UNUSED_PAD src0_sel:BYTE_3 src1_sel:DWORD
	v_lshlrev_b32_e32 v3, 2, v3
	v_cndmask_b32_e32 v2, 3, v2, vcc_lo
	v_and_b32_e32 v3, 0xfc, v3
	v_and_b32_e32 v60, 3, v2
	v_or_b32_e32 v2, v59, v2
	v_or3_b32 v3, v3, v42, v60
	v_cmp_ne_u32_e32 vcc_lo, 0, v2
	v_cndmask_b32_e32 v59, 0, v3, vcc_lo
.LBB6_5313:                             ;   in Loop: Header=BB6_5278 Depth=2
	s_or_b32 exec_lo, exec_lo, s29
.LBB6_5314:                             ;   in Loop: Header=BB6_5278 Depth=2
	s_or_b32 exec_lo, exec_lo, s28
	v_cmp_gt_i16_sdwa s28, v48, v43 src0_sel:BYTE_1 src1_sel:DWORD
	s_and_b32 vcc_lo, exec_lo, s27
	s_mov_b32 s12, -1
                                        ; implicit-def: $vgpr61
	s_cbranch_vccz .LBB6_5328
; %bb.5315:                             ;   in Loop: Header=BB6_5278 Depth=2
	s_mov_b32 s12, 0
	s_and_saveexec_b32 s29, s28
	s_xor_b32 s28, exec_lo, s29
	s_cbranch_execz .LBB6_7588
; %bb.5316:                             ;   in Loop: Header=BB6_5278 Depth=2
	v_cmp_eq_u16_sdwa s40, v48, v44 src0_sel:BYTE_1 src1_sel:DWORD
	s_mov_b32 s12, -1
	s_and_saveexec_b32 s29, s40
; %bb.5317:                             ;   in Loop: Header=BB6_5278 Depth=2
	s_xor_b32 s12, exec_lo, -1
; %bb.5318:                             ;   in Loop: Header=BB6_5278 Depth=2
	s_or_b32 exec_lo, exec_lo, s29
	s_and_b32 s12, s12, exec_lo
	s_or_saveexec_b32 s28, s28
	v_mov_b32_e32 v60, 0x7f800001
	s_xor_b32 exec_lo, exec_lo, s28
	s_cbranch_execnz .LBB6_7589
.LBB6_5319:                             ;   in Loop: Header=BB6_5278 Depth=2
	s_or_b32 exec_lo, exec_lo, s28
	s_and_saveexec_b32 s28, s12
	s_cbranch_execz .LBB6_5321
.LBB6_5320:                             ;   in Loop: Header=BB6_5278 Depth=2
	v_and_b32_sdwa v2, v45, v48 dst_sel:DWORD dst_unused:UNUSED_PAD src0_sel:DWORD src1_sel:BYTE_1
	v_and_b32_e32 v3, 3, v2
	v_bfe_u32 v61, v2, 2, 5
	v_ffbh_u32_e32 v42, v3
	v_cmp_eq_u32_e32 vcc_lo, 0, v61
	v_min_u32_e32 v42, 32, v42
	v_subrev_nc_u32_e32 v60, 29, v42
	v_sub_nc_u32_e32 v42, 30, v42
	v_lshlrev_b32_e32 v2, v60, v2
	v_lshlrev_b32_e32 v60, 16, v48
	v_cndmask_b32_e32 v42, v61, v42, vcc_lo
	v_and_b32_e32 v2, 3, v2
	v_lshl_add_u32 v42, v42, 23, 0x37800000
	v_cndmask_b32_e32 v2, v3, v2, vcc_lo
	v_and_b32_e32 v3, 0x80000000, v60
	v_lshlrev_b32_e32 v2, 21, v2
	v_or3_b32 v60, v3, v42, v2
.LBB6_5321:                             ;   in Loop: Header=BB6_5278 Depth=2
	s_or_b32 exec_lo, exec_lo, s28
	s_waitcnt vmcnt(3)
	v_cmp_gt_i16_sdwa s28, v36, v43 src0_sel:BYTE_1 src1_sel:DWORD
	s_mov_b32 s12, 0
	s_and_saveexec_b32 s29, s28
	s_xor_b32 s28, exec_lo, s29
	s_cbranch_execz .LBB6_7590
; %bb.5322:                             ;   in Loop: Header=BB6_5278 Depth=2
	v_cmp_eq_u16_sdwa s40, v36, v44 src0_sel:BYTE_1 src1_sel:DWORD
	s_mov_b32 s12, -1
	s_and_saveexec_b32 s29, s40
; %bb.5323:                             ;   in Loop: Header=BB6_5278 Depth=2
	s_xor_b32 s12, exec_lo, -1
; %bb.5324:                             ;   in Loop: Header=BB6_5278 Depth=2
	s_or_b32 exec_lo, exec_lo, s29
	s_and_b32 s12, s12, exec_lo
	s_or_saveexec_b32 s28, s28
	v_mov_b32_e32 v2, 0x7f800001
	s_xor_b32 exec_lo, exec_lo, s28
	s_cbranch_execnz .LBB6_7591
.LBB6_5325:                             ;   in Loop: Header=BB6_5278 Depth=2
	s_or_b32 exec_lo, exec_lo, s28
	s_and_saveexec_b32 s28, s12
	s_cbranch_execz .LBB6_5327
.LBB6_5326:                             ;   in Loop: Header=BB6_5278 Depth=2
	v_and_b32_sdwa v2, v45, v36 dst_sel:DWORD dst_unused:UNUSED_PAD src0_sel:DWORD src1_sel:BYTE_1
	v_and_b32_e32 v3, 3, v2
	v_bfe_u32 v62, v2, 2, 5
	v_ffbh_u32_e32 v42, v3
	v_cmp_eq_u32_e32 vcc_lo, 0, v62
	v_min_u32_e32 v42, 32, v42
	v_subrev_nc_u32_e32 v61, 29, v42
	v_sub_nc_u32_e32 v42, 30, v42
	v_lshlrev_b32_e32 v2, v61, v2
	v_lshlrev_b32_e32 v61, 16, v36
	v_cndmask_b32_e32 v42, v62, v42, vcc_lo
	v_and_b32_e32 v2, 3, v2
	v_lshl_add_u32 v42, v42, 23, 0x37800000
	v_cndmask_b32_e32 v2, v3, v2, vcc_lo
	v_and_b32_e32 v3, 0x80000000, v61
	v_lshlrev_b32_e32 v2, 21, v2
	v_or3_b32 v2, v3, v42, v2
.LBB6_5327:                             ;   in Loop: Header=BB6_5278 Depth=2
	s_or_b32 exec_lo, exec_lo, s28
	v_max_f32_e32 v2, v2, v2
	v_max_f32_e32 v3, v60, v60
	s_mov_b32 s12, 0
	v_max_f32_e32 v61, v3, v2
.LBB6_5328:                             ;   in Loop: Header=BB6_5278 Depth=2
	s_and_b32 vcc_lo, exec_lo, s12
	s_cbranch_vccz .LBB6_5342
; %bb.5329:                             ;   in Loop: Header=BB6_5278 Depth=2
	v_cmp_gt_i16_sdwa s28, v48, v43 src0_sel:BYTE_1 src1_sel:DWORD
	s_mov_b32 s12, 0
	s_and_saveexec_b32 s29, s28
	s_xor_b32 s28, exec_lo, s29
	s_cbranch_execz .LBB6_7592
; %bb.5330:                             ;   in Loop: Header=BB6_5278 Depth=2
	v_cmp_eq_u16_sdwa s40, v48, v44 src0_sel:BYTE_1 src1_sel:DWORD
	s_mov_b32 s12, -1
	s_and_saveexec_b32 s29, s40
; %bb.5331:                             ;   in Loop: Header=BB6_5278 Depth=2
	s_xor_b32 s12, exec_lo, -1
; %bb.5332:                             ;   in Loop: Header=BB6_5278 Depth=2
	s_or_b32 exec_lo, exec_lo, s29
	s_and_b32 s12, s12, exec_lo
	s_or_saveexec_b32 s28, s28
	v_mov_b32_e32 v60, 0x7f800001
	s_xor_b32 exec_lo, exec_lo, s28
	s_cbranch_execnz .LBB6_7593
.LBB6_5333:                             ;   in Loop: Header=BB6_5278 Depth=2
	s_or_b32 exec_lo, exec_lo, s28
	s_and_saveexec_b32 s28, s12
	s_cbranch_execz .LBB6_5335
.LBB6_5334:                             ;   in Loop: Header=BB6_5278 Depth=2
	v_and_b32_sdwa v2, v45, v48 dst_sel:DWORD dst_unused:UNUSED_PAD src0_sel:DWORD src1_sel:BYTE_1
	v_and_b32_e32 v3, 3, v2
	v_bfe_u32 v61, v2, 2, 5
	v_ffbh_u32_e32 v42, v3
	v_cmp_eq_u32_e32 vcc_lo, 0, v61
	v_min_u32_e32 v42, 32, v42
	v_subrev_nc_u32_e32 v60, 29, v42
	v_sub_nc_u32_e32 v42, 30, v42
	v_lshlrev_b32_e32 v2, v60, v2
	v_lshlrev_b32_e32 v60, 16, v48
	v_cndmask_b32_e32 v42, v61, v42, vcc_lo
	v_and_b32_e32 v2, 3, v2
	v_lshl_add_u32 v42, v42, 23, 0x37800000
	v_cndmask_b32_e32 v2, v3, v2, vcc_lo
	v_and_b32_e32 v3, 0x80000000, v60
	v_lshlrev_b32_e32 v2, 21, v2
	v_or3_b32 v60, v3, v42, v2
.LBB6_5335:                             ;   in Loop: Header=BB6_5278 Depth=2
	s_or_b32 exec_lo, exec_lo, s28
	s_waitcnt vmcnt(3)
	v_cmp_gt_i16_sdwa s28, v36, v43 src0_sel:BYTE_1 src1_sel:DWORD
	s_mov_b32 s12, 0
	s_and_saveexec_b32 s29, s28
	s_xor_b32 s28, exec_lo, s29
	s_cbranch_execz .LBB6_7594
; %bb.5336:                             ;   in Loop: Header=BB6_5278 Depth=2
	v_cmp_eq_u16_sdwa s40, v36, v44 src0_sel:BYTE_1 src1_sel:DWORD
	s_mov_b32 s12, -1
	s_and_saveexec_b32 s29, s40
; %bb.5337:                             ;   in Loop: Header=BB6_5278 Depth=2
	s_xor_b32 s12, exec_lo, -1
; %bb.5338:                             ;   in Loop: Header=BB6_5278 Depth=2
	s_or_b32 exec_lo, exec_lo, s29
	s_and_b32 s12, s12, exec_lo
	s_or_saveexec_b32 s28, s28
	v_mov_b32_e32 v2, 0x7f800001
	s_xor_b32 exec_lo, exec_lo, s28
	s_cbranch_execnz .LBB6_7595
.LBB6_5339:                             ;   in Loop: Header=BB6_5278 Depth=2
	s_or_b32 exec_lo, exec_lo, s28
	s_and_saveexec_b32 s28, s12
	s_cbranch_execz .LBB6_5341
.LBB6_5340:                             ;   in Loop: Header=BB6_5278 Depth=2
	v_and_b32_sdwa v2, v45, v36 dst_sel:DWORD dst_unused:UNUSED_PAD src0_sel:DWORD src1_sel:BYTE_1
	v_and_b32_e32 v3, 3, v2
	v_bfe_u32 v62, v2, 2, 5
	v_ffbh_u32_e32 v42, v3
	v_cmp_eq_u32_e32 vcc_lo, 0, v62
	v_min_u32_e32 v42, 32, v42
	v_subrev_nc_u32_e32 v61, 29, v42
	v_sub_nc_u32_e32 v42, 30, v42
	v_lshlrev_b32_e32 v2, v61, v2
	v_lshlrev_b32_e32 v61, 16, v36
	v_cndmask_b32_e32 v42, v62, v42, vcc_lo
	v_and_b32_e32 v2, 3, v2
	v_lshl_add_u32 v42, v42, 23, 0x37800000
	v_cndmask_b32_e32 v2, v3, v2, vcc_lo
	v_and_b32_e32 v3, 0x80000000, v61
	v_lshlrev_b32_e32 v2, 21, v2
	v_or3_b32 v2, v3, v42, v2
.LBB6_5341:                             ;   in Loop: Header=BB6_5278 Depth=2
	s_or_b32 exec_lo, exec_lo, s28
	v_max_f32_e32 v2, v2, v2
	v_max_f32_e32 v3, v60, v60
	v_min_f32_e32 v61, v3, v2
.LBB6_5342:                             ;   in Loop: Header=BB6_5278 Depth=2
	v_and_b32_e32 v2, 0x7f800000, v61
	v_mov_b32_e32 v60, 0x8000
	s_mov_b32 s28, exec_lo
	v_cmpx_ne_u32_e32 0x7f800000, v2
	s_cbranch_execz .LBB6_5350
; %bb.5343:                             ;   in Loop: Header=BB6_5278 Depth=2
	v_mov_b32_e32 v60, 0
	s_mov_b32 s29, exec_lo
	v_cmpx_ne_u32_e32 0, v61
	s_cbranch_execz .LBB6_5349
; %bb.5344:                             ;   in Loop: Header=BB6_5278 Depth=2
	v_bfe_u32 v2, v61, 23, 8
	v_and_b32_e32 v3, 0x7fffff, v61
	v_sub_nc_u32_e32 v42, 0x70, v2
	v_cmp_gt_u32_e32 vcc_lo, 0x71, v2
	v_or_b32_e32 v60, 0x800000, v3
	v_cndmask_b32_e32 v42, 0, v42, vcc_lo
	v_cmp_eq_u32_e32 vcc_lo, 0, v2
	v_add_nc_u32_e32 v2, 0xffffff91, v2
	v_cndmask_b32_e64 v42, v42, 0x6f, vcc_lo
	v_cndmask_b32_e32 v3, v60, v3, vcc_lo
	v_cndmask_b32_e64 v2, v2, 0xffffff92, vcc_lo
	v_lshl_add_u32 v62, 0x200000, v42, -1
	v_lshrrev_b32_e32 v60, v42, v3
	v_lshlrev_b32_e64 v72, v42, 0x100000
	v_add_nc_u32_e32 v2, v42, v2
	v_and_b32_e32 v3, v62, v3
	v_bfe_u32 v63, v60, 21, 1
	v_cmp_eq_u32_e64 s12, v3, v72
	v_add_nc_u32_e32 v62, -1, v63
	v_cndmask_b32_e64 v3, 0, v62, s12
	v_lshrrev_b32_e32 v62, 23, v60
	s_mov_b32 s12, exec_lo
	v_add_nc_u32_e32 v3, v3, v60
	v_and_b32_e32 v42, 0x1fffff, v3
	v_xor_b32_e32 v3, 1, v62
	v_add_nc_u32_e32 v62, v42, v60
                                        ; implicit-def: $vgpr60
	v_cmpx_ne_u32_e64 v2, v3
	s_xor_b32 s12, exec_lo, s12
; %bb.5345:                             ;   in Loop: Header=BB6_5278 Depth=2
	v_cmp_lt_u32_e32 vcc_lo, 0xffffff, v62
	v_sub_nc_u32_e32 v2, v2, v3
	v_cndmask_b32_e64 v3, 0, 1, vcc_lo
	v_add_co_ci_u32_e64 v60, null, 0, v2, vcc_lo
	v_lshrrev_b32_e32 v62, v3, v62
; %bb.5346:                             ;   in Loop: Header=BB6_5278 Depth=2
	s_andn2_saveexec_b32 s12, s12
; %bb.5347:                             ;   in Loop: Header=BB6_5278 Depth=2
	v_bfe_u32 v60, v62, 23, 1
; %bb.5348:                             ;   in Loop: Header=BB6_5278 Depth=2
	s_or_b32 exec_lo, exec_lo, s12
	v_lshrrev_b32_e32 v2, 21, v62
	v_min_i32_e32 v3, 31, v60
	v_cmp_gt_i32_e32 vcc_lo, 32, v60
	v_and_b32_sdwa v42, v61, v44 dst_sel:DWORD dst_unused:UNUSED_PAD src0_sel:BYTE_3 src1_sel:DWORD
	v_lshlrev_b32_e32 v3, 2, v3
	v_cndmask_b32_e32 v2, 3, v2, vcc_lo
	v_and_b32_e32 v3, 0xfc, v3
	v_and_b32_e32 v61, 3, v2
	v_or_b32_e32 v2, v60, v2
	v_or3_b32 v3, v42, v3, v61
	v_cmp_ne_u32_e32 vcc_lo, 0, v2
	v_lshlrev_b32_e32 v3, 8, v3
	v_cndmask_b32_e32 v60, 0, v3, vcc_lo
.LBB6_5349:                             ;   in Loop: Header=BB6_5278 Depth=2
	s_or_b32 exec_lo, exec_lo, s29
.LBB6_5350:                             ;   in Loop: Header=BB6_5278 Depth=2
	s_or_b32 exec_lo, exec_lo, s28
	v_and_b32_sdwa v61, v48, v46 dst_sel:DWORD dst_unused:UNUSED_PAD src0_sel:WORD_1 src1_sel:DWORD
	s_and_b32 vcc_lo, exec_lo, s27
	s_mov_b32 s28, -1
                                        ; implicit-def: $vgpr62
	v_cmp_lt_i16_e64 s12, 0x7f, v61
	s_cbranch_vccz .LBB6_5364
; %bb.5351:                             ;   in Loop: Header=BB6_5278 Depth=2
	s_mov_b32 s28, 0
	s_and_saveexec_b32 s29, s12
	s_xor_b32 s12, exec_lo, s29
	s_cbranch_execz .LBB6_7596
; %bb.5352:                             ;   in Loop: Header=BB6_5278 Depth=2
	s_mov_b32 s28, -1
	s_mov_b32 s29, exec_lo
	v_cmpx_eq_u16_e32 0x80, v61
; %bb.5353:                             ;   in Loop: Header=BB6_5278 Depth=2
	s_xor_b32 s28, exec_lo, -1
; %bb.5354:                             ;   in Loop: Header=BB6_5278 Depth=2
	s_or_b32 exec_lo, exec_lo, s29
	s_and_b32 s28, s28, exec_lo
	s_or_saveexec_b32 s12, s12
	v_mov_b32_e32 v62, 0x7f800001
	s_xor_b32 exec_lo, exec_lo, s12
	s_cbranch_execnz .LBB6_7597
.LBB6_5355:                             ;   in Loop: Header=BB6_5278 Depth=2
	s_or_b32 exec_lo, exec_lo, s12
	s_and_saveexec_b32 s12, s28
	s_cbranch_execz .LBB6_5357
.LBB6_5356:                             ;   in Loop: Header=BB6_5278 Depth=2
	v_bfe_u32 v2, v48, 16, 2
	v_bfe_u32 v62, v48, 18, 5
	v_lshlrev_b32_sdwa v63, v47, v48 dst_sel:DWORD dst_unused:UNUSED_PAD src0_sel:DWORD src1_sel:WORD_1
	v_ffbh_u32_e32 v3, v2
	v_cmp_eq_u32_e32 vcc_lo, 0, v62
	v_min_u32_e32 v3, 32, v3
	v_subrev_nc_u32_e32 v42, 29, v3
	v_sub_nc_u32_e32 v3, 30, v3
	v_lshlrev_b32_sdwa v42, v42, v48 dst_sel:DWORD dst_unused:UNUSED_PAD src0_sel:DWORD src1_sel:WORD_1
	v_cndmask_b32_e32 v3, v62, v3, vcc_lo
	v_and_b32_e32 v42, 3, v42
	v_lshl_add_u32 v3, v3, 23, 0x37800000
	v_cndmask_b32_e32 v2, v2, v42, vcc_lo
	v_and_b32_e32 v42, 0x80000000, v63
	v_lshlrev_b32_e32 v2, 21, v2
	v_or3_b32 v62, v42, v3, v2
.LBB6_5357:                             ;   in Loop: Header=BB6_5278 Depth=2
	s_or_b32 exec_lo, exec_lo, s12
	s_waitcnt vmcnt(3)
	v_and_b32_sdwa v3, v36, v46 dst_sel:DWORD dst_unused:UNUSED_PAD src0_sel:WORD_1 src1_sel:DWORD
	s_mov_b32 s12, 0
	s_mov_b32 s28, exec_lo
	v_cmpx_lt_i16_e32 0x7f, v3
	s_xor_b32 s28, exec_lo, s28
	s_cbranch_execz .LBB6_7598
; %bb.5358:                             ;   in Loop: Header=BB6_5278 Depth=2
	s_mov_b32 s12, -1
	s_mov_b32 s29, exec_lo
	v_cmpx_eq_u16_e32 0x80, v3
; %bb.5359:                             ;   in Loop: Header=BB6_5278 Depth=2
	s_xor_b32 s12, exec_lo, -1
; %bb.5360:                             ;   in Loop: Header=BB6_5278 Depth=2
	s_or_b32 exec_lo, exec_lo, s29
	s_and_b32 s12, s12, exec_lo
                                        ; implicit-def: $vgpr3
	s_or_saveexec_b32 s28, s28
	v_mov_b32_e32 v2, 0x7f800001
	s_xor_b32 exec_lo, exec_lo, s28
	s_cbranch_execnz .LBB6_7599
.LBB6_5361:                             ;   in Loop: Header=BB6_5278 Depth=2
	s_or_b32 exec_lo, exec_lo, s28
	s_and_saveexec_b32 s28, s12
	s_cbranch_execz .LBB6_5363
.LBB6_5362:                             ;   in Loop: Header=BB6_5278 Depth=2
	v_bfe_u32 v2, v36, 16, 2
	v_bfe_u32 v63, v36, 18, 5
	v_lshlrev_b32_sdwa v72, v47, v36 dst_sel:DWORD dst_unused:UNUSED_PAD src0_sel:DWORD src1_sel:WORD_1
	v_ffbh_u32_e32 v3, v2
	v_cmp_eq_u32_e32 vcc_lo, 0, v63
	v_min_u32_e32 v3, 32, v3
	v_subrev_nc_u32_e32 v42, 29, v3
	v_sub_nc_u32_e32 v3, 30, v3
	v_lshlrev_b32_sdwa v42, v42, v36 dst_sel:DWORD dst_unused:UNUSED_PAD src0_sel:DWORD src1_sel:WORD_1
	v_cndmask_b32_e32 v3, v63, v3, vcc_lo
	v_and_b32_e32 v42, 3, v42
	v_lshl_add_u32 v3, v3, 23, 0x37800000
	v_cndmask_b32_e32 v2, v2, v42, vcc_lo
	v_and_b32_e32 v42, 0x80000000, v72
	v_lshlrev_b32_e32 v2, 21, v2
	v_or3_b32 v2, v42, v3, v2
.LBB6_5363:                             ;   in Loop: Header=BB6_5278 Depth=2
	s_or_b32 exec_lo, exec_lo, s28
	v_max_f32_e32 v2, v2, v2
	v_max_f32_e32 v3, v62, v62
	s_mov_b32 s28, 0
	v_max_f32_e32 v62, v3, v2
.LBB6_5364:                             ;   in Loop: Header=BB6_5278 Depth=2
	s_and_b32 vcc_lo, exec_lo, s28
	s_cbranch_vccz .LBB6_5378
; %bb.5365:                             ;   in Loop: Header=BB6_5278 Depth=2
	s_mov_b32 s12, 0
	s_mov_b32 s28, exec_lo
	v_cmpx_lt_i16_e32 0x7f, v61
	s_xor_b32 s28, exec_lo, s28
	s_cbranch_execz .LBB6_7600
; %bb.5366:                             ;   in Loop: Header=BB6_5278 Depth=2
	s_mov_b32 s12, -1
	s_mov_b32 s29, exec_lo
	v_cmpx_eq_u16_e32 0x80, v61
; %bb.5367:                             ;   in Loop: Header=BB6_5278 Depth=2
	s_xor_b32 s12, exec_lo, -1
; %bb.5368:                             ;   in Loop: Header=BB6_5278 Depth=2
	s_or_b32 exec_lo, exec_lo, s29
	s_and_b32 s12, s12, exec_lo
                                        ; implicit-def: $vgpr61
	s_or_saveexec_b32 s28, s28
	v_mov_b32_e32 v62, 0x7f800001
	s_xor_b32 exec_lo, exec_lo, s28
	s_cbranch_execnz .LBB6_7601
.LBB6_5369:                             ;   in Loop: Header=BB6_5278 Depth=2
	s_or_b32 exec_lo, exec_lo, s28
	s_and_saveexec_b32 s28, s12
	s_cbranch_execz .LBB6_5371
.LBB6_5370:                             ;   in Loop: Header=BB6_5278 Depth=2
	v_bfe_u32 v2, v48, 16, 2
	v_bfe_u32 v61, v48, 18, 5
	v_lshlrev_b32_sdwa v62, v47, v48 dst_sel:DWORD dst_unused:UNUSED_PAD src0_sel:DWORD src1_sel:WORD_1
	v_ffbh_u32_e32 v3, v2
	v_cmp_eq_u32_e32 vcc_lo, 0, v61
	v_min_u32_e32 v3, 32, v3
	v_subrev_nc_u32_e32 v42, 29, v3
	v_sub_nc_u32_e32 v3, 30, v3
	v_lshlrev_b32_sdwa v42, v42, v48 dst_sel:DWORD dst_unused:UNUSED_PAD src0_sel:DWORD src1_sel:WORD_1
	v_cndmask_b32_e32 v3, v61, v3, vcc_lo
	v_and_b32_e32 v42, 3, v42
	v_lshl_add_u32 v3, v3, 23, 0x37800000
	v_cndmask_b32_e32 v2, v2, v42, vcc_lo
	v_and_b32_e32 v42, 0x80000000, v62
	v_lshlrev_b32_e32 v2, 21, v2
	v_or3_b32 v62, v42, v3, v2
.LBB6_5371:                             ;   in Loop: Header=BB6_5278 Depth=2
	s_or_b32 exec_lo, exec_lo, s28
	s_waitcnt vmcnt(3)
	v_and_b32_sdwa v3, v36, v46 dst_sel:DWORD dst_unused:UNUSED_PAD src0_sel:WORD_1 src1_sel:DWORD
	s_mov_b32 s12, 0
	s_mov_b32 s28, exec_lo
	v_cmpx_lt_i16_e32 0x7f, v3
	s_xor_b32 s28, exec_lo, s28
	s_cbranch_execz .LBB6_7602
; %bb.5372:                             ;   in Loop: Header=BB6_5278 Depth=2
	s_mov_b32 s12, -1
	s_mov_b32 s29, exec_lo
	v_cmpx_eq_u16_e32 0x80, v3
; %bb.5373:                             ;   in Loop: Header=BB6_5278 Depth=2
	s_xor_b32 s12, exec_lo, -1
; %bb.5374:                             ;   in Loop: Header=BB6_5278 Depth=2
	s_or_b32 exec_lo, exec_lo, s29
	s_and_b32 s12, s12, exec_lo
                                        ; implicit-def: $vgpr3
	s_or_saveexec_b32 s28, s28
	v_mov_b32_e32 v2, 0x7f800001
	s_xor_b32 exec_lo, exec_lo, s28
	s_cbranch_execnz .LBB6_7603
.LBB6_5375:                             ;   in Loop: Header=BB6_5278 Depth=2
	s_or_b32 exec_lo, exec_lo, s28
	s_and_saveexec_b32 s28, s12
	s_cbranch_execz .LBB6_5377
.LBB6_5376:                             ;   in Loop: Header=BB6_5278 Depth=2
	v_bfe_u32 v2, v36, 16, 2
	v_bfe_u32 v61, v36, 18, 5
	v_lshlrev_b32_sdwa v63, v47, v36 dst_sel:DWORD dst_unused:UNUSED_PAD src0_sel:DWORD src1_sel:WORD_1
	v_ffbh_u32_e32 v3, v2
	v_cmp_eq_u32_e32 vcc_lo, 0, v61
	v_min_u32_e32 v3, 32, v3
	v_subrev_nc_u32_e32 v42, 29, v3
	v_sub_nc_u32_e32 v3, 30, v3
	v_lshlrev_b32_sdwa v42, v42, v36 dst_sel:DWORD dst_unused:UNUSED_PAD src0_sel:DWORD src1_sel:WORD_1
	v_cndmask_b32_e32 v3, v61, v3, vcc_lo
	v_and_b32_e32 v42, 3, v42
	v_lshl_add_u32 v3, v3, 23, 0x37800000
	v_cndmask_b32_e32 v2, v2, v42, vcc_lo
	v_and_b32_e32 v42, 0x80000000, v63
	v_lshlrev_b32_e32 v2, 21, v2
	v_or3_b32 v2, v42, v3, v2
.LBB6_5377:                             ;   in Loop: Header=BB6_5278 Depth=2
	s_or_b32 exec_lo, exec_lo, s28
	v_max_f32_e32 v2, v2, v2
	v_max_f32_e32 v3, v62, v62
	v_min_f32_e32 v62, v3, v2
.LBB6_5378:                             ;   in Loop: Header=BB6_5278 Depth=2
	v_and_b32_e32 v2, 0x7f800000, v62
	v_mov_b32_e32 v61, 0x80
	s_mov_b32 s28, exec_lo
	v_cmpx_ne_u32_e32 0x7f800000, v2
	s_cbranch_execz .LBB6_5386
; %bb.5379:                             ;   in Loop: Header=BB6_5278 Depth=2
	v_mov_b32_e32 v61, 0
	s_mov_b32 s29, exec_lo
	v_cmpx_ne_u32_e32 0, v62
	s_cbranch_execz .LBB6_5385
; %bb.5380:                             ;   in Loop: Header=BB6_5278 Depth=2
	v_bfe_u32 v2, v62, 23, 8
	v_and_b32_e32 v3, 0x7fffff, v62
	v_sub_nc_u32_e32 v42, 0x70, v2
	v_cmp_gt_u32_e32 vcc_lo, 0x71, v2
	v_or_b32_e32 v61, 0x800000, v3
	v_cndmask_b32_e32 v42, 0, v42, vcc_lo
	v_cmp_eq_u32_e32 vcc_lo, 0, v2
	v_add_nc_u32_e32 v2, 0xffffff91, v2
	v_cndmask_b32_e64 v42, v42, 0x6f, vcc_lo
	v_cndmask_b32_e32 v3, v61, v3, vcc_lo
	v_cndmask_b32_e64 v2, v2, 0xffffff92, vcc_lo
	v_lshl_add_u32 v63, 0x200000, v42, -1
	v_lshrrev_b32_e32 v61, v42, v3
	v_lshlrev_b32_e64 v73, v42, 0x100000
	v_add_nc_u32_e32 v2, v42, v2
	v_and_b32_e32 v3, v63, v3
	v_bfe_u32 v72, v61, 21, 1
	v_cmp_eq_u32_e64 s12, v3, v73
	v_add_nc_u32_e32 v63, -1, v72
	v_cndmask_b32_e64 v3, 0, v63, s12
	v_lshrrev_b32_e32 v63, 23, v61
	s_mov_b32 s12, exec_lo
	v_add_nc_u32_e32 v3, v3, v61
	v_and_b32_e32 v42, 0x1fffff, v3
	v_xor_b32_e32 v3, 1, v63
	v_add_nc_u32_e32 v63, v42, v61
                                        ; implicit-def: $vgpr61
	v_cmpx_ne_u32_e64 v2, v3
	s_xor_b32 s12, exec_lo, s12
; %bb.5381:                             ;   in Loop: Header=BB6_5278 Depth=2
	v_cmp_lt_u32_e32 vcc_lo, 0xffffff, v63
	v_sub_nc_u32_e32 v2, v2, v3
	v_cndmask_b32_e64 v3, 0, 1, vcc_lo
	v_add_co_ci_u32_e64 v61, null, 0, v2, vcc_lo
	v_lshrrev_b32_e32 v63, v3, v63
; %bb.5382:                             ;   in Loop: Header=BB6_5278 Depth=2
	s_andn2_saveexec_b32 s12, s12
; %bb.5383:                             ;   in Loop: Header=BB6_5278 Depth=2
	v_bfe_u32 v61, v63, 23, 1
; %bb.5384:                             ;   in Loop: Header=BB6_5278 Depth=2
	s_or_b32 exec_lo, exec_lo, s12
	v_lshrrev_b32_e32 v2, 21, v63
	v_min_i32_e32 v3, 31, v61
	v_cmp_gt_i32_e32 vcc_lo, 32, v61
	v_and_b32_sdwa v42, v62, v44 dst_sel:DWORD dst_unused:UNUSED_PAD src0_sel:BYTE_3 src1_sel:DWORD
	v_lshlrev_b32_e32 v3, 2, v3
	v_cndmask_b32_e32 v2, 3, v2, vcc_lo
	v_and_b32_e32 v3, 0xfc, v3
	v_and_b32_e32 v62, 3, v2
	v_or_b32_e32 v2, v61, v2
	v_or3_b32 v3, v3, v42, v62
	v_cmp_ne_u32_e32 vcc_lo, 0, v2
	v_cndmask_b32_e32 v61, 0, v3, vcc_lo
.LBB6_5385:                             ;   in Loop: Header=BB6_5278 Depth=2
	s_or_b32 exec_lo, exec_lo, s29
.LBB6_5386:                             ;   in Loop: Header=BB6_5278 Depth=2
	s_or_b32 exec_lo, exec_lo, s28
	v_cmp_gt_i16_sdwa s28, v48, v43 src0_sel:BYTE_3 src1_sel:DWORD
	s_and_b32 vcc_lo, exec_lo, s27
	s_mov_b32 s12, -1
                                        ; implicit-def: $vgpr62
	s_cbranch_vccz .LBB6_5400
; %bb.5387:                             ;   in Loop: Header=BB6_5278 Depth=2
	s_mov_b32 s12, 0
	s_and_saveexec_b32 s29, s28
	s_xor_b32 s28, exec_lo, s29
	s_cbranch_execz .LBB6_7604
; %bb.5388:                             ;   in Loop: Header=BB6_5278 Depth=2
	v_cmp_eq_u16_sdwa s40, v48, v44 src0_sel:BYTE_3 src1_sel:DWORD
	s_mov_b32 s12, -1
	s_and_saveexec_b32 s29, s40
; %bb.5389:                             ;   in Loop: Header=BB6_5278 Depth=2
	s_xor_b32 s12, exec_lo, -1
; %bb.5390:                             ;   in Loop: Header=BB6_5278 Depth=2
	s_or_b32 exec_lo, exec_lo, s29
	s_and_b32 s12, s12, exec_lo
	s_or_saveexec_b32 s28, s28
	v_mov_b32_e32 v62, 0x7f800001
	s_xor_b32 exec_lo, exec_lo, s28
	s_cbranch_execnz .LBB6_7605
.LBB6_5391:                             ;   in Loop: Header=BB6_5278 Depth=2
	s_or_b32 exec_lo, exec_lo, s28
	s_and_saveexec_b32 s28, s12
	s_cbranch_execz .LBB6_5393
.LBB6_5392:                             ;   in Loop: Header=BB6_5278 Depth=2
	v_bfe_u32 v2, v48, 24, 2
	v_bfe_u32 v62, v48, 26, 5
	v_ffbh_u32_e32 v3, v2
	v_cmp_eq_u32_e32 vcc_lo, 0, v62
	v_min_u32_e32 v3, 32, v3
	v_subrev_nc_u32_e32 v42, 29, v3
	v_sub_nc_u32_e32 v3, 30, v3
	v_lshlrev_b32_sdwa v42, v42, v48 dst_sel:DWORD dst_unused:UNUSED_PAD src0_sel:DWORD src1_sel:BYTE_3
	v_cndmask_b32_e32 v3, v62, v3, vcc_lo
	v_and_b32_e32 v42, 3, v42
	v_lshl_add_u32 v3, v3, 23, 0x37800000
	v_cndmask_b32_e32 v2, v2, v42, vcc_lo
	v_and_b32_e32 v42, 0x80000000, v48
	v_lshlrev_b32_e32 v2, 21, v2
	v_or3_b32 v62, v42, v3, v2
.LBB6_5393:                             ;   in Loop: Header=BB6_5278 Depth=2
	s_or_b32 exec_lo, exec_lo, s28
	s_waitcnt vmcnt(3)
	v_cmp_gt_i16_sdwa s28, v36, v43 src0_sel:BYTE_3 src1_sel:DWORD
	s_mov_b32 s12, 0
	s_and_saveexec_b32 s29, s28
	s_xor_b32 s28, exec_lo, s29
	s_cbranch_execz .LBB6_7606
; %bb.5394:                             ;   in Loop: Header=BB6_5278 Depth=2
	v_cmp_eq_u16_sdwa s40, v36, v44 src0_sel:BYTE_3 src1_sel:DWORD
	s_mov_b32 s12, -1
	s_and_saveexec_b32 s29, s40
; %bb.5395:                             ;   in Loop: Header=BB6_5278 Depth=2
	s_xor_b32 s12, exec_lo, -1
; %bb.5396:                             ;   in Loop: Header=BB6_5278 Depth=2
	s_or_b32 exec_lo, exec_lo, s29
	s_and_b32 s12, s12, exec_lo
	s_or_saveexec_b32 s28, s28
	v_mov_b32_e32 v2, 0x7f800001
	s_xor_b32 exec_lo, exec_lo, s28
	s_cbranch_execnz .LBB6_7607
.LBB6_5397:                             ;   in Loop: Header=BB6_5278 Depth=2
	s_or_b32 exec_lo, exec_lo, s28
	s_and_saveexec_b32 s28, s12
	s_cbranch_execz .LBB6_5399
.LBB6_5398:                             ;   in Loop: Header=BB6_5278 Depth=2
	v_bfe_u32 v2, v36, 24, 2
	v_bfe_u32 v63, v36, 26, 5
	v_ffbh_u32_e32 v3, v2
	v_cmp_eq_u32_e32 vcc_lo, 0, v63
	v_min_u32_e32 v3, 32, v3
	v_subrev_nc_u32_e32 v42, 29, v3
	v_sub_nc_u32_e32 v3, 30, v3
	v_lshlrev_b32_sdwa v42, v42, v36 dst_sel:DWORD dst_unused:UNUSED_PAD src0_sel:DWORD src1_sel:BYTE_3
	v_cndmask_b32_e32 v3, v63, v3, vcc_lo
	v_and_b32_e32 v42, 3, v42
	v_lshl_add_u32 v3, v3, 23, 0x37800000
	v_cndmask_b32_e32 v2, v2, v42, vcc_lo
	v_and_b32_e32 v42, 0x80000000, v36
	v_lshlrev_b32_e32 v2, 21, v2
	v_or3_b32 v2, v42, v3, v2
.LBB6_5399:                             ;   in Loop: Header=BB6_5278 Depth=2
	s_or_b32 exec_lo, exec_lo, s28
	v_max_f32_e32 v2, v2, v2
	v_max_f32_e32 v3, v62, v62
	s_mov_b32 s12, 0
	v_max_f32_e32 v62, v3, v2
.LBB6_5400:                             ;   in Loop: Header=BB6_5278 Depth=2
	s_and_b32 vcc_lo, exec_lo, s12
	s_cbranch_vccz .LBB6_5414
; %bb.5401:                             ;   in Loop: Header=BB6_5278 Depth=2
	v_cmp_gt_i16_sdwa s28, v48, v43 src0_sel:BYTE_3 src1_sel:DWORD
	s_mov_b32 s12, 0
	s_and_saveexec_b32 s29, s28
	s_xor_b32 s28, exec_lo, s29
	s_cbranch_execz .LBB6_7608
; %bb.5402:                             ;   in Loop: Header=BB6_5278 Depth=2
	v_cmp_eq_u16_sdwa s40, v48, v44 src0_sel:BYTE_3 src1_sel:DWORD
	s_mov_b32 s12, -1
	s_and_saveexec_b32 s29, s40
; %bb.5403:                             ;   in Loop: Header=BB6_5278 Depth=2
	s_xor_b32 s12, exec_lo, -1
; %bb.5404:                             ;   in Loop: Header=BB6_5278 Depth=2
	s_or_b32 exec_lo, exec_lo, s29
	s_and_b32 s12, s12, exec_lo
	s_or_saveexec_b32 s28, s28
	v_mov_b32_e32 v62, 0x7f800001
	s_xor_b32 exec_lo, exec_lo, s28
	s_cbranch_execnz .LBB6_7609
.LBB6_5405:                             ;   in Loop: Header=BB6_5278 Depth=2
	s_or_b32 exec_lo, exec_lo, s28
	s_and_saveexec_b32 s28, s12
	s_cbranch_execz .LBB6_5407
.LBB6_5406:                             ;   in Loop: Header=BB6_5278 Depth=2
	v_bfe_u32 v2, v48, 24, 2
	v_bfe_u32 v62, v48, 26, 5
	v_ffbh_u32_e32 v3, v2
	v_cmp_eq_u32_e32 vcc_lo, 0, v62
	v_min_u32_e32 v3, 32, v3
	v_subrev_nc_u32_e32 v42, 29, v3
	v_sub_nc_u32_e32 v3, 30, v3
	v_lshlrev_b32_sdwa v42, v42, v48 dst_sel:DWORD dst_unused:UNUSED_PAD src0_sel:DWORD src1_sel:BYTE_3
	v_cndmask_b32_e32 v3, v62, v3, vcc_lo
	v_and_b32_e32 v48, 0x80000000, v48
	v_and_b32_e32 v42, 3, v42
	v_lshl_add_u32 v3, v3, 23, 0x37800000
	v_cndmask_b32_e32 v2, v2, v42, vcc_lo
	v_lshlrev_b32_e32 v2, 21, v2
	v_or3_b32 v62, v48, v3, v2
.LBB6_5407:                             ;   in Loop: Header=BB6_5278 Depth=2
	s_or_b32 exec_lo, exec_lo, s28
	s_waitcnt vmcnt(3)
	v_cmp_gt_i16_sdwa s28, v36, v43 src0_sel:BYTE_3 src1_sel:DWORD
	s_mov_b32 s12, 0
	s_and_saveexec_b32 s29, s28
	s_xor_b32 s28, exec_lo, s29
	s_cbranch_execz .LBB6_7610
; %bb.5408:                             ;   in Loop: Header=BB6_5278 Depth=2
	v_cmp_eq_u16_sdwa s40, v36, v44 src0_sel:BYTE_3 src1_sel:DWORD
	s_mov_b32 s12, -1
	s_and_saveexec_b32 s29, s40
; %bb.5409:                             ;   in Loop: Header=BB6_5278 Depth=2
	s_xor_b32 s12, exec_lo, -1
; %bb.5410:                             ;   in Loop: Header=BB6_5278 Depth=2
	s_or_b32 exec_lo, exec_lo, s29
	s_and_b32 s12, s12, exec_lo
	s_or_saveexec_b32 s28, s28
	v_mov_b32_e32 v2, 0x7f800001
	s_xor_b32 exec_lo, exec_lo, s28
	s_cbranch_execnz .LBB6_7611
.LBB6_5411:                             ;   in Loop: Header=BB6_5278 Depth=2
	s_or_b32 exec_lo, exec_lo, s28
	s_and_saveexec_b32 s28, s12
	s_cbranch_execz .LBB6_5413
.LBB6_5412:                             ;   in Loop: Header=BB6_5278 Depth=2
	v_bfe_u32 v2, v36, 24, 2
	v_bfe_u32 v42, v36, 26, 5
	v_ffbh_u32_e32 v3, v2
	v_cmp_eq_u32_e32 vcc_lo, 0, v42
	v_min_u32_e32 v3, 32, v3
	v_subrev_nc_u32_e32 v48, 29, v3
	v_sub_nc_u32_e32 v3, 30, v3
	v_lshlrev_b32_sdwa v48, v48, v36 dst_sel:DWORD dst_unused:UNUSED_PAD src0_sel:DWORD src1_sel:BYTE_3
	v_cndmask_b32_e32 v3, v42, v3, vcc_lo
	v_and_b32_e32 v36, 0x80000000, v36
	v_and_b32_e32 v48, 3, v48
	v_lshl_add_u32 v3, v3, 23, 0x37800000
	v_cndmask_b32_e32 v2, v2, v48, vcc_lo
	v_lshlrev_b32_e32 v2, 21, v2
	v_or3_b32 v2, v36, v3, v2
.LBB6_5413:                             ;   in Loop: Header=BB6_5278 Depth=2
	s_or_b32 exec_lo, exec_lo, s28
	v_max_f32_e32 v2, v2, v2
	v_max_f32_e32 v3, v62, v62
	v_min_f32_e32 v62, v3, v2
.LBB6_5414:                             ;   in Loop: Header=BB6_5278 Depth=2
	v_and_b32_e32 v2, 0x7f800000, v62
	s_waitcnt vmcnt(3)
	v_mov_b32_e32 v36, 0x8000
	s_mov_b32 s28, exec_lo
	v_cmpx_ne_u32_e32 0x7f800000, v2
	s_cbranch_execz .LBB6_5422
; %bb.5415:                             ;   in Loop: Header=BB6_5278 Depth=2
	v_mov_b32_e32 v36, 0
	s_mov_b32 s29, exec_lo
	v_cmpx_ne_u32_e32 0, v62
	s_cbranch_execz .LBB6_5421
; %bb.5416:                             ;   in Loop: Header=BB6_5278 Depth=2
	v_bfe_u32 v2, v62, 23, 8
	v_and_b32_e32 v3, 0x7fffff, v62
	v_sub_nc_u32_e32 v36, 0x70, v2
	v_cmp_gt_u32_e32 vcc_lo, 0x71, v2
	v_or_b32_e32 v48, 0x800000, v3
	v_cndmask_b32_e32 v36, 0, v36, vcc_lo
	v_cmp_eq_u32_e32 vcc_lo, 0, v2
	v_add_nc_u32_e32 v2, 0xffffff91, v2
	v_cndmask_b32_e64 v36, v36, 0x6f, vcc_lo
	v_cndmask_b32_e32 v3, v48, v3, vcc_lo
	v_cndmask_b32_e64 v2, v2, 0xffffff92, vcc_lo
	v_lshl_add_u32 v42, 0x200000, v36, -1
	v_lshrrev_b32_e32 v48, v36, v3
	v_lshlrev_b32_e64 v72, v36, 0x100000
	v_add_nc_u32_e32 v2, v36, v2
	v_and_b32_e32 v3, v42, v3
	v_bfe_u32 v63, v48, 21, 1
	v_cmp_eq_u32_e64 s12, v3, v72
	v_add_nc_u32_e32 v42, -1, v63
	v_cndmask_b32_e64 v3, 0, v42, s12
	v_lshrrev_b32_e32 v42, 23, v48
	s_mov_b32 s12, exec_lo
	v_add_nc_u32_e32 v3, v3, v48
	v_and_b32_e32 v36, 0x1fffff, v3
	v_xor_b32_e32 v3, 1, v42
	v_add_nc_u32_e32 v48, v36, v48
                                        ; implicit-def: $vgpr36
	v_cmpx_ne_u32_e64 v2, v3
	s_xor_b32 s12, exec_lo, s12
; %bb.5417:                             ;   in Loop: Header=BB6_5278 Depth=2
	v_cmp_lt_u32_e32 vcc_lo, 0xffffff, v48
	v_sub_nc_u32_e32 v2, v2, v3
	v_cndmask_b32_e64 v3, 0, 1, vcc_lo
	v_add_co_ci_u32_e64 v36, null, 0, v2, vcc_lo
	v_lshrrev_b32_e32 v48, v3, v48
; %bb.5418:                             ;   in Loop: Header=BB6_5278 Depth=2
	s_andn2_saveexec_b32 s12, s12
; %bb.5419:                             ;   in Loop: Header=BB6_5278 Depth=2
	v_bfe_u32 v36, v48, 23, 1
; %bb.5420:                             ;   in Loop: Header=BB6_5278 Depth=2
	s_or_b32 exec_lo, exec_lo, s12
	v_lshrrev_b32_e32 v2, 21, v48
	v_min_i32_e32 v3, 31, v36
	v_cmp_gt_i32_e32 vcc_lo, 32, v36
	v_and_b32_sdwa v48, v62, v44 dst_sel:DWORD dst_unused:UNUSED_PAD src0_sel:BYTE_3 src1_sel:DWORD
	v_lshlrev_b32_e32 v3, 2, v3
	v_cndmask_b32_e32 v2, 3, v2, vcc_lo
	v_and_b32_e32 v3, 0xfc, v3
	v_and_b32_e32 v42, 3, v2
	v_or_b32_e32 v2, v36, v2
	v_or3_b32 v3, v48, v3, v42
	v_cmp_ne_u32_e32 vcc_lo, 0, v2
	v_lshlrev_b32_e32 v3, 8, v3
	v_cndmask_b32_e32 v36, 0, v3, vcc_lo
.LBB6_5421:                             ;   in Loop: Header=BB6_5278 Depth=2
	s_or_b32 exec_lo, exec_lo, s29
.LBB6_5422:                             ;   in Loop: Header=BB6_5278 Depth=2
	s_or_b32 exec_lo, exec_lo, s28
	v_cmp_gt_i16_sdwa s28, v49, v43 src0_sel:BYTE_0 src1_sel:DWORD
	s_and_b32 vcc_lo, exec_lo, s27
	s_mov_b32 s12, -1
                                        ; implicit-def: $vgpr62
	s_cbranch_vccz .LBB6_5436
; %bb.5423:                             ;   in Loop: Header=BB6_5278 Depth=2
	s_mov_b32 s12, 0
	s_and_saveexec_b32 s29, s28
	s_xor_b32 s28, exec_lo, s29
	s_cbranch_execz .LBB6_7612
; %bb.5424:                             ;   in Loop: Header=BB6_5278 Depth=2
	v_cmp_eq_u16_sdwa s40, v49, v44 src0_sel:BYTE_0 src1_sel:DWORD
	s_mov_b32 s12, -1
	s_and_saveexec_b32 s29, s40
; %bb.5425:                             ;   in Loop: Header=BB6_5278 Depth=2
	s_xor_b32 s12, exec_lo, -1
; %bb.5426:                             ;   in Loop: Header=BB6_5278 Depth=2
	s_or_b32 exec_lo, exec_lo, s29
	s_and_b32 s12, s12, exec_lo
	s_or_saveexec_b32 s28, s28
	v_mov_b32_e32 v48, 0x7f800001
	s_xor_b32 exec_lo, exec_lo, s28
	s_cbranch_execnz .LBB6_7613
.LBB6_5427:                             ;   in Loop: Header=BB6_5278 Depth=2
	s_or_b32 exec_lo, exec_lo, s28
	s_and_saveexec_b32 s28, s12
	s_cbranch_execz .LBB6_5429
.LBB6_5428:                             ;   in Loop: Header=BB6_5278 Depth=2
	v_and_b32_e32 v2, 3, v49
	v_bfe_u32 v42, v49, 2, 5
	v_lshlrev_b32_e32 v62, 24, v49
	v_ffbh_u32_e32 v3, v2
	v_cmp_eq_u32_e32 vcc_lo, 0, v42
	v_min_u32_e32 v3, 32, v3
	v_subrev_nc_u32_e32 v48, 29, v3
	v_sub_nc_u32_e32 v3, 30, v3
	v_lshlrev_b32_e32 v48, v48, v49
	v_cndmask_b32_e32 v3, v42, v3, vcc_lo
	v_and_b32_e32 v48, 3, v48
	v_lshl_add_u32 v3, v3, 23, 0x37800000
	v_cndmask_b32_e32 v2, v2, v48, vcc_lo
	v_and_b32_e32 v48, 0x80000000, v62
	v_lshlrev_b32_e32 v2, 21, v2
	v_or3_b32 v48, v48, v3, v2
.LBB6_5429:                             ;   in Loop: Header=BB6_5278 Depth=2
	s_or_b32 exec_lo, exec_lo, s28
	v_cmp_gt_i16_sdwa s28, v37, v43 src0_sel:BYTE_0 src1_sel:DWORD
	s_mov_b32 s12, 0
	s_and_saveexec_b32 s29, s28
	s_xor_b32 s28, exec_lo, s29
	s_cbranch_execz .LBB6_7614
; %bb.5430:                             ;   in Loop: Header=BB6_5278 Depth=2
	v_cmp_eq_u16_sdwa s40, v37, v44 src0_sel:BYTE_0 src1_sel:DWORD
	s_mov_b32 s12, -1
	s_and_saveexec_b32 s29, s40
; %bb.5431:                             ;   in Loop: Header=BB6_5278 Depth=2
	s_xor_b32 s12, exec_lo, -1
; %bb.5432:                             ;   in Loop: Header=BB6_5278 Depth=2
	s_or_b32 exec_lo, exec_lo, s29
	s_and_b32 s12, s12, exec_lo
	s_or_saveexec_b32 s28, s28
	v_mov_b32_e32 v2, 0x7f800001
	s_xor_b32 exec_lo, exec_lo, s28
	s_cbranch_execnz .LBB6_7615
.LBB6_5433:                             ;   in Loop: Header=BB6_5278 Depth=2
	s_or_b32 exec_lo, exec_lo, s28
	s_and_saveexec_b32 s28, s12
	s_cbranch_execz .LBB6_5435
.LBB6_5434:                             ;   in Loop: Header=BB6_5278 Depth=2
	v_and_b32_e32 v2, 3, v37
	v_bfe_u32 v62, v37, 2, 5
	v_lshlrev_b32_e32 v63, 24, v37
	v_ffbh_u32_e32 v3, v2
	v_cmp_eq_u32_e32 vcc_lo, 0, v62
	v_min_u32_e32 v3, 32, v3
	v_subrev_nc_u32_e32 v42, 29, v3
	v_sub_nc_u32_e32 v3, 30, v3
	v_lshlrev_b32_e32 v42, v42, v37
	v_cndmask_b32_e32 v3, v62, v3, vcc_lo
	v_and_b32_e32 v42, 3, v42
	v_lshl_add_u32 v3, v3, 23, 0x37800000
	v_cndmask_b32_e32 v2, v2, v42, vcc_lo
	v_and_b32_e32 v42, 0x80000000, v63
	v_lshlrev_b32_e32 v2, 21, v2
	v_or3_b32 v2, v42, v3, v2
.LBB6_5435:                             ;   in Loop: Header=BB6_5278 Depth=2
	s_or_b32 exec_lo, exec_lo, s28
	v_max_f32_e32 v2, v2, v2
	v_max_f32_e32 v3, v48, v48
	s_mov_b32 s12, 0
	v_max_f32_e32 v62, v3, v2
.LBB6_5436:                             ;   in Loop: Header=BB6_5278 Depth=2
	s_and_b32 vcc_lo, exec_lo, s12
	s_cbranch_vccz .LBB6_5450
; %bb.5437:                             ;   in Loop: Header=BB6_5278 Depth=2
	v_cmp_gt_i16_sdwa s28, v49, v43 src0_sel:BYTE_0 src1_sel:DWORD
	s_mov_b32 s12, 0
	s_and_saveexec_b32 s29, s28
	s_xor_b32 s28, exec_lo, s29
	s_cbranch_execz .LBB6_7616
; %bb.5438:                             ;   in Loop: Header=BB6_5278 Depth=2
	v_cmp_eq_u16_sdwa s40, v49, v44 src0_sel:BYTE_0 src1_sel:DWORD
	s_mov_b32 s12, -1
	s_and_saveexec_b32 s29, s40
; %bb.5439:                             ;   in Loop: Header=BB6_5278 Depth=2
	s_xor_b32 s12, exec_lo, -1
; %bb.5440:                             ;   in Loop: Header=BB6_5278 Depth=2
	s_or_b32 exec_lo, exec_lo, s29
	s_and_b32 s12, s12, exec_lo
	s_or_saveexec_b32 s28, s28
	v_mov_b32_e32 v48, 0x7f800001
	s_xor_b32 exec_lo, exec_lo, s28
	s_cbranch_execnz .LBB6_7617
.LBB6_5441:                             ;   in Loop: Header=BB6_5278 Depth=2
	s_or_b32 exec_lo, exec_lo, s28
	s_and_saveexec_b32 s28, s12
	s_cbranch_execz .LBB6_5443
.LBB6_5442:                             ;   in Loop: Header=BB6_5278 Depth=2
	v_and_b32_e32 v2, 3, v49
	v_bfe_u32 v42, v49, 2, 5
	v_lshlrev_b32_e32 v62, 24, v49
	v_ffbh_u32_e32 v3, v2
	v_cmp_eq_u32_e32 vcc_lo, 0, v42
	v_min_u32_e32 v3, 32, v3
	v_subrev_nc_u32_e32 v48, 29, v3
	v_sub_nc_u32_e32 v3, 30, v3
	v_lshlrev_b32_e32 v48, v48, v49
	v_cndmask_b32_e32 v3, v42, v3, vcc_lo
	v_and_b32_e32 v48, 3, v48
	v_lshl_add_u32 v3, v3, 23, 0x37800000
	v_cndmask_b32_e32 v2, v2, v48, vcc_lo
	v_and_b32_e32 v48, 0x80000000, v62
	v_lshlrev_b32_e32 v2, 21, v2
	v_or3_b32 v48, v48, v3, v2
.LBB6_5443:                             ;   in Loop: Header=BB6_5278 Depth=2
	s_or_b32 exec_lo, exec_lo, s28
	v_cmp_gt_i16_sdwa s28, v37, v43 src0_sel:BYTE_0 src1_sel:DWORD
	s_mov_b32 s12, 0
	s_and_saveexec_b32 s29, s28
	s_xor_b32 s28, exec_lo, s29
	s_cbranch_execz .LBB6_7618
; %bb.5444:                             ;   in Loop: Header=BB6_5278 Depth=2
	v_cmp_eq_u16_sdwa s40, v37, v44 src0_sel:BYTE_0 src1_sel:DWORD
	s_mov_b32 s12, -1
	s_and_saveexec_b32 s29, s40
; %bb.5445:                             ;   in Loop: Header=BB6_5278 Depth=2
	s_xor_b32 s12, exec_lo, -1
; %bb.5446:                             ;   in Loop: Header=BB6_5278 Depth=2
	s_or_b32 exec_lo, exec_lo, s29
	s_and_b32 s12, s12, exec_lo
	s_or_saveexec_b32 s28, s28
	v_mov_b32_e32 v2, 0x7f800001
	s_xor_b32 exec_lo, exec_lo, s28
	s_cbranch_execnz .LBB6_7619
.LBB6_5447:                             ;   in Loop: Header=BB6_5278 Depth=2
	s_or_b32 exec_lo, exec_lo, s28
	s_and_saveexec_b32 s28, s12
	s_cbranch_execz .LBB6_5449
.LBB6_5448:                             ;   in Loop: Header=BB6_5278 Depth=2
	v_and_b32_e32 v2, 3, v37
	v_bfe_u32 v62, v37, 2, 5
	v_lshlrev_b32_e32 v63, 24, v37
	v_ffbh_u32_e32 v3, v2
	v_cmp_eq_u32_e32 vcc_lo, 0, v62
	v_min_u32_e32 v3, 32, v3
	v_subrev_nc_u32_e32 v42, 29, v3
	v_sub_nc_u32_e32 v3, 30, v3
	v_lshlrev_b32_e32 v42, v42, v37
	v_cndmask_b32_e32 v3, v62, v3, vcc_lo
	v_and_b32_e32 v42, 3, v42
	v_lshl_add_u32 v3, v3, 23, 0x37800000
	v_cndmask_b32_e32 v2, v2, v42, vcc_lo
	v_and_b32_e32 v42, 0x80000000, v63
	v_lshlrev_b32_e32 v2, 21, v2
	v_or3_b32 v2, v42, v3, v2
.LBB6_5449:                             ;   in Loop: Header=BB6_5278 Depth=2
	s_or_b32 exec_lo, exec_lo, s28
	v_max_f32_e32 v2, v2, v2
	v_max_f32_e32 v3, v48, v48
	v_min_f32_e32 v62, v3, v2
.LBB6_5450:                             ;   in Loop: Header=BB6_5278 Depth=2
	v_and_b32_e32 v2, 0x7f800000, v62
	v_mov_b32_e32 v48, 0x80
	s_mov_b32 s28, exec_lo
	v_cmpx_ne_u32_e32 0x7f800000, v2
	s_cbranch_execz .LBB6_5458
; %bb.5451:                             ;   in Loop: Header=BB6_5278 Depth=2
	v_mov_b32_e32 v48, 0
	s_mov_b32 s29, exec_lo
	v_cmpx_ne_u32_e32 0, v62
	s_cbranch_execz .LBB6_5457
; %bb.5452:                             ;   in Loop: Header=BB6_5278 Depth=2
	v_bfe_u32 v2, v62, 23, 8
	v_and_b32_e32 v3, 0x7fffff, v62
	v_sub_nc_u32_e32 v48, 0x70, v2
	v_cmp_gt_u32_e32 vcc_lo, 0x71, v2
	v_or_b32_e32 v42, 0x800000, v3
	v_cndmask_b32_e32 v48, 0, v48, vcc_lo
	v_cmp_eq_u32_e32 vcc_lo, 0, v2
	v_add_nc_u32_e32 v2, 0xffffff91, v2
	v_cndmask_b32_e64 v48, v48, 0x6f, vcc_lo
	v_cndmask_b32_e32 v3, v42, v3, vcc_lo
	v_cndmask_b32_e64 v2, v2, 0xffffff92, vcc_lo
	v_lshl_add_u32 v63, 0x200000, v48, -1
	v_lshrrev_b32_e32 v42, v48, v3
	v_lshlrev_b32_e64 v73, v48, 0x100000
	v_add_nc_u32_e32 v2, v48, v2
	v_and_b32_e32 v3, v63, v3
	v_bfe_u32 v72, v42, 21, 1
	v_cmp_eq_u32_e64 s12, v3, v73
	v_add_nc_u32_e32 v63, -1, v72
	v_cndmask_b32_e64 v3, 0, v63, s12
	v_lshrrev_b32_e32 v63, 23, v42
	s_mov_b32 s12, exec_lo
	v_add_nc_u32_e32 v3, v3, v42
	v_and_b32_e32 v48, 0x1fffff, v3
	v_xor_b32_e32 v3, 1, v63
	v_add_nc_u32_e32 v63, v48, v42
                                        ; implicit-def: $vgpr48
	v_cmpx_ne_u32_e64 v2, v3
	s_xor_b32 s12, exec_lo, s12
; %bb.5453:                             ;   in Loop: Header=BB6_5278 Depth=2
	v_cmp_lt_u32_e32 vcc_lo, 0xffffff, v63
	v_sub_nc_u32_e32 v2, v2, v3
	v_cndmask_b32_e64 v3, 0, 1, vcc_lo
	v_add_co_ci_u32_e64 v48, null, 0, v2, vcc_lo
	v_lshrrev_b32_e32 v63, v3, v63
; %bb.5454:                             ;   in Loop: Header=BB6_5278 Depth=2
	s_andn2_saveexec_b32 s12, s12
; %bb.5455:                             ;   in Loop: Header=BB6_5278 Depth=2
	v_bfe_u32 v48, v63, 23, 1
; %bb.5456:                             ;   in Loop: Header=BB6_5278 Depth=2
	s_or_b32 exec_lo, exec_lo, s12
	v_lshrrev_b32_e32 v2, 21, v63
	v_min_i32_e32 v3, 31, v48
	v_cmp_gt_i32_e32 vcc_lo, 32, v48
	v_and_b32_sdwa v42, v62, v44 dst_sel:DWORD dst_unused:UNUSED_PAD src0_sel:BYTE_3 src1_sel:DWORD
	v_lshlrev_b32_e32 v3, 2, v3
	v_cndmask_b32_e32 v2, 3, v2, vcc_lo
	v_and_b32_e32 v3, 0xfc, v3
	v_and_b32_e32 v62, 3, v2
	v_or_b32_e32 v2, v48, v2
	v_or3_b32 v3, v3, v42, v62
	v_cmp_ne_u32_e32 vcc_lo, 0, v2
	v_cndmask_b32_e32 v48, 0, v3, vcc_lo
.LBB6_5457:                             ;   in Loop: Header=BB6_5278 Depth=2
	s_or_b32 exec_lo, exec_lo, s29
.LBB6_5458:                             ;   in Loop: Header=BB6_5278 Depth=2
	s_or_b32 exec_lo, exec_lo, s28
	v_cmp_gt_i16_sdwa s28, v49, v43 src0_sel:BYTE_1 src1_sel:DWORD
	s_and_b32 vcc_lo, exec_lo, s27
	s_mov_b32 s12, -1
                                        ; implicit-def: $vgpr63
	s_cbranch_vccz .LBB6_5472
; %bb.5459:                             ;   in Loop: Header=BB6_5278 Depth=2
	s_mov_b32 s12, 0
	s_and_saveexec_b32 s29, s28
	s_xor_b32 s28, exec_lo, s29
	s_cbranch_execz .LBB6_7620
; %bb.5460:                             ;   in Loop: Header=BB6_5278 Depth=2
	v_cmp_eq_u16_sdwa s40, v49, v44 src0_sel:BYTE_1 src1_sel:DWORD
	s_mov_b32 s12, -1
	s_and_saveexec_b32 s29, s40
; %bb.5461:                             ;   in Loop: Header=BB6_5278 Depth=2
	s_xor_b32 s12, exec_lo, -1
; %bb.5462:                             ;   in Loop: Header=BB6_5278 Depth=2
	s_or_b32 exec_lo, exec_lo, s29
	s_and_b32 s12, s12, exec_lo
	s_or_saveexec_b32 s28, s28
	v_mov_b32_e32 v62, 0x7f800001
	s_xor_b32 exec_lo, exec_lo, s28
	s_cbranch_execnz .LBB6_7621
.LBB6_5463:                             ;   in Loop: Header=BB6_5278 Depth=2
	s_or_b32 exec_lo, exec_lo, s28
	s_and_saveexec_b32 s28, s12
	s_cbranch_execz .LBB6_5465
.LBB6_5464:                             ;   in Loop: Header=BB6_5278 Depth=2
	v_and_b32_sdwa v2, v45, v49 dst_sel:DWORD dst_unused:UNUSED_PAD src0_sel:DWORD src1_sel:BYTE_1
	v_and_b32_e32 v3, 3, v2
	v_bfe_u32 v63, v2, 2, 5
	v_ffbh_u32_e32 v42, v3
	v_cmp_eq_u32_e32 vcc_lo, 0, v63
	v_min_u32_e32 v42, 32, v42
	v_subrev_nc_u32_e32 v62, 29, v42
	v_sub_nc_u32_e32 v42, 30, v42
	v_lshlrev_b32_e32 v2, v62, v2
	v_lshlrev_b32_e32 v62, 16, v49
	v_cndmask_b32_e32 v42, v63, v42, vcc_lo
	v_and_b32_e32 v2, 3, v2
	v_lshl_add_u32 v42, v42, 23, 0x37800000
	v_cndmask_b32_e32 v2, v3, v2, vcc_lo
	v_and_b32_e32 v3, 0x80000000, v62
	v_lshlrev_b32_e32 v2, 21, v2
	v_or3_b32 v62, v3, v42, v2
.LBB6_5465:                             ;   in Loop: Header=BB6_5278 Depth=2
	s_or_b32 exec_lo, exec_lo, s28
	v_cmp_gt_i16_sdwa s28, v37, v43 src0_sel:BYTE_1 src1_sel:DWORD
	s_mov_b32 s12, 0
	s_and_saveexec_b32 s29, s28
	s_xor_b32 s28, exec_lo, s29
	s_cbranch_execz .LBB6_7622
; %bb.5466:                             ;   in Loop: Header=BB6_5278 Depth=2
	v_cmp_eq_u16_sdwa s40, v37, v44 src0_sel:BYTE_1 src1_sel:DWORD
	s_mov_b32 s12, -1
	s_and_saveexec_b32 s29, s40
; %bb.5467:                             ;   in Loop: Header=BB6_5278 Depth=2
	s_xor_b32 s12, exec_lo, -1
; %bb.5468:                             ;   in Loop: Header=BB6_5278 Depth=2
	s_or_b32 exec_lo, exec_lo, s29
	s_and_b32 s12, s12, exec_lo
	s_or_saveexec_b32 s28, s28
	v_mov_b32_e32 v2, 0x7f800001
	s_xor_b32 exec_lo, exec_lo, s28
	s_cbranch_execnz .LBB6_7623
.LBB6_5469:                             ;   in Loop: Header=BB6_5278 Depth=2
	s_or_b32 exec_lo, exec_lo, s28
	s_and_saveexec_b32 s28, s12
	s_cbranch_execz .LBB6_5471
.LBB6_5470:                             ;   in Loop: Header=BB6_5278 Depth=2
	v_and_b32_sdwa v2, v45, v37 dst_sel:DWORD dst_unused:UNUSED_PAD src0_sel:DWORD src1_sel:BYTE_1
	v_and_b32_e32 v3, 3, v2
	v_bfe_u32 v72, v2, 2, 5
	v_ffbh_u32_e32 v42, v3
	v_cmp_eq_u32_e32 vcc_lo, 0, v72
	v_min_u32_e32 v42, 32, v42
	v_subrev_nc_u32_e32 v63, 29, v42
	v_sub_nc_u32_e32 v42, 30, v42
	v_lshlrev_b32_e32 v2, v63, v2
	v_lshlrev_b32_e32 v63, 16, v37
	v_cndmask_b32_e32 v42, v72, v42, vcc_lo
	v_and_b32_e32 v2, 3, v2
	v_lshl_add_u32 v42, v42, 23, 0x37800000
	v_cndmask_b32_e32 v2, v3, v2, vcc_lo
	v_and_b32_e32 v3, 0x80000000, v63
	v_lshlrev_b32_e32 v2, 21, v2
	v_or3_b32 v2, v3, v42, v2
.LBB6_5471:                             ;   in Loop: Header=BB6_5278 Depth=2
	s_or_b32 exec_lo, exec_lo, s28
	v_max_f32_e32 v2, v2, v2
	v_max_f32_e32 v3, v62, v62
	s_mov_b32 s12, 0
	v_max_f32_e32 v63, v3, v2
.LBB6_5472:                             ;   in Loop: Header=BB6_5278 Depth=2
	s_and_b32 vcc_lo, exec_lo, s12
	s_cbranch_vccz .LBB6_5486
; %bb.5473:                             ;   in Loop: Header=BB6_5278 Depth=2
	v_cmp_gt_i16_sdwa s28, v49, v43 src0_sel:BYTE_1 src1_sel:DWORD
	s_mov_b32 s12, 0
	s_and_saveexec_b32 s29, s28
	s_xor_b32 s28, exec_lo, s29
	s_cbranch_execz .LBB6_7624
; %bb.5474:                             ;   in Loop: Header=BB6_5278 Depth=2
	v_cmp_eq_u16_sdwa s40, v49, v44 src0_sel:BYTE_1 src1_sel:DWORD
	s_mov_b32 s12, -1
	s_and_saveexec_b32 s29, s40
; %bb.5475:                             ;   in Loop: Header=BB6_5278 Depth=2
	s_xor_b32 s12, exec_lo, -1
; %bb.5476:                             ;   in Loop: Header=BB6_5278 Depth=2
	s_or_b32 exec_lo, exec_lo, s29
	s_and_b32 s12, s12, exec_lo
	s_or_saveexec_b32 s28, s28
	v_mov_b32_e32 v62, 0x7f800001
	s_xor_b32 exec_lo, exec_lo, s28
	s_cbranch_execnz .LBB6_7625
.LBB6_5477:                             ;   in Loop: Header=BB6_5278 Depth=2
	s_or_b32 exec_lo, exec_lo, s28
	s_and_saveexec_b32 s28, s12
	s_cbranch_execz .LBB6_5479
.LBB6_5478:                             ;   in Loop: Header=BB6_5278 Depth=2
	v_and_b32_sdwa v2, v45, v49 dst_sel:DWORD dst_unused:UNUSED_PAD src0_sel:DWORD src1_sel:BYTE_1
	v_and_b32_e32 v3, 3, v2
	v_bfe_u32 v63, v2, 2, 5
	v_ffbh_u32_e32 v42, v3
	v_cmp_eq_u32_e32 vcc_lo, 0, v63
	v_min_u32_e32 v42, 32, v42
	v_subrev_nc_u32_e32 v62, 29, v42
	v_sub_nc_u32_e32 v42, 30, v42
	v_lshlrev_b32_e32 v2, v62, v2
	v_lshlrev_b32_e32 v62, 16, v49
	v_cndmask_b32_e32 v42, v63, v42, vcc_lo
	v_and_b32_e32 v2, 3, v2
	v_lshl_add_u32 v42, v42, 23, 0x37800000
	v_cndmask_b32_e32 v2, v3, v2, vcc_lo
	v_and_b32_e32 v3, 0x80000000, v62
	v_lshlrev_b32_e32 v2, 21, v2
	v_or3_b32 v62, v3, v42, v2
.LBB6_5479:                             ;   in Loop: Header=BB6_5278 Depth=2
	s_or_b32 exec_lo, exec_lo, s28
	v_cmp_gt_i16_sdwa s28, v37, v43 src0_sel:BYTE_1 src1_sel:DWORD
	s_mov_b32 s12, 0
	s_and_saveexec_b32 s29, s28
	s_xor_b32 s28, exec_lo, s29
	s_cbranch_execz .LBB6_7626
; %bb.5480:                             ;   in Loop: Header=BB6_5278 Depth=2
	v_cmp_eq_u16_sdwa s40, v37, v44 src0_sel:BYTE_1 src1_sel:DWORD
	s_mov_b32 s12, -1
	s_and_saveexec_b32 s29, s40
; %bb.5481:                             ;   in Loop: Header=BB6_5278 Depth=2
	s_xor_b32 s12, exec_lo, -1
; %bb.5482:                             ;   in Loop: Header=BB6_5278 Depth=2
	s_or_b32 exec_lo, exec_lo, s29
	s_and_b32 s12, s12, exec_lo
	s_or_saveexec_b32 s28, s28
	v_mov_b32_e32 v2, 0x7f800001
	s_xor_b32 exec_lo, exec_lo, s28
	s_cbranch_execnz .LBB6_7627
.LBB6_5483:                             ;   in Loop: Header=BB6_5278 Depth=2
	s_or_b32 exec_lo, exec_lo, s28
	s_and_saveexec_b32 s28, s12
	s_cbranch_execz .LBB6_5485
.LBB6_5484:                             ;   in Loop: Header=BB6_5278 Depth=2
	v_and_b32_sdwa v2, v45, v37 dst_sel:DWORD dst_unused:UNUSED_PAD src0_sel:DWORD src1_sel:BYTE_1
	v_and_b32_e32 v3, 3, v2
	v_bfe_u32 v72, v2, 2, 5
	v_ffbh_u32_e32 v42, v3
	v_cmp_eq_u32_e32 vcc_lo, 0, v72
	v_min_u32_e32 v42, 32, v42
	v_subrev_nc_u32_e32 v63, 29, v42
	v_sub_nc_u32_e32 v42, 30, v42
	v_lshlrev_b32_e32 v2, v63, v2
	v_lshlrev_b32_e32 v63, 16, v37
	v_cndmask_b32_e32 v42, v72, v42, vcc_lo
	v_and_b32_e32 v2, 3, v2
	v_lshl_add_u32 v42, v42, 23, 0x37800000
	v_cndmask_b32_e32 v2, v3, v2, vcc_lo
	v_and_b32_e32 v3, 0x80000000, v63
	v_lshlrev_b32_e32 v2, 21, v2
	v_or3_b32 v2, v3, v42, v2
.LBB6_5485:                             ;   in Loop: Header=BB6_5278 Depth=2
	s_or_b32 exec_lo, exec_lo, s28
	v_max_f32_e32 v2, v2, v2
	v_max_f32_e32 v3, v62, v62
	v_min_f32_e32 v63, v3, v2
.LBB6_5486:                             ;   in Loop: Header=BB6_5278 Depth=2
	v_and_b32_e32 v2, 0x7f800000, v63
	v_mov_b32_e32 v62, 0x8000
	s_mov_b32 s28, exec_lo
	v_cmpx_ne_u32_e32 0x7f800000, v2
	s_cbranch_execz .LBB6_5494
; %bb.5487:                             ;   in Loop: Header=BB6_5278 Depth=2
	v_mov_b32_e32 v62, 0
	s_mov_b32 s29, exec_lo
	v_cmpx_ne_u32_e32 0, v63
	s_cbranch_execz .LBB6_5493
; %bb.5488:                             ;   in Loop: Header=BB6_5278 Depth=2
	v_bfe_u32 v2, v63, 23, 8
	v_and_b32_e32 v3, 0x7fffff, v63
	v_sub_nc_u32_e32 v42, 0x70, v2
	v_cmp_gt_u32_e32 vcc_lo, 0x71, v2
	v_or_b32_e32 v62, 0x800000, v3
	v_cndmask_b32_e32 v42, 0, v42, vcc_lo
	v_cmp_eq_u32_e32 vcc_lo, 0, v2
	v_add_nc_u32_e32 v2, 0xffffff91, v2
	v_cndmask_b32_e64 v42, v42, 0x6f, vcc_lo
	v_cndmask_b32_e32 v3, v62, v3, vcc_lo
	v_cndmask_b32_e64 v2, v2, 0xffffff92, vcc_lo
	v_lshl_add_u32 v72, 0x200000, v42, -1
	v_lshrrev_b32_e32 v62, v42, v3
	v_lshlrev_b32_e64 v74, v42, 0x100000
	v_add_nc_u32_e32 v2, v42, v2
	v_and_b32_e32 v3, v72, v3
	v_bfe_u32 v73, v62, 21, 1
	v_cmp_eq_u32_e64 s12, v3, v74
	v_add_nc_u32_e32 v72, -1, v73
	v_cndmask_b32_e64 v3, 0, v72, s12
	v_lshrrev_b32_e32 v72, 23, v62
	s_mov_b32 s12, exec_lo
	v_add_nc_u32_e32 v3, v3, v62
	v_and_b32_e32 v42, 0x1fffff, v3
	v_xor_b32_e32 v3, 1, v72
	v_add_nc_u32_e32 v72, v42, v62
                                        ; implicit-def: $vgpr62
	v_cmpx_ne_u32_e64 v2, v3
	s_xor_b32 s12, exec_lo, s12
; %bb.5489:                             ;   in Loop: Header=BB6_5278 Depth=2
	v_cmp_lt_u32_e32 vcc_lo, 0xffffff, v72
	v_sub_nc_u32_e32 v2, v2, v3
	v_cndmask_b32_e64 v3, 0, 1, vcc_lo
	v_add_co_ci_u32_e64 v62, null, 0, v2, vcc_lo
	v_lshrrev_b32_e32 v72, v3, v72
; %bb.5490:                             ;   in Loop: Header=BB6_5278 Depth=2
	s_andn2_saveexec_b32 s12, s12
; %bb.5491:                             ;   in Loop: Header=BB6_5278 Depth=2
	v_bfe_u32 v62, v72, 23, 1
; %bb.5492:                             ;   in Loop: Header=BB6_5278 Depth=2
	s_or_b32 exec_lo, exec_lo, s12
	v_lshrrev_b32_e32 v2, 21, v72
	v_min_i32_e32 v3, 31, v62
	v_cmp_gt_i32_e32 vcc_lo, 32, v62
	v_and_b32_sdwa v42, v63, v44 dst_sel:DWORD dst_unused:UNUSED_PAD src0_sel:BYTE_3 src1_sel:DWORD
	v_lshlrev_b32_e32 v3, 2, v3
	v_cndmask_b32_e32 v2, 3, v2, vcc_lo
	v_and_b32_e32 v3, 0xfc, v3
	v_and_b32_e32 v63, 3, v2
	v_or_b32_e32 v2, v62, v2
	v_or3_b32 v3, v42, v3, v63
	v_cmp_ne_u32_e32 vcc_lo, 0, v2
	v_lshlrev_b32_e32 v3, 8, v3
	v_cndmask_b32_e32 v62, 0, v3, vcc_lo
.LBB6_5493:                             ;   in Loop: Header=BB6_5278 Depth=2
	s_or_b32 exec_lo, exec_lo, s29
.LBB6_5494:                             ;   in Loop: Header=BB6_5278 Depth=2
	s_or_b32 exec_lo, exec_lo, s28
	v_and_b32_sdwa v63, v49, v46 dst_sel:DWORD dst_unused:UNUSED_PAD src0_sel:WORD_1 src1_sel:DWORD
	s_and_b32 vcc_lo, exec_lo, s27
	s_mov_b32 s28, -1
                                        ; implicit-def: $vgpr72
	v_cmp_lt_i16_e64 s12, 0x7f, v63
	s_cbranch_vccz .LBB6_5508
; %bb.5495:                             ;   in Loop: Header=BB6_5278 Depth=2
	s_mov_b32 s28, 0
	s_and_saveexec_b32 s29, s12
	s_xor_b32 s12, exec_lo, s29
	s_cbranch_execz .LBB6_7628
; %bb.5496:                             ;   in Loop: Header=BB6_5278 Depth=2
	s_mov_b32 s28, -1
	s_mov_b32 s29, exec_lo
	v_cmpx_eq_u16_e32 0x80, v63
; %bb.5497:                             ;   in Loop: Header=BB6_5278 Depth=2
	s_xor_b32 s28, exec_lo, -1
; %bb.5498:                             ;   in Loop: Header=BB6_5278 Depth=2
	s_or_b32 exec_lo, exec_lo, s29
	s_and_b32 s28, s28, exec_lo
	s_or_saveexec_b32 s12, s12
	v_mov_b32_e32 v72, 0x7f800001
	s_xor_b32 exec_lo, exec_lo, s12
	s_cbranch_execnz .LBB6_7629
.LBB6_5499:                             ;   in Loop: Header=BB6_5278 Depth=2
	s_or_b32 exec_lo, exec_lo, s12
	s_and_saveexec_b32 s12, s28
	s_cbranch_execz .LBB6_5501
.LBB6_5500:                             ;   in Loop: Header=BB6_5278 Depth=2
	v_bfe_u32 v2, v49, 16, 2
	v_bfe_u32 v72, v49, 18, 5
	v_lshlrev_b32_sdwa v73, v47, v49 dst_sel:DWORD dst_unused:UNUSED_PAD src0_sel:DWORD src1_sel:WORD_1
	v_ffbh_u32_e32 v3, v2
	v_cmp_eq_u32_e32 vcc_lo, 0, v72
	v_min_u32_e32 v3, 32, v3
	v_subrev_nc_u32_e32 v42, 29, v3
	v_sub_nc_u32_e32 v3, 30, v3
	v_lshlrev_b32_sdwa v42, v42, v49 dst_sel:DWORD dst_unused:UNUSED_PAD src0_sel:DWORD src1_sel:WORD_1
	v_cndmask_b32_e32 v3, v72, v3, vcc_lo
	v_and_b32_e32 v42, 3, v42
	v_lshl_add_u32 v3, v3, 23, 0x37800000
	v_cndmask_b32_e32 v2, v2, v42, vcc_lo
	v_and_b32_e32 v42, 0x80000000, v73
	v_lshlrev_b32_e32 v2, 21, v2
	v_or3_b32 v72, v42, v3, v2
.LBB6_5501:                             ;   in Loop: Header=BB6_5278 Depth=2
	s_or_b32 exec_lo, exec_lo, s12
	v_and_b32_sdwa v3, v37, v46 dst_sel:DWORD dst_unused:UNUSED_PAD src0_sel:WORD_1 src1_sel:DWORD
	s_mov_b32 s12, 0
	s_mov_b32 s28, exec_lo
	v_cmpx_lt_i16_e32 0x7f, v3
	s_xor_b32 s28, exec_lo, s28
	s_cbranch_execz .LBB6_7630
; %bb.5502:                             ;   in Loop: Header=BB6_5278 Depth=2
	s_mov_b32 s12, -1
	s_mov_b32 s29, exec_lo
	v_cmpx_eq_u16_e32 0x80, v3
; %bb.5503:                             ;   in Loop: Header=BB6_5278 Depth=2
	s_xor_b32 s12, exec_lo, -1
; %bb.5504:                             ;   in Loop: Header=BB6_5278 Depth=2
	s_or_b32 exec_lo, exec_lo, s29
	s_and_b32 s12, s12, exec_lo
                                        ; implicit-def: $vgpr3
	s_or_saveexec_b32 s28, s28
	v_mov_b32_e32 v2, 0x7f800001
	s_xor_b32 exec_lo, exec_lo, s28
	s_cbranch_execnz .LBB6_7631
.LBB6_5505:                             ;   in Loop: Header=BB6_5278 Depth=2
	s_or_b32 exec_lo, exec_lo, s28
	s_and_saveexec_b32 s28, s12
	s_cbranch_execz .LBB6_5507
.LBB6_5506:                             ;   in Loop: Header=BB6_5278 Depth=2
	v_bfe_u32 v2, v37, 16, 2
	v_bfe_u32 v73, v37, 18, 5
	v_lshlrev_b32_sdwa v74, v47, v37 dst_sel:DWORD dst_unused:UNUSED_PAD src0_sel:DWORD src1_sel:WORD_1
	v_ffbh_u32_e32 v3, v2
	v_cmp_eq_u32_e32 vcc_lo, 0, v73
	v_min_u32_e32 v3, 32, v3
	v_subrev_nc_u32_e32 v42, 29, v3
	v_sub_nc_u32_e32 v3, 30, v3
	v_lshlrev_b32_sdwa v42, v42, v37 dst_sel:DWORD dst_unused:UNUSED_PAD src0_sel:DWORD src1_sel:WORD_1
	v_cndmask_b32_e32 v3, v73, v3, vcc_lo
	v_and_b32_e32 v42, 3, v42
	v_lshl_add_u32 v3, v3, 23, 0x37800000
	v_cndmask_b32_e32 v2, v2, v42, vcc_lo
	v_and_b32_e32 v42, 0x80000000, v74
	v_lshlrev_b32_e32 v2, 21, v2
	v_or3_b32 v2, v42, v3, v2
.LBB6_5507:                             ;   in Loop: Header=BB6_5278 Depth=2
	s_or_b32 exec_lo, exec_lo, s28
	v_max_f32_e32 v2, v2, v2
	v_max_f32_e32 v3, v72, v72
	s_mov_b32 s28, 0
	v_max_f32_e32 v72, v3, v2
.LBB6_5508:                             ;   in Loop: Header=BB6_5278 Depth=2
	s_and_b32 vcc_lo, exec_lo, s28
	s_cbranch_vccz .LBB6_5522
; %bb.5509:                             ;   in Loop: Header=BB6_5278 Depth=2
	s_mov_b32 s12, 0
	s_mov_b32 s28, exec_lo
	v_cmpx_lt_i16_e32 0x7f, v63
	s_xor_b32 s28, exec_lo, s28
	s_cbranch_execz .LBB6_7632
; %bb.5510:                             ;   in Loop: Header=BB6_5278 Depth=2
	s_mov_b32 s12, -1
	s_mov_b32 s29, exec_lo
	v_cmpx_eq_u16_e32 0x80, v63
; %bb.5511:                             ;   in Loop: Header=BB6_5278 Depth=2
	s_xor_b32 s12, exec_lo, -1
; %bb.5512:                             ;   in Loop: Header=BB6_5278 Depth=2
	s_or_b32 exec_lo, exec_lo, s29
	s_and_b32 s12, s12, exec_lo
                                        ; implicit-def: $vgpr63
	s_or_saveexec_b32 s28, s28
	v_mov_b32_e32 v72, 0x7f800001
	s_xor_b32 exec_lo, exec_lo, s28
	s_cbranch_execnz .LBB6_7633
.LBB6_5513:                             ;   in Loop: Header=BB6_5278 Depth=2
	s_or_b32 exec_lo, exec_lo, s28
	s_and_saveexec_b32 s28, s12
	s_cbranch_execz .LBB6_5515
.LBB6_5514:                             ;   in Loop: Header=BB6_5278 Depth=2
	v_bfe_u32 v2, v49, 16, 2
	v_bfe_u32 v63, v49, 18, 5
	v_lshlrev_b32_sdwa v72, v47, v49 dst_sel:DWORD dst_unused:UNUSED_PAD src0_sel:DWORD src1_sel:WORD_1
	v_ffbh_u32_e32 v3, v2
	v_cmp_eq_u32_e32 vcc_lo, 0, v63
	v_min_u32_e32 v3, 32, v3
	v_subrev_nc_u32_e32 v42, 29, v3
	v_sub_nc_u32_e32 v3, 30, v3
	v_lshlrev_b32_sdwa v42, v42, v49 dst_sel:DWORD dst_unused:UNUSED_PAD src0_sel:DWORD src1_sel:WORD_1
	v_cndmask_b32_e32 v3, v63, v3, vcc_lo
	v_and_b32_e32 v42, 3, v42
	v_lshl_add_u32 v3, v3, 23, 0x37800000
	v_cndmask_b32_e32 v2, v2, v42, vcc_lo
	v_and_b32_e32 v42, 0x80000000, v72
	v_lshlrev_b32_e32 v2, 21, v2
	v_or3_b32 v72, v42, v3, v2
.LBB6_5515:                             ;   in Loop: Header=BB6_5278 Depth=2
	s_or_b32 exec_lo, exec_lo, s28
	v_and_b32_sdwa v3, v37, v46 dst_sel:DWORD dst_unused:UNUSED_PAD src0_sel:WORD_1 src1_sel:DWORD
	s_mov_b32 s12, 0
	s_mov_b32 s28, exec_lo
	v_cmpx_lt_i16_e32 0x7f, v3
	s_xor_b32 s28, exec_lo, s28
	s_cbranch_execz .LBB6_7634
; %bb.5516:                             ;   in Loop: Header=BB6_5278 Depth=2
	s_mov_b32 s12, -1
	s_mov_b32 s29, exec_lo
	v_cmpx_eq_u16_e32 0x80, v3
; %bb.5517:                             ;   in Loop: Header=BB6_5278 Depth=2
	s_xor_b32 s12, exec_lo, -1
; %bb.5518:                             ;   in Loop: Header=BB6_5278 Depth=2
	s_or_b32 exec_lo, exec_lo, s29
	s_and_b32 s12, s12, exec_lo
                                        ; implicit-def: $vgpr3
	s_or_saveexec_b32 s28, s28
	v_mov_b32_e32 v2, 0x7f800001
	s_xor_b32 exec_lo, exec_lo, s28
	s_cbranch_execnz .LBB6_7635
.LBB6_5519:                             ;   in Loop: Header=BB6_5278 Depth=2
	s_or_b32 exec_lo, exec_lo, s28
	s_and_saveexec_b32 s28, s12
	s_cbranch_execz .LBB6_5521
.LBB6_5520:                             ;   in Loop: Header=BB6_5278 Depth=2
	v_bfe_u32 v2, v37, 16, 2
	v_bfe_u32 v63, v37, 18, 5
	v_lshlrev_b32_sdwa v73, v47, v37 dst_sel:DWORD dst_unused:UNUSED_PAD src0_sel:DWORD src1_sel:WORD_1
	v_ffbh_u32_e32 v3, v2
	v_cmp_eq_u32_e32 vcc_lo, 0, v63
	v_min_u32_e32 v3, 32, v3
	v_subrev_nc_u32_e32 v42, 29, v3
	v_sub_nc_u32_e32 v3, 30, v3
	v_lshlrev_b32_sdwa v42, v42, v37 dst_sel:DWORD dst_unused:UNUSED_PAD src0_sel:DWORD src1_sel:WORD_1
	v_cndmask_b32_e32 v3, v63, v3, vcc_lo
	v_and_b32_e32 v42, 3, v42
	v_lshl_add_u32 v3, v3, 23, 0x37800000
	v_cndmask_b32_e32 v2, v2, v42, vcc_lo
	v_and_b32_e32 v42, 0x80000000, v73
	v_lshlrev_b32_e32 v2, 21, v2
	v_or3_b32 v2, v42, v3, v2
.LBB6_5521:                             ;   in Loop: Header=BB6_5278 Depth=2
	s_or_b32 exec_lo, exec_lo, s28
	v_max_f32_e32 v2, v2, v2
	v_max_f32_e32 v3, v72, v72
	v_min_f32_e32 v72, v3, v2
.LBB6_5522:                             ;   in Loop: Header=BB6_5278 Depth=2
	v_and_b32_e32 v2, 0x7f800000, v72
	v_mov_b32_e32 v63, 0x80
	s_mov_b32 s28, exec_lo
	v_cmpx_ne_u32_e32 0x7f800000, v2
	s_cbranch_execz .LBB6_5530
; %bb.5523:                             ;   in Loop: Header=BB6_5278 Depth=2
	v_mov_b32_e32 v63, 0
	s_mov_b32 s29, exec_lo
	v_cmpx_ne_u32_e32 0, v72
	s_cbranch_execz .LBB6_5529
; %bb.5524:                             ;   in Loop: Header=BB6_5278 Depth=2
	v_bfe_u32 v2, v72, 23, 8
	v_and_b32_e32 v3, 0x7fffff, v72
	v_sub_nc_u32_e32 v42, 0x70, v2
	v_cmp_gt_u32_e32 vcc_lo, 0x71, v2
	v_or_b32_e32 v63, 0x800000, v3
	v_cndmask_b32_e32 v42, 0, v42, vcc_lo
	v_cmp_eq_u32_e32 vcc_lo, 0, v2
	v_add_nc_u32_e32 v2, 0xffffff91, v2
	v_cndmask_b32_e64 v42, v42, 0x6f, vcc_lo
	v_cndmask_b32_e32 v3, v63, v3, vcc_lo
	v_cndmask_b32_e64 v2, v2, 0xffffff92, vcc_lo
	v_lshl_add_u32 v73, 0x200000, v42, -1
	v_lshrrev_b32_e32 v63, v42, v3
	v_lshlrev_b32_e64 v75, v42, 0x100000
	v_add_nc_u32_e32 v2, v42, v2
	v_and_b32_e32 v3, v73, v3
	v_bfe_u32 v74, v63, 21, 1
	v_cmp_eq_u32_e64 s12, v3, v75
	v_add_nc_u32_e32 v73, -1, v74
	v_cndmask_b32_e64 v3, 0, v73, s12
	v_lshrrev_b32_e32 v73, 23, v63
	s_mov_b32 s12, exec_lo
	v_add_nc_u32_e32 v3, v3, v63
	v_and_b32_e32 v42, 0x1fffff, v3
	v_xor_b32_e32 v3, 1, v73
	v_add_nc_u32_e32 v73, v42, v63
                                        ; implicit-def: $vgpr63
	v_cmpx_ne_u32_e64 v2, v3
	s_xor_b32 s12, exec_lo, s12
; %bb.5525:                             ;   in Loop: Header=BB6_5278 Depth=2
	v_cmp_lt_u32_e32 vcc_lo, 0xffffff, v73
	v_sub_nc_u32_e32 v2, v2, v3
	v_cndmask_b32_e64 v3, 0, 1, vcc_lo
	v_add_co_ci_u32_e64 v63, null, 0, v2, vcc_lo
	v_lshrrev_b32_e32 v73, v3, v73
; %bb.5526:                             ;   in Loop: Header=BB6_5278 Depth=2
	s_andn2_saveexec_b32 s12, s12
; %bb.5527:                             ;   in Loop: Header=BB6_5278 Depth=2
	v_bfe_u32 v63, v73, 23, 1
; %bb.5528:                             ;   in Loop: Header=BB6_5278 Depth=2
	s_or_b32 exec_lo, exec_lo, s12
	v_lshrrev_b32_e32 v2, 21, v73
	v_min_i32_e32 v3, 31, v63
	v_cmp_gt_i32_e32 vcc_lo, 32, v63
	v_and_b32_sdwa v42, v72, v44 dst_sel:DWORD dst_unused:UNUSED_PAD src0_sel:BYTE_3 src1_sel:DWORD
	v_lshlrev_b32_e32 v3, 2, v3
	v_cndmask_b32_e32 v2, 3, v2, vcc_lo
	v_and_b32_e32 v3, 0xfc, v3
	v_and_b32_e32 v72, 3, v2
	v_or_b32_e32 v2, v63, v2
	v_or3_b32 v3, v3, v42, v72
	v_cmp_ne_u32_e32 vcc_lo, 0, v2
	v_cndmask_b32_e32 v63, 0, v3, vcc_lo
.LBB6_5529:                             ;   in Loop: Header=BB6_5278 Depth=2
	s_or_b32 exec_lo, exec_lo, s29
.LBB6_5530:                             ;   in Loop: Header=BB6_5278 Depth=2
	s_or_b32 exec_lo, exec_lo, s28
	v_cmp_gt_i16_sdwa s28, v49, v43 src0_sel:BYTE_3 src1_sel:DWORD
	s_and_b32 vcc_lo, exec_lo, s27
	s_mov_b32 s12, -1
                                        ; implicit-def: $vgpr72
	s_cbranch_vccz .LBB6_5544
; %bb.5531:                             ;   in Loop: Header=BB6_5278 Depth=2
	s_mov_b32 s12, 0
	s_and_saveexec_b32 s29, s28
	s_xor_b32 s28, exec_lo, s29
	s_cbranch_execz .LBB6_7636
; %bb.5532:                             ;   in Loop: Header=BB6_5278 Depth=2
	v_cmp_eq_u16_sdwa s40, v49, v44 src0_sel:BYTE_3 src1_sel:DWORD
	s_mov_b32 s12, -1
	s_and_saveexec_b32 s29, s40
; %bb.5533:                             ;   in Loop: Header=BB6_5278 Depth=2
	s_xor_b32 s12, exec_lo, -1
; %bb.5534:                             ;   in Loop: Header=BB6_5278 Depth=2
	s_or_b32 exec_lo, exec_lo, s29
	s_and_b32 s12, s12, exec_lo
	s_or_saveexec_b32 s28, s28
	v_mov_b32_e32 v72, 0x7f800001
	s_xor_b32 exec_lo, exec_lo, s28
	s_cbranch_execnz .LBB6_7637
.LBB6_5535:                             ;   in Loop: Header=BB6_5278 Depth=2
	s_or_b32 exec_lo, exec_lo, s28
	s_and_saveexec_b32 s28, s12
	s_cbranch_execz .LBB6_5537
.LBB6_5536:                             ;   in Loop: Header=BB6_5278 Depth=2
	v_bfe_u32 v2, v49, 24, 2
	v_bfe_u32 v72, v49, 26, 5
	v_ffbh_u32_e32 v3, v2
	v_cmp_eq_u32_e32 vcc_lo, 0, v72
	v_min_u32_e32 v3, 32, v3
	v_subrev_nc_u32_e32 v42, 29, v3
	v_sub_nc_u32_e32 v3, 30, v3
	v_lshlrev_b32_sdwa v42, v42, v49 dst_sel:DWORD dst_unused:UNUSED_PAD src0_sel:DWORD src1_sel:BYTE_3
	v_cndmask_b32_e32 v3, v72, v3, vcc_lo
	v_and_b32_e32 v42, 3, v42
	v_lshl_add_u32 v3, v3, 23, 0x37800000
	v_cndmask_b32_e32 v2, v2, v42, vcc_lo
	v_and_b32_e32 v42, 0x80000000, v49
	v_lshlrev_b32_e32 v2, 21, v2
	v_or3_b32 v72, v42, v3, v2
.LBB6_5537:                             ;   in Loop: Header=BB6_5278 Depth=2
	s_or_b32 exec_lo, exec_lo, s28
	v_cmp_gt_i16_sdwa s28, v37, v43 src0_sel:BYTE_3 src1_sel:DWORD
	s_mov_b32 s12, 0
	s_and_saveexec_b32 s29, s28
	s_xor_b32 s28, exec_lo, s29
	s_cbranch_execz .LBB6_7638
; %bb.5538:                             ;   in Loop: Header=BB6_5278 Depth=2
	v_cmp_eq_u16_sdwa s40, v37, v44 src0_sel:BYTE_3 src1_sel:DWORD
	s_mov_b32 s12, -1
	s_and_saveexec_b32 s29, s40
; %bb.5539:                             ;   in Loop: Header=BB6_5278 Depth=2
	s_xor_b32 s12, exec_lo, -1
; %bb.5540:                             ;   in Loop: Header=BB6_5278 Depth=2
	s_or_b32 exec_lo, exec_lo, s29
	s_and_b32 s12, s12, exec_lo
	s_or_saveexec_b32 s28, s28
	v_mov_b32_e32 v2, 0x7f800001
	s_xor_b32 exec_lo, exec_lo, s28
	s_cbranch_execnz .LBB6_7639
.LBB6_5541:                             ;   in Loop: Header=BB6_5278 Depth=2
	s_or_b32 exec_lo, exec_lo, s28
	s_and_saveexec_b32 s28, s12
	s_cbranch_execz .LBB6_5543
.LBB6_5542:                             ;   in Loop: Header=BB6_5278 Depth=2
	v_bfe_u32 v2, v37, 24, 2
	v_bfe_u32 v73, v37, 26, 5
	v_ffbh_u32_e32 v3, v2
	v_cmp_eq_u32_e32 vcc_lo, 0, v73
	v_min_u32_e32 v3, 32, v3
	v_subrev_nc_u32_e32 v42, 29, v3
	v_sub_nc_u32_e32 v3, 30, v3
	v_lshlrev_b32_sdwa v42, v42, v37 dst_sel:DWORD dst_unused:UNUSED_PAD src0_sel:DWORD src1_sel:BYTE_3
	v_cndmask_b32_e32 v3, v73, v3, vcc_lo
	v_and_b32_e32 v42, 3, v42
	v_lshl_add_u32 v3, v3, 23, 0x37800000
	v_cndmask_b32_e32 v2, v2, v42, vcc_lo
	v_and_b32_e32 v42, 0x80000000, v37
	v_lshlrev_b32_e32 v2, 21, v2
	v_or3_b32 v2, v42, v3, v2
.LBB6_5543:                             ;   in Loop: Header=BB6_5278 Depth=2
	s_or_b32 exec_lo, exec_lo, s28
	v_max_f32_e32 v2, v2, v2
	v_max_f32_e32 v3, v72, v72
	s_mov_b32 s12, 0
	v_max_f32_e32 v72, v3, v2
.LBB6_5544:                             ;   in Loop: Header=BB6_5278 Depth=2
	s_and_b32 vcc_lo, exec_lo, s12
	s_cbranch_vccz .LBB6_5558
; %bb.5545:                             ;   in Loop: Header=BB6_5278 Depth=2
	v_cmp_gt_i16_sdwa s28, v49, v43 src0_sel:BYTE_3 src1_sel:DWORD
	s_mov_b32 s12, 0
	s_and_saveexec_b32 s29, s28
	s_xor_b32 s28, exec_lo, s29
	s_cbranch_execz .LBB6_7640
; %bb.5546:                             ;   in Loop: Header=BB6_5278 Depth=2
	v_cmp_eq_u16_sdwa s40, v49, v44 src0_sel:BYTE_3 src1_sel:DWORD
	s_mov_b32 s12, -1
	s_and_saveexec_b32 s29, s40
; %bb.5547:                             ;   in Loop: Header=BB6_5278 Depth=2
	s_xor_b32 s12, exec_lo, -1
; %bb.5548:                             ;   in Loop: Header=BB6_5278 Depth=2
	s_or_b32 exec_lo, exec_lo, s29
	s_and_b32 s12, s12, exec_lo
	s_or_saveexec_b32 s28, s28
	v_mov_b32_e32 v72, 0x7f800001
	s_xor_b32 exec_lo, exec_lo, s28
	s_cbranch_execnz .LBB6_7641
.LBB6_5549:                             ;   in Loop: Header=BB6_5278 Depth=2
	s_or_b32 exec_lo, exec_lo, s28
	s_and_saveexec_b32 s28, s12
	s_cbranch_execz .LBB6_5551
.LBB6_5550:                             ;   in Loop: Header=BB6_5278 Depth=2
	v_bfe_u32 v2, v49, 24, 2
	v_bfe_u32 v72, v49, 26, 5
	v_ffbh_u32_e32 v3, v2
	v_cmp_eq_u32_e32 vcc_lo, 0, v72
	v_min_u32_e32 v3, 32, v3
	v_subrev_nc_u32_e32 v42, 29, v3
	v_sub_nc_u32_e32 v3, 30, v3
	v_lshlrev_b32_sdwa v42, v42, v49 dst_sel:DWORD dst_unused:UNUSED_PAD src0_sel:DWORD src1_sel:BYTE_3
	v_cndmask_b32_e32 v3, v72, v3, vcc_lo
	v_and_b32_e32 v49, 0x80000000, v49
	v_and_b32_e32 v42, 3, v42
	v_lshl_add_u32 v3, v3, 23, 0x37800000
	v_cndmask_b32_e32 v2, v2, v42, vcc_lo
	v_lshlrev_b32_e32 v2, 21, v2
	v_or3_b32 v72, v49, v3, v2
.LBB6_5551:                             ;   in Loop: Header=BB6_5278 Depth=2
	s_or_b32 exec_lo, exec_lo, s28
	v_cmp_gt_i16_sdwa s28, v37, v43 src0_sel:BYTE_3 src1_sel:DWORD
	s_mov_b32 s12, 0
	s_and_saveexec_b32 s29, s28
	s_xor_b32 s28, exec_lo, s29
	s_cbranch_execz .LBB6_7642
; %bb.5552:                             ;   in Loop: Header=BB6_5278 Depth=2
	v_cmp_eq_u16_sdwa s40, v37, v44 src0_sel:BYTE_3 src1_sel:DWORD
	s_mov_b32 s12, -1
	s_and_saveexec_b32 s29, s40
; %bb.5553:                             ;   in Loop: Header=BB6_5278 Depth=2
	s_xor_b32 s12, exec_lo, -1
; %bb.5554:                             ;   in Loop: Header=BB6_5278 Depth=2
	s_or_b32 exec_lo, exec_lo, s29
	s_and_b32 s12, s12, exec_lo
	s_or_saveexec_b32 s28, s28
	v_mov_b32_e32 v2, 0x7f800001
	s_xor_b32 exec_lo, exec_lo, s28
	s_cbranch_execnz .LBB6_7643
.LBB6_5555:                             ;   in Loop: Header=BB6_5278 Depth=2
	s_or_b32 exec_lo, exec_lo, s28
	s_and_saveexec_b32 s28, s12
	s_cbranch_execz .LBB6_5557
.LBB6_5556:                             ;   in Loop: Header=BB6_5278 Depth=2
	v_bfe_u32 v2, v37, 24, 2
	v_bfe_u32 v42, v37, 26, 5
	v_ffbh_u32_e32 v3, v2
	v_cmp_eq_u32_e32 vcc_lo, 0, v42
	v_min_u32_e32 v3, 32, v3
	v_subrev_nc_u32_e32 v49, 29, v3
	v_sub_nc_u32_e32 v3, 30, v3
	v_lshlrev_b32_sdwa v49, v49, v37 dst_sel:DWORD dst_unused:UNUSED_PAD src0_sel:DWORD src1_sel:BYTE_3
	v_cndmask_b32_e32 v3, v42, v3, vcc_lo
	v_and_b32_e32 v37, 0x80000000, v37
	v_and_b32_e32 v49, 3, v49
	v_lshl_add_u32 v3, v3, 23, 0x37800000
	v_cndmask_b32_e32 v2, v2, v49, vcc_lo
	v_lshlrev_b32_e32 v2, 21, v2
	v_or3_b32 v2, v37, v3, v2
.LBB6_5557:                             ;   in Loop: Header=BB6_5278 Depth=2
	s_or_b32 exec_lo, exec_lo, s28
	v_max_f32_e32 v2, v2, v2
	v_max_f32_e32 v3, v72, v72
	v_min_f32_e32 v72, v3, v2
.LBB6_5558:                             ;   in Loop: Header=BB6_5278 Depth=2
	v_and_b32_e32 v2, 0x7f800000, v72
	v_mov_b32_e32 v37, 0x8000
	s_mov_b32 s28, exec_lo
	v_cmpx_ne_u32_e32 0x7f800000, v2
	s_cbranch_execz .LBB6_5566
; %bb.5559:                             ;   in Loop: Header=BB6_5278 Depth=2
	v_mov_b32_e32 v37, 0
	s_mov_b32 s29, exec_lo
	v_cmpx_ne_u32_e32 0, v72
	s_cbranch_execz .LBB6_5565
; %bb.5560:                             ;   in Loop: Header=BB6_5278 Depth=2
	v_bfe_u32 v2, v72, 23, 8
	v_and_b32_e32 v3, 0x7fffff, v72
	v_sub_nc_u32_e32 v37, 0x70, v2
	v_cmp_gt_u32_e32 vcc_lo, 0x71, v2
	v_or_b32_e32 v49, 0x800000, v3
	v_cndmask_b32_e32 v37, 0, v37, vcc_lo
	v_cmp_eq_u32_e32 vcc_lo, 0, v2
	v_add_nc_u32_e32 v2, 0xffffff91, v2
	v_cndmask_b32_e64 v37, v37, 0x6f, vcc_lo
	v_cndmask_b32_e32 v3, v49, v3, vcc_lo
	v_cndmask_b32_e64 v2, v2, 0xffffff92, vcc_lo
	v_lshl_add_u32 v42, 0x200000, v37, -1
	v_lshrrev_b32_e32 v49, v37, v3
	v_lshlrev_b32_e64 v74, v37, 0x100000
	v_add_nc_u32_e32 v2, v37, v2
	v_and_b32_e32 v3, v42, v3
	v_bfe_u32 v73, v49, 21, 1
	v_cmp_eq_u32_e64 s12, v3, v74
	v_add_nc_u32_e32 v42, -1, v73
	v_cndmask_b32_e64 v3, 0, v42, s12
	v_lshrrev_b32_e32 v42, 23, v49
	s_mov_b32 s12, exec_lo
	v_add_nc_u32_e32 v3, v3, v49
	v_and_b32_e32 v37, 0x1fffff, v3
	v_xor_b32_e32 v3, 1, v42
	v_add_nc_u32_e32 v49, v37, v49
                                        ; implicit-def: $vgpr37
	v_cmpx_ne_u32_e64 v2, v3
	s_xor_b32 s12, exec_lo, s12
; %bb.5561:                             ;   in Loop: Header=BB6_5278 Depth=2
	v_cmp_lt_u32_e32 vcc_lo, 0xffffff, v49
	v_sub_nc_u32_e32 v2, v2, v3
	v_cndmask_b32_e64 v3, 0, 1, vcc_lo
	v_add_co_ci_u32_e64 v37, null, 0, v2, vcc_lo
	v_lshrrev_b32_e32 v49, v3, v49
; %bb.5562:                             ;   in Loop: Header=BB6_5278 Depth=2
	s_andn2_saveexec_b32 s12, s12
; %bb.5563:                             ;   in Loop: Header=BB6_5278 Depth=2
	v_bfe_u32 v37, v49, 23, 1
; %bb.5564:                             ;   in Loop: Header=BB6_5278 Depth=2
	s_or_b32 exec_lo, exec_lo, s12
	v_lshrrev_b32_e32 v2, 21, v49
	v_min_i32_e32 v3, 31, v37
	v_cmp_gt_i32_e32 vcc_lo, 32, v37
	v_and_b32_sdwa v49, v72, v44 dst_sel:DWORD dst_unused:UNUSED_PAD src0_sel:BYTE_3 src1_sel:DWORD
	v_lshlrev_b32_e32 v3, 2, v3
	v_cndmask_b32_e32 v2, 3, v2, vcc_lo
	v_and_b32_e32 v3, 0xfc, v3
	v_and_b32_e32 v42, 3, v2
	v_or_b32_e32 v2, v37, v2
	v_or3_b32 v3, v49, v3, v42
	v_cmp_ne_u32_e32 vcc_lo, 0, v2
	v_lshlrev_b32_e32 v3, 8, v3
	v_cndmask_b32_e32 v37, 0, v3, vcc_lo
.LBB6_5565:                             ;   in Loop: Header=BB6_5278 Depth=2
	s_or_b32 exec_lo, exec_lo, s29
.LBB6_5566:                             ;   in Loop: Header=BB6_5278 Depth=2
	s_or_b32 exec_lo, exec_lo, s28
	v_cmp_gt_i16_sdwa s28, v50, v43 src0_sel:BYTE_0 src1_sel:DWORD
	s_and_b32 vcc_lo, exec_lo, s27
	s_mov_b32 s12, -1
                                        ; implicit-def: $vgpr72
	s_cbranch_vccz .LBB6_5580
; %bb.5567:                             ;   in Loop: Header=BB6_5278 Depth=2
	s_mov_b32 s12, 0
	s_and_saveexec_b32 s29, s28
	s_xor_b32 s28, exec_lo, s29
	s_cbranch_execz .LBB6_7644
; %bb.5568:                             ;   in Loop: Header=BB6_5278 Depth=2
	v_cmp_eq_u16_sdwa s40, v50, v44 src0_sel:BYTE_0 src1_sel:DWORD
	s_mov_b32 s12, -1
	s_and_saveexec_b32 s29, s40
; %bb.5569:                             ;   in Loop: Header=BB6_5278 Depth=2
	s_xor_b32 s12, exec_lo, -1
; %bb.5570:                             ;   in Loop: Header=BB6_5278 Depth=2
	s_or_b32 exec_lo, exec_lo, s29
	s_and_b32 s12, s12, exec_lo
	s_or_saveexec_b32 s28, s28
	v_mov_b32_e32 v49, 0x7f800001
	s_xor_b32 exec_lo, exec_lo, s28
	s_cbranch_execnz .LBB6_7645
.LBB6_5571:                             ;   in Loop: Header=BB6_5278 Depth=2
	s_or_b32 exec_lo, exec_lo, s28
	s_and_saveexec_b32 s28, s12
	s_cbranch_execz .LBB6_5573
.LBB6_5572:                             ;   in Loop: Header=BB6_5278 Depth=2
	v_and_b32_e32 v2, 3, v50
	v_bfe_u32 v42, v50, 2, 5
	v_lshlrev_b32_e32 v72, 24, v50
	v_ffbh_u32_e32 v3, v2
	v_cmp_eq_u32_e32 vcc_lo, 0, v42
	v_min_u32_e32 v3, 32, v3
	v_subrev_nc_u32_e32 v49, 29, v3
	v_sub_nc_u32_e32 v3, 30, v3
	v_lshlrev_b32_e32 v49, v49, v50
	v_cndmask_b32_e32 v3, v42, v3, vcc_lo
	v_and_b32_e32 v49, 3, v49
	v_lshl_add_u32 v3, v3, 23, 0x37800000
	v_cndmask_b32_e32 v2, v2, v49, vcc_lo
	v_and_b32_e32 v49, 0x80000000, v72
	v_lshlrev_b32_e32 v2, 21, v2
	v_or3_b32 v49, v49, v3, v2
.LBB6_5573:                             ;   in Loop: Header=BB6_5278 Depth=2
	s_or_b32 exec_lo, exec_lo, s28
	v_cmp_gt_i16_sdwa s28, v38, v43 src0_sel:BYTE_0 src1_sel:DWORD
	s_mov_b32 s12, 0
	s_and_saveexec_b32 s29, s28
	s_xor_b32 s28, exec_lo, s29
	s_cbranch_execz .LBB6_7646
; %bb.5574:                             ;   in Loop: Header=BB6_5278 Depth=2
	v_cmp_eq_u16_sdwa s40, v38, v44 src0_sel:BYTE_0 src1_sel:DWORD
	s_mov_b32 s12, -1
	s_and_saveexec_b32 s29, s40
; %bb.5575:                             ;   in Loop: Header=BB6_5278 Depth=2
	s_xor_b32 s12, exec_lo, -1
; %bb.5576:                             ;   in Loop: Header=BB6_5278 Depth=2
	s_or_b32 exec_lo, exec_lo, s29
	s_and_b32 s12, s12, exec_lo
	s_or_saveexec_b32 s28, s28
	v_mov_b32_e32 v2, 0x7f800001
	s_xor_b32 exec_lo, exec_lo, s28
	s_cbranch_execnz .LBB6_7647
.LBB6_5577:                             ;   in Loop: Header=BB6_5278 Depth=2
	s_or_b32 exec_lo, exec_lo, s28
	s_and_saveexec_b32 s28, s12
	s_cbranch_execz .LBB6_5579
.LBB6_5578:                             ;   in Loop: Header=BB6_5278 Depth=2
	v_and_b32_e32 v2, 3, v38
	v_bfe_u32 v72, v38, 2, 5
	v_lshlrev_b32_e32 v73, 24, v38
	v_ffbh_u32_e32 v3, v2
	v_cmp_eq_u32_e32 vcc_lo, 0, v72
	v_min_u32_e32 v3, 32, v3
	v_subrev_nc_u32_e32 v42, 29, v3
	v_sub_nc_u32_e32 v3, 30, v3
	v_lshlrev_b32_e32 v42, v42, v38
	v_cndmask_b32_e32 v3, v72, v3, vcc_lo
	v_and_b32_e32 v42, 3, v42
	v_lshl_add_u32 v3, v3, 23, 0x37800000
	v_cndmask_b32_e32 v2, v2, v42, vcc_lo
	v_and_b32_e32 v42, 0x80000000, v73
	v_lshlrev_b32_e32 v2, 21, v2
	v_or3_b32 v2, v42, v3, v2
.LBB6_5579:                             ;   in Loop: Header=BB6_5278 Depth=2
	s_or_b32 exec_lo, exec_lo, s28
	v_max_f32_e32 v2, v2, v2
	v_max_f32_e32 v3, v49, v49
	s_mov_b32 s12, 0
	v_max_f32_e32 v72, v3, v2
.LBB6_5580:                             ;   in Loop: Header=BB6_5278 Depth=2
	s_and_b32 vcc_lo, exec_lo, s12
	s_cbranch_vccz .LBB6_5594
; %bb.5581:                             ;   in Loop: Header=BB6_5278 Depth=2
	v_cmp_gt_i16_sdwa s28, v50, v43 src0_sel:BYTE_0 src1_sel:DWORD
	s_mov_b32 s12, 0
	s_and_saveexec_b32 s29, s28
	s_xor_b32 s28, exec_lo, s29
	s_cbranch_execz .LBB6_7648
; %bb.5582:                             ;   in Loop: Header=BB6_5278 Depth=2
	v_cmp_eq_u16_sdwa s40, v50, v44 src0_sel:BYTE_0 src1_sel:DWORD
	s_mov_b32 s12, -1
	s_and_saveexec_b32 s29, s40
; %bb.5583:                             ;   in Loop: Header=BB6_5278 Depth=2
	s_xor_b32 s12, exec_lo, -1
; %bb.5584:                             ;   in Loop: Header=BB6_5278 Depth=2
	s_or_b32 exec_lo, exec_lo, s29
	s_and_b32 s12, s12, exec_lo
	s_or_saveexec_b32 s28, s28
	v_mov_b32_e32 v49, 0x7f800001
	s_xor_b32 exec_lo, exec_lo, s28
	s_cbranch_execnz .LBB6_7649
.LBB6_5585:                             ;   in Loop: Header=BB6_5278 Depth=2
	s_or_b32 exec_lo, exec_lo, s28
	s_and_saveexec_b32 s28, s12
	s_cbranch_execz .LBB6_5587
.LBB6_5586:                             ;   in Loop: Header=BB6_5278 Depth=2
	v_and_b32_e32 v2, 3, v50
	v_bfe_u32 v42, v50, 2, 5
	v_lshlrev_b32_e32 v72, 24, v50
	v_ffbh_u32_e32 v3, v2
	v_cmp_eq_u32_e32 vcc_lo, 0, v42
	v_min_u32_e32 v3, 32, v3
	v_subrev_nc_u32_e32 v49, 29, v3
	v_sub_nc_u32_e32 v3, 30, v3
	v_lshlrev_b32_e32 v49, v49, v50
	v_cndmask_b32_e32 v3, v42, v3, vcc_lo
	v_and_b32_e32 v49, 3, v49
	v_lshl_add_u32 v3, v3, 23, 0x37800000
	v_cndmask_b32_e32 v2, v2, v49, vcc_lo
	v_and_b32_e32 v49, 0x80000000, v72
	v_lshlrev_b32_e32 v2, 21, v2
	v_or3_b32 v49, v49, v3, v2
.LBB6_5587:                             ;   in Loop: Header=BB6_5278 Depth=2
	s_or_b32 exec_lo, exec_lo, s28
	v_cmp_gt_i16_sdwa s28, v38, v43 src0_sel:BYTE_0 src1_sel:DWORD
	s_mov_b32 s12, 0
	s_and_saveexec_b32 s29, s28
	s_xor_b32 s28, exec_lo, s29
	s_cbranch_execz .LBB6_7650
; %bb.5588:                             ;   in Loop: Header=BB6_5278 Depth=2
	v_cmp_eq_u16_sdwa s40, v38, v44 src0_sel:BYTE_0 src1_sel:DWORD
	s_mov_b32 s12, -1
	s_and_saveexec_b32 s29, s40
; %bb.5589:                             ;   in Loop: Header=BB6_5278 Depth=2
	s_xor_b32 s12, exec_lo, -1
; %bb.5590:                             ;   in Loop: Header=BB6_5278 Depth=2
	s_or_b32 exec_lo, exec_lo, s29
	s_and_b32 s12, s12, exec_lo
	s_or_saveexec_b32 s28, s28
	v_mov_b32_e32 v2, 0x7f800001
	s_xor_b32 exec_lo, exec_lo, s28
	s_cbranch_execnz .LBB6_7651
.LBB6_5591:                             ;   in Loop: Header=BB6_5278 Depth=2
	s_or_b32 exec_lo, exec_lo, s28
	s_and_saveexec_b32 s28, s12
	s_cbranch_execz .LBB6_5593
.LBB6_5592:                             ;   in Loop: Header=BB6_5278 Depth=2
	v_and_b32_e32 v2, 3, v38
	v_bfe_u32 v72, v38, 2, 5
	v_lshlrev_b32_e32 v73, 24, v38
	v_ffbh_u32_e32 v3, v2
	v_cmp_eq_u32_e32 vcc_lo, 0, v72
	v_min_u32_e32 v3, 32, v3
	v_subrev_nc_u32_e32 v42, 29, v3
	v_sub_nc_u32_e32 v3, 30, v3
	v_lshlrev_b32_e32 v42, v42, v38
	v_cndmask_b32_e32 v3, v72, v3, vcc_lo
	v_and_b32_e32 v42, 3, v42
	v_lshl_add_u32 v3, v3, 23, 0x37800000
	v_cndmask_b32_e32 v2, v2, v42, vcc_lo
	v_and_b32_e32 v42, 0x80000000, v73
	v_lshlrev_b32_e32 v2, 21, v2
	v_or3_b32 v2, v42, v3, v2
.LBB6_5593:                             ;   in Loop: Header=BB6_5278 Depth=2
	s_or_b32 exec_lo, exec_lo, s28
	v_max_f32_e32 v2, v2, v2
	v_max_f32_e32 v3, v49, v49
	v_min_f32_e32 v72, v3, v2
.LBB6_5594:                             ;   in Loop: Header=BB6_5278 Depth=2
	v_and_b32_e32 v2, 0x7f800000, v72
	v_mov_b32_e32 v49, 0x80
	s_mov_b32 s28, exec_lo
	v_cmpx_ne_u32_e32 0x7f800000, v2
	s_cbranch_execz .LBB6_5602
; %bb.5595:                             ;   in Loop: Header=BB6_5278 Depth=2
	v_mov_b32_e32 v49, 0
	s_mov_b32 s29, exec_lo
	v_cmpx_ne_u32_e32 0, v72
	s_cbranch_execz .LBB6_5601
; %bb.5596:                             ;   in Loop: Header=BB6_5278 Depth=2
	v_bfe_u32 v2, v72, 23, 8
	v_and_b32_e32 v3, 0x7fffff, v72
	v_sub_nc_u32_e32 v49, 0x70, v2
	v_cmp_gt_u32_e32 vcc_lo, 0x71, v2
	v_or_b32_e32 v42, 0x800000, v3
	v_cndmask_b32_e32 v49, 0, v49, vcc_lo
	v_cmp_eq_u32_e32 vcc_lo, 0, v2
	v_add_nc_u32_e32 v2, 0xffffff91, v2
	v_cndmask_b32_e64 v49, v49, 0x6f, vcc_lo
	v_cndmask_b32_e32 v3, v42, v3, vcc_lo
	v_cndmask_b32_e64 v2, v2, 0xffffff92, vcc_lo
	v_lshl_add_u32 v73, 0x200000, v49, -1
	v_lshrrev_b32_e32 v42, v49, v3
	v_lshlrev_b32_e64 v75, v49, 0x100000
	v_add_nc_u32_e32 v2, v49, v2
	v_and_b32_e32 v3, v73, v3
	v_bfe_u32 v74, v42, 21, 1
	v_cmp_eq_u32_e64 s12, v3, v75
	v_add_nc_u32_e32 v73, -1, v74
	v_cndmask_b32_e64 v3, 0, v73, s12
	v_lshrrev_b32_e32 v73, 23, v42
	s_mov_b32 s12, exec_lo
	v_add_nc_u32_e32 v3, v3, v42
	v_and_b32_e32 v49, 0x1fffff, v3
	v_xor_b32_e32 v3, 1, v73
	v_add_nc_u32_e32 v73, v49, v42
                                        ; implicit-def: $vgpr49
	v_cmpx_ne_u32_e64 v2, v3
	s_xor_b32 s12, exec_lo, s12
; %bb.5597:                             ;   in Loop: Header=BB6_5278 Depth=2
	v_cmp_lt_u32_e32 vcc_lo, 0xffffff, v73
	v_sub_nc_u32_e32 v2, v2, v3
	v_cndmask_b32_e64 v3, 0, 1, vcc_lo
	v_add_co_ci_u32_e64 v49, null, 0, v2, vcc_lo
	v_lshrrev_b32_e32 v73, v3, v73
; %bb.5598:                             ;   in Loop: Header=BB6_5278 Depth=2
	s_andn2_saveexec_b32 s12, s12
; %bb.5599:                             ;   in Loop: Header=BB6_5278 Depth=2
	v_bfe_u32 v49, v73, 23, 1
; %bb.5600:                             ;   in Loop: Header=BB6_5278 Depth=2
	s_or_b32 exec_lo, exec_lo, s12
	v_lshrrev_b32_e32 v2, 21, v73
	v_min_i32_e32 v3, 31, v49
	v_cmp_gt_i32_e32 vcc_lo, 32, v49
	v_and_b32_sdwa v42, v72, v44 dst_sel:DWORD dst_unused:UNUSED_PAD src0_sel:BYTE_3 src1_sel:DWORD
	v_lshlrev_b32_e32 v3, 2, v3
	v_cndmask_b32_e32 v2, 3, v2, vcc_lo
	v_and_b32_e32 v3, 0xfc, v3
	v_and_b32_e32 v72, 3, v2
	v_or_b32_e32 v2, v49, v2
	v_or3_b32 v3, v3, v42, v72
	v_cmp_ne_u32_e32 vcc_lo, 0, v2
	v_cndmask_b32_e32 v49, 0, v3, vcc_lo
.LBB6_5601:                             ;   in Loop: Header=BB6_5278 Depth=2
	s_or_b32 exec_lo, exec_lo, s29
.LBB6_5602:                             ;   in Loop: Header=BB6_5278 Depth=2
	s_or_b32 exec_lo, exec_lo, s28
	v_cmp_gt_i16_sdwa s28, v50, v43 src0_sel:BYTE_1 src1_sel:DWORD
	s_and_b32 vcc_lo, exec_lo, s27
	s_mov_b32 s12, -1
                                        ; implicit-def: $vgpr73
	s_cbranch_vccz .LBB6_5616
; %bb.5603:                             ;   in Loop: Header=BB6_5278 Depth=2
	s_mov_b32 s12, 0
	s_and_saveexec_b32 s29, s28
	s_xor_b32 s28, exec_lo, s29
	s_cbranch_execz .LBB6_7652
; %bb.5604:                             ;   in Loop: Header=BB6_5278 Depth=2
	v_cmp_eq_u16_sdwa s40, v50, v44 src0_sel:BYTE_1 src1_sel:DWORD
	s_mov_b32 s12, -1
	s_and_saveexec_b32 s29, s40
; %bb.5605:                             ;   in Loop: Header=BB6_5278 Depth=2
	s_xor_b32 s12, exec_lo, -1
; %bb.5606:                             ;   in Loop: Header=BB6_5278 Depth=2
	s_or_b32 exec_lo, exec_lo, s29
	s_and_b32 s12, s12, exec_lo
	s_or_saveexec_b32 s28, s28
	v_mov_b32_e32 v72, 0x7f800001
	s_xor_b32 exec_lo, exec_lo, s28
	s_cbranch_execnz .LBB6_7653
.LBB6_5607:                             ;   in Loop: Header=BB6_5278 Depth=2
	s_or_b32 exec_lo, exec_lo, s28
	s_and_saveexec_b32 s28, s12
	s_cbranch_execz .LBB6_5609
.LBB6_5608:                             ;   in Loop: Header=BB6_5278 Depth=2
	v_and_b32_sdwa v2, v45, v50 dst_sel:DWORD dst_unused:UNUSED_PAD src0_sel:DWORD src1_sel:BYTE_1
	v_and_b32_e32 v3, 3, v2
	v_bfe_u32 v73, v2, 2, 5
	v_ffbh_u32_e32 v42, v3
	v_cmp_eq_u32_e32 vcc_lo, 0, v73
	v_min_u32_e32 v42, 32, v42
	v_subrev_nc_u32_e32 v72, 29, v42
	v_sub_nc_u32_e32 v42, 30, v42
	v_lshlrev_b32_e32 v2, v72, v2
	v_lshlrev_b32_e32 v72, 16, v50
	v_cndmask_b32_e32 v42, v73, v42, vcc_lo
	v_and_b32_e32 v2, 3, v2
	v_lshl_add_u32 v42, v42, 23, 0x37800000
	v_cndmask_b32_e32 v2, v3, v2, vcc_lo
	v_and_b32_e32 v3, 0x80000000, v72
	v_lshlrev_b32_e32 v2, 21, v2
	v_or3_b32 v72, v3, v42, v2
.LBB6_5609:                             ;   in Loop: Header=BB6_5278 Depth=2
	s_or_b32 exec_lo, exec_lo, s28
	v_cmp_gt_i16_sdwa s28, v38, v43 src0_sel:BYTE_1 src1_sel:DWORD
	s_mov_b32 s12, 0
	s_and_saveexec_b32 s29, s28
	s_xor_b32 s28, exec_lo, s29
	s_cbranch_execz .LBB6_7654
; %bb.5610:                             ;   in Loop: Header=BB6_5278 Depth=2
	v_cmp_eq_u16_sdwa s40, v38, v44 src0_sel:BYTE_1 src1_sel:DWORD
	s_mov_b32 s12, -1
	s_and_saveexec_b32 s29, s40
; %bb.5611:                             ;   in Loop: Header=BB6_5278 Depth=2
	s_xor_b32 s12, exec_lo, -1
; %bb.5612:                             ;   in Loop: Header=BB6_5278 Depth=2
	s_or_b32 exec_lo, exec_lo, s29
	s_and_b32 s12, s12, exec_lo
	s_or_saveexec_b32 s28, s28
	v_mov_b32_e32 v2, 0x7f800001
	s_xor_b32 exec_lo, exec_lo, s28
	s_cbranch_execnz .LBB6_7655
.LBB6_5613:                             ;   in Loop: Header=BB6_5278 Depth=2
	s_or_b32 exec_lo, exec_lo, s28
	s_and_saveexec_b32 s28, s12
	s_cbranch_execz .LBB6_5615
.LBB6_5614:                             ;   in Loop: Header=BB6_5278 Depth=2
	v_and_b32_sdwa v2, v45, v38 dst_sel:DWORD dst_unused:UNUSED_PAD src0_sel:DWORD src1_sel:BYTE_1
	v_and_b32_e32 v3, 3, v2
	v_bfe_u32 v74, v2, 2, 5
	v_ffbh_u32_e32 v42, v3
	v_cmp_eq_u32_e32 vcc_lo, 0, v74
	v_min_u32_e32 v42, 32, v42
	v_subrev_nc_u32_e32 v73, 29, v42
	v_sub_nc_u32_e32 v42, 30, v42
	v_lshlrev_b32_e32 v2, v73, v2
	v_lshlrev_b32_e32 v73, 16, v38
	v_cndmask_b32_e32 v42, v74, v42, vcc_lo
	v_and_b32_e32 v2, 3, v2
	v_lshl_add_u32 v42, v42, 23, 0x37800000
	v_cndmask_b32_e32 v2, v3, v2, vcc_lo
	v_and_b32_e32 v3, 0x80000000, v73
	v_lshlrev_b32_e32 v2, 21, v2
	v_or3_b32 v2, v3, v42, v2
.LBB6_5615:                             ;   in Loop: Header=BB6_5278 Depth=2
	s_or_b32 exec_lo, exec_lo, s28
	v_max_f32_e32 v2, v2, v2
	v_max_f32_e32 v3, v72, v72
	s_mov_b32 s12, 0
	v_max_f32_e32 v73, v3, v2
.LBB6_5616:                             ;   in Loop: Header=BB6_5278 Depth=2
	s_and_b32 vcc_lo, exec_lo, s12
	s_cbranch_vccz .LBB6_5630
; %bb.5617:                             ;   in Loop: Header=BB6_5278 Depth=2
	v_cmp_gt_i16_sdwa s28, v50, v43 src0_sel:BYTE_1 src1_sel:DWORD
	s_mov_b32 s12, 0
	s_and_saveexec_b32 s29, s28
	s_xor_b32 s28, exec_lo, s29
	s_cbranch_execz .LBB6_7656
; %bb.5618:                             ;   in Loop: Header=BB6_5278 Depth=2
	v_cmp_eq_u16_sdwa s40, v50, v44 src0_sel:BYTE_1 src1_sel:DWORD
	s_mov_b32 s12, -1
	s_and_saveexec_b32 s29, s40
; %bb.5619:                             ;   in Loop: Header=BB6_5278 Depth=2
	s_xor_b32 s12, exec_lo, -1
; %bb.5620:                             ;   in Loop: Header=BB6_5278 Depth=2
	s_or_b32 exec_lo, exec_lo, s29
	s_and_b32 s12, s12, exec_lo
	s_or_saveexec_b32 s28, s28
	v_mov_b32_e32 v72, 0x7f800001
	s_xor_b32 exec_lo, exec_lo, s28
	s_cbranch_execnz .LBB6_7657
.LBB6_5621:                             ;   in Loop: Header=BB6_5278 Depth=2
	s_or_b32 exec_lo, exec_lo, s28
	s_and_saveexec_b32 s28, s12
	s_cbranch_execz .LBB6_5623
.LBB6_5622:                             ;   in Loop: Header=BB6_5278 Depth=2
	v_and_b32_sdwa v2, v45, v50 dst_sel:DWORD dst_unused:UNUSED_PAD src0_sel:DWORD src1_sel:BYTE_1
	v_and_b32_e32 v3, 3, v2
	v_bfe_u32 v73, v2, 2, 5
	v_ffbh_u32_e32 v42, v3
	v_cmp_eq_u32_e32 vcc_lo, 0, v73
	v_min_u32_e32 v42, 32, v42
	v_subrev_nc_u32_e32 v72, 29, v42
	v_sub_nc_u32_e32 v42, 30, v42
	v_lshlrev_b32_e32 v2, v72, v2
	v_lshlrev_b32_e32 v72, 16, v50
	v_cndmask_b32_e32 v42, v73, v42, vcc_lo
	v_and_b32_e32 v2, 3, v2
	v_lshl_add_u32 v42, v42, 23, 0x37800000
	v_cndmask_b32_e32 v2, v3, v2, vcc_lo
	v_and_b32_e32 v3, 0x80000000, v72
	v_lshlrev_b32_e32 v2, 21, v2
	v_or3_b32 v72, v3, v42, v2
.LBB6_5623:                             ;   in Loop: Header=BB6_5278 Depth=2
	s_or_b32 exec_lo, exec_lo, s28
	v_cmp_gt_i16_sdwa s28, v38, v43 src0_sel:BYTE_1 src1_sel:DWORD
	s_mov_b32 s12, 0
	s_and_saveexec_b32 s29, s28
	s_xor_b32 s28, exec_lo, s29
	s_cbranch_execz .LBB6_7658
; %bb.5624:                             ;   in Loop: Header=BB6_5278 Depth=2
	v_cmp_eq_u16_sdwa s40, v38, v44 src0_sel:BYTE_1 src1_sel:DWORD
	s_mov_b32 s12, -1
	s_and_saveexec_b32 s29, s40
; %bb.5625:                             ;   in Loop: Header=BB6_5278 Depth=2
	s_xor_b32 s12, exec_lo, -1
; %bb.5626:                             ;   in Loop: Header=BB6_5278 Depth=2
	s_or_b32 exec_lo, exec_lo, s29
	s_and_b32 s12, s12, exec_lo
	s_or_saveexec_b32 s28, s28
	v_mov_b32_e32 v2, 0x7f800001
	s_xor_b32 exec_lo, exec_lo, s28
	s_cbranch_execnz .LBB6_7659
.LBB6_5627:                             ;   in Loop: Header=BB6_5278 Depth=2
	s_or_b32 exec_lo, exec_lo, s28
	s_and_saveexec_b32 s28, s12
	s_cbranch_execz .LBB6_5629
.LBB6_5628:                             ;   in Loop: Header=BB6_5278 Depth=2
	v_and_b32_sdwa v2, v45, v38 dst_sel:DWORD dst_unused:UNUSED_PAD src0_sel:DWORD src1_sel:BYTE_1
	v_and_b32_e32 v3, 3, v2
	v_bfe_u32 v74, v2, 2, 5
	v_ffbh_u32_e32 v42, v3
	v_cmp_eq_u32_e32 vcc_lo, 0, v74
	v_min_u32_e32 v42, 32, v42
	v_subrev_nc_u32_e32 v73, 29, v42
	v_sub_nc_u32_e32 v42, 30, v42
	v_lshlrev_b32_e32 v2, v73, v2
	v_lshlrev_b32_e32 v73, 16, v38
	v_cndmask_b32_e32 v42, v74, v42, vcc_lo
	v_and_b32_e32 v2, 3, v2
	v_lshl_add_u32 v42, v42, 23, 0x37800000
	v_cndmask_b32_e32 v2, v3, v2, vcc_lo
	v_and_b32_e32 v3, 0x80000000, v73
	v_lshlrev_b32_e32 v2, 21, v2
	v_or3_b32 v2, v3, v42, v2
.LBB6_5629:                             ;   in Loop: Header=BB6_5278 Depth=2
	s_or_b32 exec_lo, exec_lo, s28
	v_max_f32_e32 v2, v2, v2
	v_max_f32_e32 v3, v72, v72
	v_min_f32_e32 v73, v3, v2
.LBB6_5630:                             ;   in Loop: Header=BB6_5278 Depth=2
	v_and_b32_e32 v2, 0x7f800000, v73
	v_mov_b32_e32 v72, 0x8000
	s_mov_b32 s28, exec_lo
	v_cmpx_ne_u32_e32 0x7f800000, v2
	s_cbranch_execz .LBB6_5638
; %bb.5631:                             ;   in Loop: Header=BB6_5278 Depth=2
	v_mov_b32_e32 v72, 0
	s_mov_b32 s29, exec_lo
	v_cmpx_ne_u32_e32 0, v73
	s_cbranch_execz .LBB6_5637
; %bb.5632:                             ;   in Loop: Header=BB6_5278 Depth=2
	v_bfe_u32 v2, v73, 23, 8
	v_and_b32_e32 v3, 0x7fffff, v73
	v_sub_nc_u32_e32 v42, 0x70, v2
	v_cmp_gt_u32_e32 vcc_lo, 0x71, v2
	v_or_b32_e32 v72, 0x800000, v3
	v_cndmask_b32_e32 v42, 0, v42, vcc_lo
	v_cmp_eq_u32_e32 vcc_lo, 0, v2
	v_add_nc_u32_e32 v2, 0xffffff91, v2
	v_cndmask_b32_e64 v42, v42, 0x6f, vcc_lo
	v_cndmask_b32_e32 v3, v72, v3, vcc_lo
	v_cndmask_b32_e64 v2, v2, 0xffffff92, vcc_lo
	v_lshl_add_u32 v74, 0x200000, v42, -1
	v_lshrrev_b32_e32 v72, v42, v3
	v_lshlrev_b32_e64 v76, v42, 0x100000
	v_add_nc_u32_e32 v2, v42, v2
	v_and_b32_e32 v3, v74, v3
	v_bfe_u32 v75, v72, 21, 1
	v_cmp_eq_u32_e64 s12, v3, v76
	v_add_nc_u32_e32 v74, -1, v75
	v_cndmask_b32_e64 v3, 0, v74, s12
	v_lshrrev_b32_e32 v74, 23, v72
	s_mov_b32 s12, exec_lo
	v_add_nc_u32_e32 v3, v3, v72
	v_and_b32_e32 v42, 0x1fffff, v3
	v_xor_b32_e32 v3, 1, v74
	v_add_nc_u32_e32 v74, v42, v72
                                        ; implicit-def: $vgpr72
	v_cmpx_ne_u32_e64 v2, v3
	s_xor_b32 s12, exec_lo, s12
; %bb.5633:                             ;   in Loop: Header=BB6_5278 Depth=2
	v_cmp_lt_u32_e32 vcc_lo, 0xffffff, v74
	v_sub_nc_u32_e32 v2, v2, v3
	v_cndmask_b32_e64 v3, 0, 1, vcc_lo
	v_add_co_ci_u32_e64 v72, null, 0, v2, vcc_lo
	v_lshrrev_b32_e32 v74, v3, v74
; %bb.5634:                             ;   in Loop: Header=BB6_5278 Depth=2
	s_andn2_saveexec_b32 s12, s12
; %bb.5635:                             ;   in Loop: Header=BB6_5278 Depth=2
	v_bfe_u32 v72, v74, 23, 1
; %bb.5636:                             ;   in Loop: Header=BB6_5278 Depth=2
	s_or_b32 exec_lo, exec_lo, s12
	v_lshrrev_b32_e32 v2, 21, v74
	v_min_i32_e32 v3, 31, v72
	v_cmp_gt_i32_e32 vcc_lo, 32, v72
	v_and_b32_sdwa v42, v73, v44 dst_sel:DWORD dst_unused:UNUSED_PAD src0_sel:BYTE_3 src1_sel:DWORD
	v_lshlrev_b32_e32 v3, 2, v3
	v_cndmask_b32_e32 v2, 3, v2, vcc_lo
	v_and_b32_e32 v3, 0xfc, v3
	v_and_b32_e32 v73, 3, v2
	v_or_b32_e32 v2, v72, v2
	v_or3_b32 v3, v42, v3, v73
	v_cmp_ne_u32_e32 vcc_lo, 0, v2
	v_lshlrev_b32_e32 v3, 8, v3
	v_cndmask_b32_e32 v72, 0, v3, vcc_lo
.LBB6_5637:                             ;   in Loop: Header=BB6_5278 Depth=2
	s_or_b32 exec_lo, exec_lo, s29
.LBB6_5638:                             ;   in Loop: Header=BB6_5278 Depth=2
	s_or_b32 exec_lo, exec_lo, s28
	v_and_b32_sdwa v73, v50, v46 dst_sel:DWORD dst_unused:UNUSED_PAD src0_sel:WORD_1 src1_sel:DWORD
	s_and_b32 vcc_lo, exec_lo, s27
	s_mov_b32 s28, -1
                                        ; implicit-def: $vgpr74
	v_cmp_lt_i16_e64 s12, 0x7f, v73
	s_cbranch_vccz .LBB6_5652
; %bb.5639:                             ;   in Loop: Header=BB6_5278 Depth=2
	s_mov_b32 s28, 0
	s_and_saveexec_b32 s29, s12
	s_xor_b32 s12, exec_lo, s29
	s_cbranch_execz .LBB6_7660
; %bb.5640:                             ;   in Loop: Header=BB6_5278 Depth=2
	s_mov_b32 s28, -1
	s_mov_b32 s29, exec_lo
	v_cmpx_eq_u16_e32 0x80, v73
; %bb.5641:                             ;   in Loop: Header=BB6_5278 Depth=2
	s_xor_b32 s28, exec_lo, -1
; %bb.5642:                             ;   in Loop: Header=BB6_5278 Depth=2
	s_or_b32 exec_lo, exec_lo, s29
	s_and_b32 s28, s28, exec_lo
	s_or_saveexec_b32 s12, s12
	v_mov_b32_e32 v74, 0x7f800001
	s_xor_b32 exec_lo, exec_lo, s12
	s_cbranch_execnz .LBB6_7661
.LBB6_5643:                             ;   in Loop: Header=BB6_5278 Depth=2
	s_or_b32 exec_lo, exec_lo, s12
	s_and_saveexec_b32 s12, s28
	s_cbranch_execz .LBB6_5645
.LBB6_5644:                             ;   in Loop: Header=BB6_5278 Depth=2
	v_bfe_u32 v2, v50, 16, 2
	v_bfe_u32 v74, v50, 18, 5
	v_lshlrev_b32_sdwa v75, v47, v50 dst_sel:DWORD dst_unused:UNUSED_PAD src0_sel:DWORD src1_sel:WORD_1
	v_ffbh_u32_e32 v3, v2
	v_cmp_eq_u32_e32 vcc_lo, 0, v74
	v_min_u32_e32 v3, 32, v3
	v_subrev_nc_u32_e32 v42, 29, v3
	v_sub_nc_u32_e32 v3, 30, v3
	v_lshlrev_b32_sdwa v42, v42, v50 dst_sel:DWORD dst_unused:UNUSED_PAD src0_sel:DWORD src1_sel:WORD_1
	v_cndmask_b32_e32 v3, v74, v3, vcc_lo
	v_and_b32_e32 v42, 3, v42
	v_lshl_add_u32 v3, v3, 23, 0x37800000
	v_cndmask_b32_e32 v2, v2, v42, vcc_lo
	v_and_b32_e32 v42, 0x80000000, v75
	v_lshlrev_b32_e32 v2, 21, v2
	v_or3_b32 v74, v42, v3, v2
.LBB6_5645:                             ;   in Loop: Header=BB6_5278 Depth=2
	s_or_b32 exec_lo, exec_lo, s12
	v_and_b32_sdwa v3, v38, v46 dst_sel:DWORD dst_unused:UNUSED_PAD src0_sel:WORD_1 src1_sel:DWORD
	s_mov_b32 s12, 0
	s_mov_b32 s28, exec_lo
	v_cmpx_lt_i16_e32 0x7f, v3
	s_xor_b32 s28, exec_lo, s28
	s_cbranch_execz .LBB6_7662
; %bb.5646:                             ;   in Loop: Header=BB6_5278 Depth=2
	s_mov_b32 s12, -1
	s_mov_b32 s29, exec_lo
	v_cmpx_eq_u16_e32 0x80, v3
; %bb.5647:                             ;   in Loop: Header=BB6_5278 Depth=2
	s_xor_b32 s12, exec_lo, -1
; %bb.5648:                             ;   in Loop: Header=BB6_5278 Depth=2
	s_or_b32 exec_lo, exec_lo, s29
	s_and_b32 s12, s12, exec_lo
                                        ; implicit-def: $vgpr3
	s_or_saveexec_b32 s28, s28
	v_mov_b32_e32 v2, 0x7f800001
	s_xor_b32 exec_lo, exec_lo, s28
	s_cbranch_execnz .LBB6_7663
.LBB6_5649:                             ;   in Loop: Header=BB6_5278 Depth=2
	s_or_b32 exec_lo, exec_lo, s28
	s_and_saveexec_b32 s28, s12
	s_cbranch_execz .LBB6_5651
.LBB6_5650:                             ;   in Loop: Header=BB6_5278 Depth=2
	v_bfe_u32 v2, v38, 16, 2
	v_bfe_u32 v75, v38, 18, 5
	v_lshlrev_b32_sdwa v76, v47, v38 dst_sel:DWORD dst_unused:UNUSED_PAD src0_sel:DWORD src1_sel:WORD_1
	v_ffbh_u32_e32 v3, v2
	v_cmp_eq_u32_e32 vcc_lo, 0, v75
	v_min_u32_e32 v3, 32, v3
	v_subrev_nc_u32_e32 v42, 29, v3
	v_sub_nc_u32_e32 v3, 30, v3
	v_lshlrev_b32_sdwa v42, v42, v38 dst_sel:DWORD dst_unused:UNUSED_PAD src0_sel:DWORD src1_sel:WORD_1
	v_cndmask_b32_e32 v3, v75, v3, vcc_lo
	v_and_b32_e32 v42, 3, v42
	v_lshl_add_u32 v3, v3, 23, 0x37800000
	v_cndmask_b32_e32 v2, v2, v42, vcc_lo
	v_and_b32_e32 v42, 0x80000000, v76
	v_lshlrev_b32_e32 v2, 21, v2
	v_or3_b32 v2, v42, v3, v2
.LBB6_5651:                             ;   in Loop: Header=BB6_5278 Depth=2
	s_or_b32 exec_lo, exec_lo, s28
	v_max_f32_e32 v2, v2, v2
	v_max_f32_e32 v3, v74, v74
	s_mov_b32 s28, 0
	v_max_f32_e32 v74, v3, v2
.LBB6_5652:                             ;   in Loop: Header=BB6_5278 Depth=2
	s_and_b32 vcc_lo, exec_lo, s28
	s_cbranch_vccz .LBB6_5666
; %bb.5653:                             ;   in Loop: Header=BB6_5278 Depth=2
	s_mov_b32 s12, 0
	s_mov_b32 s28, exec_lo
	v_cmpx_lt_i16_e32 0x7f, v73
	s_xor_b32 s28, exec_lo, s28
	s_cbranch_execz .LBB6_7664
; %bb.5654:                             ;   in Loop: Header=BB6_5278 Depth=2
	s_mov_b32 s12, -1
	s_mov_b32 s29, exec_lo
	v_cmpx_eq_u16_e32 0x80, v73
; %bb.5655:                             ;   in Loop: Header=BB6_5278 Depth=2
	s_xor_b32 s12, exec_lo, -1
; %bb.5656:                             ;   in Loop: Header=BB6_5278 Depth=2
	s_or_b32 exec_lo, exec_lo, s29
	s_and_b32 s12, s12, exec_lo
                                        ; implicit-def: $vgpr73
	s_or_saveexec_b32 s28, s28
	v_mov_b32_e32 v74, 0x7f800001
	s_xor_b32 exec_lo, exec_lo, s28
	s_cbranch_execnz .LBB6_7665
.LBB6_5657:                             ;   in Loop: Header=BB6_5278 Depth=2
	s_or_b32 exec_lo, exec_lo, s28
	s_and_saveexec_b32 s28, s12
	s_cbranch_execz .LBB6_5659
.LBB6_5658:                             ;   in Loop: Header=BB6_5278 Depth=2
	v_bfe_u32 v2, v50, 16, 2
	v_bfe_u32 v73, v50, 18, 5
	v_lshlrev_b32_sdwa v74, v47, v50 dst_sel:DWORD dst_unused:UNUSED_PAD src0_sel:DWORD src1_sel:WORD_1
	v_ffbh_u32_e32 v3, v2
	v_cmp_eq_u32_e32 vcc_lo, 0, v73
	v_min_u32_e32 v3, 32, v3
	v_subrev_nc_u32_e32 v42, 29, v3
	v_sub_nc_u32_e32 v3, 30, v3
	v_lshlrev_b32_sdwa v42, v42, v50 dst_sel:DWORD dst_unused:UNUSED_PAD src0_sel:DWORD src1_sel:WORD_1
	v_cndmask_b32_e32 v3, v73, v3, vcc_lo
	v_and_b32_e32 v42, 3, v42
	v_lshl_add_u32 v3, v3, 23, 0x37800000
	v_cndmask_b32_e32 v2, v2, v42, vcc_lo
	v_and_b32_e32 v42, 0x80000000, v74
	v_lshlrev_b32_e32 v2, 21, v2
	v_or3_b32 v74, v42, v3, v2
.LBB6_5659:                             ;   in Loop: Header=BB6_5278 Depth=2
	s_or_b32 exec_lo, exec_lo, s28
	v_and_b32_sdwa v3, v38, v46 dst_sel:DWORD dst_unused:UNUSED_PAD src0_sel:WORD_1 src1_sel:DWORD
	s_mov_b32 s12, 0
	s_mov_b32 s28, exec_lo
	v_cmpx_lt_i16_e32 0x7f, v3
	s_xor_b32 s28, exec_lo, s28
	s_cbranch_execz .LBB6_7666
; %bb.5660:                             ;   in Loop: Header=BB6_5278 Depth=2
	s_mov_b32 s12, -1
	s_mov_b32 s29, exec_lo
	v_cmpx_eq_u16_e32 0x80, v3
; %bb.5661:                             ;   in Loop: Header=BB6_5278 Depth=2
	s_xor_b32 s12, exec_lo, -1
; %bb.5662:                             ;   in Loop: Header=BB6_5278 Depth=2
	s_or_b32 exec_lo, exec_lo, s29
	s_and_b32 s12, s12, exec_lo
                                        ; implicit-def: $vgpr3
	s_or_saveexec_b32 s28, s28
	v_mov_b32_e32 v2, 0x7f800001
	s_xor_b32 exec_lo, exec_lo, s28
	s_cbranch_execnz .LBB6_7667
.LBB6_5663:                             ;   in Loop: Header=BB6_5278 Depth=2
	s_or_b32 exec_lo, exec_lo, s28
	s_and_saveexec_b32 s28, s12
	s_cbranch_execz .LBB6_5665
.LBB6_5664:                             ;   in Loop: Header=BB6_5278 Depth=2
	v_bfe_u32 v2, v38, 16, 2
	v_bfe_u32 v73, v38, 18, 5
	v_lshlrev_b32_sdwa v75, v47, v38 dst_sel:DWORD dst_unused:UNUSED_PAD src0_sel:DWORD src1_sel:WORD_1
	v_ffbh_u32_e32 v3, v2
	v_cmp_eq_u32_e32 vcc_lo, 0, v73
	v_min_u32_e32 v3, 32, v3
	v_subrev_nc_u32_e32 v42, 29, v3
	v_sub_nc_u32_e32 v3, 30, v3
	v_lshlrev_b32_sdwa v42, v42, v38 dst_sel:DWORD dst_unused:UNUSED_PAD src0_sel:DWORD src1_sel:WORD_1
	v_cndmask_b32_e32 v3, v73, v3, vcc_lo
	v_and_b32_e32 v42, 3, v42
	v_lshl_add_u32 v3, v3, 23, 0x37800000
	v_cndmask_b32_e32 v2, v2, v42, vcc_lo
	v_and_b32_e32 v42, 0x80000000, v75
	v_lshlrev_b32_e32 v2, 21, v2
	v_or3_b32 v2, v42, v3, v2
.LBB6_5665:                             ;   in Loop: Header=BB6_5278 Depth=2
	s_or_b32 exec_lo, exec_lo, s28
	v_max_f32_e32 v2, v2, v2
	v_max_f32_e32 v3, v74, v74
	v_min_f32_e32 v74, v3, v2
.LBB6_5666:                             ;   in Loop: Header=BB6_5278 Depth=2
	v_and_b32_e32 v2, 0x7f800000, v74
	v_mov_b32_e32 v73, 0x80
	s_mov_b32 s28, exec_lo
	v_cmpx_ne_u32_e32 0x7f800000, v2
	s_cbranch_execz .LBB6_5674
; %bb.5667:                             ;   in Loop: Header=BB6_5278 Depth=2
	v_mov_b32_e32 v73, 0
	s_mov_b32 s29, exec_lo
	v_cmpx_ne_u32_e32 0, v74
	s_cbranch_execz .LBB6_5673
; %bb.5668:                             ;   in Loop: Header=BB6_5278 Depth=2
	v_bfe_u32 v2, v74, 23, 8
	v_and_b32_e32 v3, 0x7fffff, v74
	v_sub_nc_u32_e32 v42, 0x70, v2
	v_cmp_gt_u32_e32 vcc_lo, 0x71, v2
	v_or_b32_e32 v73, 0x800000, v3
	v_cndmask_b32_e32 v42, 0, v42, vcc_lo
	v_cmp_eq_u32_e32 vcc_lo, 0, v2
	v_add_nc_u32_e32 v2, 0xffffff91, v2
	v_cndmask_b32_e64 v42, v42, 0x6f, vcc_lo
	v_cndmask_b32_e32 v3, v73, v3, vcc_lo
	v_cndmask_b32_e64 v2, v2, 0xffffff92, vcc_lo
	v_lshl_add_u32 v75, 0x200000, v42, -1
	v_lshrrev_b32_e32 v73, v42, v3
	v_lshlrev_b32_e64 v77, v42, 0x100000
	v_add_nc_u32_e32 v2, v42, v2
	v_and_b32_e32 v3, v75, v3
	v_bfe_u32 v76, v73, 21, 1
	v_cmp_eq_u32_e64 s12, v3, v77
	v_add_nc_u32_e32 v75, -1, v76
	v_cndmask_b32_e64 v3, 0, v75, s12
	v_lshrrev_b32_e32 v75, 23, v73
	s_mov_b32 s12, exec_lo
	v_add_nc_u32_e32 v3, v3, v73
	v_and_b32_e32 v42, 0x1fffff, v3
	v_xor_b32_e32 v3, 1, v75
	v_add_nc_u32_e32 v75, v42, v73
                                        ; implicit-def: $vgpr73
	v_cmpx_ne_u32_e64 v2, v3
	s_xor_b32 s12, exec_lo, s12
; %bb.5669:                             ;   in Loop: Header=BB6_5278 Depth=2
	v_cmp_lt_u32_e32 vcc_lo, 0xffffff, v75
	v_sub_nc_u32_e32 v2, v2, v3
	v_cndmask_b32_e64 v3, 0, 1, vcc_lo
	v_add_co_ci_u32_e64 v73, null, 0, v2, vcc_lo
	v_lshrrev_b32_e32 v75, v3, v75
; %bb.5670:                             ;   in Loop: Header=BB6_5278 Depth=2
	s_andn2_saveexec_b32 s12, s12
; %bb.5671:                             ;   in Loop: Header=BB6_5278 Depth=2
	v_bfe_u32 v73, v75, 23, 1
; %bb.5672:                             ;   in Loop: Header=BB6_5278 Depth=2
	s_or_b32 exec_lo, exec_lo, s12
	v_lshrrev_b32_e32 v2, 21, v75
	v_min_i32_e32 v3, 31, v73
	v_cmp_gt_i32_e32 vcc_lo, 32, v73
	v_and_b32_sdwa v42, v74, v44 dst_sel:DWORD dst_unused:UNUSED_PAD src0_sel:BYTE_3 src1_sel:DWORD
	v_lshlrev_b32_e32 v3, 2, v3
	v_cndmask_b32_e32 v2, 3, v2, vcc_lo
	v_and_b32_e32 v3, 0xfc, v3
	v_and_b32_e32 v74, 3, v2
	v_or_b32_e32 v2, v73, v2
	v_or3_b32 v3, v3, v42, v74
	v_cmp_ne_u32_e32 vcc_lo, 0, v2
	v_cndmask_b32_e32 v73, 0, v3, vcc_lo
.LBB6_5673:                             ;   in Loop: Header=BB6_5278 Depth=2
	s_or_b32 exec_lo, exec_lo, s29
.LBB6_5674:                             ;   in Loop: Header=BB6_5278 Depth=2
	s_or_b32 exec_lo, exec_lo, s28
	v_cmp_gt_i16_sdwa s28, v50, v43 src0_sel:BYTE_3 src1_sel:DWORD
	s_and_b32 vcc_lo, exec_lo, s27
	s_mov_b32 s12, -1
                                        ; implicit-def: $vgpr74
	s_cbranch_vccz .LBB6_5688
; %bb.5675:                             ;   in Loop: Header=BB6_5278 Depth=2
	s_mov_b32 s12, 0
	s_and_saveexec_b32 s29, s28
	s_xor_b32 s28, exec_lo, s29
	s_cbranch_execz .LBB6_7668
; %bb.5676:                             ;   in Loop: Header=BB6_5278 Depth=2
	v_cmp_eq_u16_sdwa s40, v50, v44 src0_sel:BYTE_3 src1_sel:DWORD
	s_mov_b32 s12, -1
	s_and_saveexec_b32 s29, s40
; %bb.5677:                             ;   in Loop: Header=BB6_5278 Depth=2
	s_xor_b32 s12, exec_lo, -1
; %bb.5678:                             ;   in Loop: Header=BB6_5278 Depth=2
	s_or_b32 exec_lo, exec_lo, s29
	s_and_b32 s12, s12, exec_lo
	s_or_saveexec_b32 s28, s28
	v_mov_b32_e32 v74, 0x7f800001
	s_xor_b32 exec_lo, exec_lo, s28
	s_cbranch_execnz .LBB6_7669
.LBB6_5679:                             ;   in Loop: Header=BB6_5278 Depth=2
	s_or_b32 exec_lo, exec_lo, s28
	s_and_saveexec_b32 s28, s12
	s_cbranch_execz .LBB6_5681
.LBB6_5680:                             ;   in Loop: Header=BB6_5278 Depth=2
	v_bfe_u32 v2, v50, 24, 2
	v_bfe_u32 v74, v50, 26, 5
	v_ffbh_u32_e32 v3, v2
	v_cmp_eq_u32_e32 vcc_lo, 0, v74
	v_min_u32_e32 v3, 32, v3
	v_subrev_nc_u32_e32 v42, 29, v3
	v_sub_nc_u32_e32 v3, 30, v3
	v_lshlrev_b32_sdwa v42, v42, v50 dst_sel:DWORD dst_unused:UNUSED_PAD src0_sel:DWORD src1_sel:BYTE_3
	v_cndmask_b32_e32 v3, v74, v3, vcc_lo
	v_and_b32_e32 v42, 3, v42
	v_lshl_add_u32 v3, v3, 23, 0x37800000
	v_cndmask_b32_e32 v2, v2, v42, vcc_lo
	v_and_b32_e32 v42, 0x80000000, v50
	v_lshlrev_b32_e32 v2, 21, v2
	v_or3_b32 v74, v42, v3, v2
.LBB6_5681:                             ;   in Loop: Header=BB6_5278 Depth=2
	s_or_b32 exec_lo, exec_lo, s28
	v_cmp_gt_i16_sdwa s28, v38, v43 src0_sel:BYTE_3 src1_sel:DWORD
	s_mov_b32 s12, 0
	s_and_saveexec_b32 s29, s28
	s_xor_b32 s28, exec_lo, s29
	s_cbranch_execz .LBB6_7670
; %bb.5682:                             ;   in Loop: Header=BB6_5278 Depth=2
	v_cmp_eq_u16_sdwa s40, v38, v44 src0_sel:BYTE_3 src1_sel:DWORD
	s_mov_b32 s12, -1
	s_and_saveexec_b32 s29, s40
; %bb.5683:                             ;   in Loop: Header=BB6_5278 Depth=2
	s_xor_b32 s12, exec_lo, -1
; %bb.5684:                             ;   in Loop: Header=BB6_5278 Depth=2
	s_or_b32 exec_lo, exec_lo, s29
	s_and_b32 s12, s12, exec_lo
	s_or_saveexec_b32 s28, s28
	v_mov_b32_e32 v2, 0x7f800001
	s_xor_b32 exec_lo, exec_lo, s28
	s_cbranch_execnz .LBB6_7671
.LBB6_5685:                             ;   in Loop: Header=BB6_5278 Depth=2
	s_or_b32 exec_lo, exec_lo, s28
	s_and_saveexec_b32 s28, s12
	s_cbranch_execz .LBB6_5687
.LBB6_5686:                             ;   in Loop: Header=BB6_5278 Depth=2
	v_bfe_u32 v2, v38, 24, 2
	v_bfe_u32 v75, v38, 26, 5
	v_ffbh_u32_e32 v3, v2
	v_cmp_eq_u32_e32 vcc_lo, 0, v75
	v_min_u32_e32 v3, 32, v3
	v_subrev_nc_u32_e32 v42, 29, v3
	v_sub_nc_u32_e32 v3, 30, v3
	v_lshlrev_b32_sdwa v42, v42, v38 dst_sel:DWORD dst_unused:UNUSED_PAD src0_sel:DWORD src1_sel:BYTE_3
	v_cndmask_b32_e32 v3, v75, v3, vcc_lo
	v_and_b32_e32 v42, 3, v42
	v_lshl_add_u32 v3, v3, 23, 0x37800000
	v_cndmask_b32_e32 v2, v2, v42, vcc_lo
	v_and_b32_e32 v42, 0x80000000, v38
	v_lshlrev_b32_e32 v2, 21, v2
	v_or3_b32 v2, v42, v3, v2
.LBB6_5687:                             ;   in Loop: Header=BB6_5278 Depth=2
	s_or_b32 exec_lo, exec_lo, s28
	v_max_f32_e32 v2, v2, v2
	v_max_f32_e32 v3, v74, v74
	s_mov_b32 s12, 0
	v_max_f32_e32 v74, v3, v2
.LBB6_5688:                             ;   in Loop: Header=BB6_5278 Depth=2
	s_and_b32 vcc_lo, exec_lo, s12
	s_cbranch_vccz .LBB6_5702
; %bb.5689:                             ;   in Loop: Header=BB6_5278 Depth=2
	v_cmp_gt_i16_sdwa s28, v50, v43 src0_sel:BYTE_3 src1_sel:DWORD
	s_mov_b32 s12, 0
	s_and_saveexec_b32 s29, s28
	s_xor_b32 s28, exec_lo, s29
	s_cbranch_execz .LBB6_7672
; %bb.5690:                             ;   in Loop: Header=BB6_5278 Depth=2
	v_cmp_eq_u16_sdwa s40, v50, v44 src0_sel:BYTE_3 src1_sel:DWORD
	s_mov_b32 s12, -1
	s_and_saveexec_b32 s29, s40
; %bb.5691:                             ;   in Loop: Header=BB6_5278 Depth=2
	s_xor_b32 s12, exec_lo, -1
; %bb.5692:                             ;   in Loop: Header=BB6_5278 Depth=2
	s_or_b32 exec_lo, exec_lo, s29
	s_and_b32 s12, s12, exec_lo
	s_or_saveexec_b32 s28, s28
	v_mov_b32_e32 v74, 0x7f800001
	s_xor_b32 exec_lo, exec_lo, s28
	s_cbranch_execnz .LBB6_7673
.LBB6_5693:                             ;   in Loop: Header=BB6_5278 Depth=2
	s_or_b32 exec_lo, exec_lo, s28
	s_and_saveexec_b32 s28, s12
	s_cbranch_execz .LBB6_5695
.LBB6_5694:                             ;   in Loop: Header=BB6_5278 Depth=2
	v_bfe_u32 v2, v50, 24, 2
	v_bfe_u32 v74, v50, 26, 5
	v_ffbh_u32_e32 v3, v2
	v_cmp_eq_u32_e32 vcc_lo, 0, v74
	v_min_u32_e32 v3, 32, v3
	v_subrev_nc_u32_e32 v42, 29, v3
	v_sub_nc_u32_e32 v3, 30, v3
	v_lshlrev_b32_sdwa v42, v42, v50 dst_sel:DWORD dst_unused:UNUSED_PAD src0_sel:DWORD src1_sel:BYTE_3
	v_cndmask_b32_e32 v3, v74, v3, vcc_lo
	v_and_b32_e32 v50, 0x80000000, v50
	v_and_b32_e32 v42, 3, v42
	v_lshl_add_u32 v3, v3, 23, 0x37800000
	v_cndmask_b32_e32 v2, v2, v42, vcc_lo
	v_lshlrev_b32_e32 v2, 21, v2
	v_or3_b32 v74, v50, v3, v2
.LBB6_5695:                             ;   in Loop: Header=BB6_5278 Depth=2
	s_or_b32 exec_lo, exec_lo, s28
	v_cmp_gt_i16_sdwa s28, v38, v43 src0_sel:BYTE_3 src1_sel:DWORD
	s_mov_b32 s12, 0
	s_and_saveexec_b32 s29, s28
	s_xor_b32 s28, exec_lo, s29
	s_cbranch_execz .LBB6_7674
; %bb.5696:                             ;   in Loop: Header=BB6_5278 Depth=2
	v_cmp_eq_u16_sdwa s40, v38, v44 src0_sel:BYTE_3 src1_sel:DWORD
	s_mov_b32 s12, -1
	s_and_saveexec_b32 s29, s40
; %bb.5697:                             ;   in Loop: Header=BB6_5278 Depth=2
	s_xor_b32 s12, exec_lo, -1
; %bb.5698:                             ;   in Loop: Header=BB6_5278 Depth=2
	s_or_b32 exec_lo, exec_lo, s29
	s_and_b32 s12, s12, exec_lo
	s_or_saveexec_b32 s28, s28
	v_mov_b32_e32 v2, 0x7f800001
	s_xor_b32 exec_lo, exec_lo, s28
	s_cbranch_execnz .LBB6_7675
.LBB6_5699:                             ;   in Loop: Header=BB6_5278 Depth=2
	s_or_b32 exec_lo, exec_lo, s28
	s_and_saveexec_b32 s28, s12
	s_cbranch_execz .LBB6_5701
.LBB6_5700:                             ;   in Loop: Header=BB6_5278 Depth=2
	v_bfe_u32 v2, v38, 24, 2
	v_bfe_u32 v42, v38, 26, 5
	v_ffbh_u32_e32 v3, v2
	v_cmp_eq_u32_e32 vcc_lo, 0, v42
	v_min_u32_e32 v3, 32, v3
	v_subrev_nc_u32_e32 v50, 29, v3
	v_sub_nc_u32_e32 v3, 30, v3
	v_lshlrev_b32_sdwa v50, v50, v38 dst_sel:DWORD dst_unused:UNUSED_PAD src0_sel:DWORD src1_sel:BYTE_3
	v_cndmask_b32_e32 v3, v42, v3, vcc_lo
	v_and_b32_e32 v38, 0x80000000, v38
	v_and_b32_e32 v50, 3, v50
	v_lshl_add_u32 v3, v3, 23, 0x37800000
	v_cndmask_b32_e32 v2, v2, v50, vcc_lo
	v_lshlrev_b32_e32 v2, 21, v2
	v_or3_b32 v2, v38, v3, v2
.LBB6_5701:                             ;   in Loop: Header=BB6_5278 Depth=2
	s_or_b32 exec_lo, exec_lo, s28
	v_max_f32_e32 v2, v2, v2
	v_max_f32_e32 v3, v74, v74
	v_min_f32_e32 v74, v3, v2
.LBB6_5702:                             ;   in Loop: Header=BB6_5278 Depth=2
	v_and_b32_e32 v2, 0x7f800000, v74
	v_mov_b32_e32 v38, 0x8000
	s_mov_b32 s28, exec_lo
	v_cmpx_ne_u32_e32 0x7f800000, v2
	s_cbranch_execz .LBB6_5710
; %bb.5703:                             ;   in Loop: Header=BB6_5278 Depth=2
	v_mov_b32_e32 v38, 0
	s_mov_b32 s29, exec_lo
	v_cmpx_ne_u32_e32 0, v74
	s_cbranch_execz .LBB6_5709
; %bb.5704:                             ;   in Loop: Header=BB6_5278 Depth=2
	v_bfe_u32 v2, v74, 23, 8
	v_and_b32_e32 v3, 0x7fffff, v74
	v_sub_nc_u32_e32 v38, 0x70, v2
	v_cmp_gt_u32_e32 vcc_lo, 0x71, v2
	v_or_b32_e32 v50, 0x800000, v3
	v_cndmask_b32_e32 v38, 0, v38, vcc_lo
	v_cmp_eq_u32_e32 vcc_lo, 0, v2
	v_add_nc_u32_e32 v2, 0xffffff91, v2
	v_cndmask_b32_e64 v38, v38, 0x6f, vcc_lo
	v_cndmask_b32_e32 v3, v50, v3, vcc_lo
	v_cndmask_b32_e64 v2, v2, 0xffffff92, vcc_lo
	v_lshl_add_u32 v42, 0x200000, v38, -1
	v_lshrrev_b32_e32 v50, v38, v3
	v_lshlrev_b32_e64 v76, v38, 0x100000
	v_add_nc_u32_e32 v2, v38, v2
	v_and_b32_e32 v3, v42, v3
	v_bfe_u32 v75, v50, 21, 1
	v_cmp_eq_u32_e64 s12, v3, v76
	v_add_nc_u32_e32 v42, -1, v75
	v_cndmask_b32_e64 v3, 0, v42, s12
	v_lshrrev_b32_e32 v42, 23, v50
	s_mov_b32 s12, exec_lo
	v_add_nc_u32_e32 v3, v3, v50
	v_and_b32_e32 v38, 0x1fffff, v3
	v_xor_b32_e32 v3, 1, v42
	v_add_nc_u32_e32 v50, v38, v50
                                        ; implicit-def: $vgpr38
	v_cmpx_ne_u32_e64 v2, v3
	s_xor_b32 s12, exec_lo, s12
; %bb.5705:                             ;   in Loop: Header=BB6_5278 Depth=2
	v_cmp_lt_u32_e32 vcc_lo, 0xffffff, v50
	v_sub_nc_u32_e32 v2, v2, v3
	v_cndmask_b32_e64 v3, 0, 1, vcc_lo
	v_add_co_ci_u32_e64 v38, null, 0, v2, vcc_lo
	v_lshrrev_b32_e32 v50, v3, v50
; %bb.5706:                             ;   in Loop: Header=BB6_5278 Depth=2
	s_andn2_saveexec_b32 s12, s12
; %bb.5707:                             ;   in Loop: Header=BB6_5278 Depth=2
	v_bfe_u32 v38, v50, 23, 1
; %bb.5708:                             ;   in Loop: Header=BB6_5278 Depth=2
	s_or_b32 exec_lo, exec_lo, s12
	v_lshrrev_b32_e32 v2, 21, v50
	v_min_i32_e32 v3, 31, v38
	v_cmp_gt_i32_e32 vcc_lo, 32, v38
	v_and_b32_sdwa v50, v74, v44 dst_sel:DWORD dst_unused:UNUSED_PAD src0_sel:BYTE_3 src1_sel:DWORD
	v_lshlrev_b32_e32 v3, 2, v3
	v_cndmask_b32_e32 v2, 3, v2, vcc_lo
	v_and_b32_e32 v3, 0xfc, v3
	v_and_b32_e32 v42, 3, v2
	v_or_b32_e32 v2, v38, v2
	v_or3_b32 v3, v50, v3, v42
	v_cmp_ne_u32_e32 vcc_lo, 0, v2
	v_lshlrev_b32_e32 v3, 8, v3
	v_cndmask_b32_e32 v38, 0, v3, vcc_lo
.LBB6_5709:                             ;   in Loop: Header=BB6_5278 Depth=2
	s_or_b32 exec_lo, exec_lo, s29
.LBB6_5710:                             ;   in Loop: Header=BB6_5278 Depth=2
	s_or_b32 exec_lo, exec_lo, s28
	v_cmp_gt_i16_sdwa s28, v51, v43 src0_sel:BYTE_0 src1_sel:DWORD
	s_and_b32 vcc_lo, exec_lo, s27
	s_mov_b32 s12, -1
                                        ; implicit-def: $vgpr74
	s_cbranch_vccz .LBB6_5724
; %bb.5711:                             ;   in Loop: Header=BB6_5278 Depth=2
	s_mov_b32 s12, 0
	s_and_saveexec_b32 s29, s28
	s_xor_b32 s28, exec_lo, s29
	s_cbranch_execz .LBB6_7676
; %bb.5712:                             ;   in Loop: Header=BB6_5278 Depth=2
	v_cmp_eq_u16_sdwa s40, v51, v44 src0_sel:BYTE_0 src1_sel:DWORD
	s_mov_b32 s12, -1
	s_and_saveexec_b32 s29, s40
; %bb.5713:                             ;   in Loop: Header=BB6_5278 Depth=2
	s_xor_b32 s12, exec_lo, -1
; %bb.5714:                             ;   in Loop: Header=BB6_5278 Depth=2
	s_or_b32 exec_lo, exec_lo, s29
	s_and_b32 s12, s12, exec_lo
	s_or_saveexec_b32 s28, s28
	v_mov_b32_e32 v50, 0x7f800001
	s_xor_b32 exec_lo, exec_lo, s28
	s_cbranch_execnz .LBB6_7677
.LBB6_5715:                             ;   in Loop: Header=BB6_5278 Depth=2
	s_or_b32 exec_lo, exec_lo, s28
	s_and_saveexec_b32 s28, s12
	s_cbranch_execz .LBB6_5717
.LBB6_5716:                             ;   in Loop: Header=BB6_5278 Depth=2
	v_and_b32_e32 v2, 3, v51
	v_bfe_u32 v42, v51, 2, 5
	v_lshlrev_b32_e32 v74, 24, v51
	v_ffbh_u32_e32 v3, v2
	v_cmp_eq_u32_e32 vcc_lo, 0, v42
	v_min_u32_e32 v3, 32, v3
	v_subrev_nc_u32_e32 v50, 29, v3
	v_sub_nc_u32_e32 v3, 30, v3
	v_lshlrev_b32_e32 v50, v50, v51
	v_cndmask_b32_e32 v3, v42, v3, vcc_lo
	v_and_b32_e32 v50, 3, v50
	v_lshl_add_u32 v3, v3, 23, 0x37800000
	v_cndmask_b32_e32 v2, v2, v50, vcc_lo
	v_and_b32_e32 v50, 0x80000000, v74
	v_lshlrev_b32_e32 v2, 21, v2
	v_or3_b32 v50, v50, v3, v2
.LBB6_5717:                             ;   in Loop: Header=BB6_5278 Depth=2
	s_or_b32 exec_lo, exec_lo, s28
	v_cmp_gt_i16_sdwa s28, v39, v43 src0_sel:BYTE_0 src1_sel:DWORD
	s_mov_b32 s12, 0
	s_and_saveexec_b32 s29, s28
	s_xor_b32 s28, exec_lo, s29
	s_cbranch_execz .LBB6_7678
; %bb.5718:                             ;   in Loop: Header=BB6_5278 Depth=2
	v_cmp_eq_u16_sdwa s40, v39, v44 src0_sel:BYTE_0 src1_sel:DWORD
	s_mov_b32 s12, -1
	s_and_saveexec_b32 s29, s40
; %bb.5719:                             ;   in Loop: Header=BB6_5278 Depth=2
	s_xor_b32 s12, exec_lo, -1
; %bb.5720:                             ;   in Loop: Header=BB6_5278 Depth=2
	s_or_b32 exec_lo, exec_lo, s29
	s_and_b32 s12, s12, exec_lo
	s_or_saveexec_b32 s28, s28
	v_mov_b32_e32 v2, 0x7f800001
	s_xor_b32 exec_lo, exec_lo, s28
	s_cbranch_execnz .LBB6_7679
.LBB6_5721:                             ;   in Loop: Header=BB6_5278 Depth=2
	s_or_b32 exec_lo, exec_lo, s28
	s_and_saveexec_b32 s28, s12
	s_cbranch_execz .LBB6_5723
.LBB6_5722:                             ;   in Loop: Header=BB6_5278 Depth=2
	v_and_b32_e32 v2, 3, v39
	v_bfe_u32 v74, v39, 2, 5
	v_lshlrev_b32_e32 v75, 24, v39
	v_ffbh_u32_e32 v3, v2
	v_cmp_eq_u32_e32 vcc_lo, 0, v74
	v_min_u32_e32 v3, 32, v3
	v_subrev_nc_u32_e32 v42, 29, v3
	v_sub_nc_u32_e32 v3, 30, v3
	v_lshlrev_b32_e32 v42, v42, v39
	v_cndmask_b32_e32 v3, v74, v3, vcc_lo
	v_and_b32_e32 v42, 3, v42
	v_lshl_add_u32 v3, v3, 23, 0x37800000
	v_cndmask_b32_e32 v2, v2, v42, vcc_lo
	v_and_b32_e32 v42, 0x80000000, v75
	v_lshlrev_b32_e32 v2, 21, v2
	v_or3_b32 v2, v42, v3, v2
.LBB6_5723:                             ;   in Loop: Header=BB6_5278 Depth=2
	s_or_b32 exec_lo, exec_lo, s28
	v_max_f32_e32 v2, v2, v2
	v_max_f32_e32 v3, v50, v50
	s_mov_b32 s12, 0
	v_max_f32_e32 v74, v3, v2
.LBB6_5724:                             ;   in Loop: Header=BB6_5278 Depth=2
	s_and_b32 vcc_lo, exec_lo, s12
	s_cbranch_vccz .LBB6_5738
; %bb.5725:                             ;   in Loop: Header=BB6_5278 Depth=2
	v_cmp_gt_i16_sdwa s28, v51, v43 src0_sel:BYTE_0 src1_sel:DWORD
	s_mov_b32 s12, 0
	s_and_saveexec_b32 s29, s28
	s_xor_b32 s28, exec_lo, s29
	s_cbranch_execz .LBB6_7680
; %bb.5726:                             ;   in Loop: Header=BB6_5278 Depth=2
	v_cmp_eq_u16_sdwa s40, v51, v44 src0_sel:BYTE_0 src1_sel:DWORD
	s_mov_b32 s12, -1
	s_and_saveexec_b32 s29, s40
; %bb.5727:                             ;   in Loop: Header=BB6_5278 Depth=2
	s_xor_b32 s12, exec_lo, -1
; %bb.5728:                             ;   in Loop: Header=BB6_5278 Depth=2
	s_or_b32 exec_lo, exec_lo, s29
	s_and_b32 s12, s12, exec_lo
	s_or_saveexec_b32 s28, s28
	v_mov_b32_e32 v50, 0x7f800001
	s_xor_b32 exec_lo, exec_lo, s28
	s_cbranch_execnz .LBB6_7681
.LBB6_5729:                             ;   in Loop: Header=BB6_5278 Depth=2
	s_or_b32 exec_lo, exec_lo, s28
	s_and_saveexec_b32 s28, s12
	s_cbranch_execz .LBB6_5731
.LBB6_5730:                             ;   in Loop: Header=BB6_5278 Depth=2
	v_and_b32_e32 v2, 3, v51
	v_bfe_u32 v42, v51, 2, 5
	v_lshlrev_b32_e32 v74, 24, v51
	v_ffbh_u32_e32 v3, v2
	v_cmp_eq_u32_e32 vcc_lo, 0, v42
	v_min_u32_e32 v3, 32, v3
	v_subrev_nc_u32_e32 v50, 29, v3
	v_sub_nc_u32_e32 v3, 30, v3
	v_lshlrev_b32_e32 v50, v50, v51
	v_cndmask_b32_e32 v3, v42, v3, vcc_lo
	v_and_b32_e32 v50, 3, v50
	v_lshl_add_u32 v3, v3, 23, 0x37800000
	v_cndmask_b32_e32 v2, v2, v50, vcc_lo
	v_and_b32_e32 v50, 0x80000000, v74
	v_lshlrev_b32_e32 v2, 21, v2
	v_or3_b32 v50, v50, v3, v2
.LBB6_5731:                             ;   in Loop: Header=BB6_5278 Depth=2
	s_or_b32 exec_lo, exec_lo, s28
	v_cmp_gt_i16_sdwa s28, v39, v43 src0_sel:BYTE_0 src1_sel:DWORD
	s_mov_b32 s12, 0
	s_and_saveexec_b32 s29, s28
	s_xor_b32 s28, exec_lo, s29
	s_cbranch_execz .LBB6_7682
; %bb.5732:                             ;   in Loop: Header=BB6_5278 Depth=2
	v_cmp_eq_u16_sdwa s40, v39, v44 src0_sel:BYTE_0 src1_sel:DWORD
	s_mov_b32 s12, -1
	s_and_saveexec_b32 s29, s40
; %bb.5733:                             ;   in Loop: Header=BB6_5278 Depth=2
	s_xor_b32 s12, exec_lo, -1
; %bb.5734:                             ;   in Loop: Header=BB6_5278 Depth=2
	s_or_b32 exec_lo, exec_lo, s29
	s_and_b32 s12, s12, exec_lo
	s_or_saveexec_b32 s28, s28
	v_mov_b32_e32 v2, 0x7f800001
	s_xor_b32 exec_lo, exec_lo, s28
	s_cbranch_execnz .LBB6_7683
.LBB6_5735:                             ;   in Loop: Header=BB6_5278 Depth=2
	s_or_b32 exec_lo, exec_lo, s28
	s_and_saveexec_b32 s28, s12
	s_cbranch_execz .LBB6_5737
.LBB6_5736:                             ;   in Loop: Header=BB6_5278 Depth=2
	v_and_b32_e32 v2, 3, v39
	v_bfe_u32 v74, v39, 2, 5
	v_lshlrev_b32_e32 v75, 24, v39
	v_ffbh_u32_e32 v3, v2
	v_cmp_eq_u32_e32 vcc_lo, 0, v74
	v_min_u32_e32 v3, 32, v3
	v_subrev_nc_u32_e32 v42, 29, v3
	v_sub_nc_u32_e32 v3, 30, v3
	v_lshlrev_b32_e32 v42, v42, v39
	v_cndmask_b32_e32 v3, v74, v3, vcc_lo
	v_and_b32_e32 v42, 3, v42
	v_lshl_add_u32 v3, v3, 23, 0x37800000
	v_cndmask_b32_e32 v2, v2, v42, vcc_lo
	v_and_b32_e32 v42, 0x80000000, v75
	v_lshlrev_b32_e32 v2, 21, v2
	v_or3_b32 v2, v42, v3, v2
.LBB6_5737:                             ;   in Loop: Header=BB6_5278 Depth=2
	s_or_b32 exec_lo, exec_lo, s28
	v_max_f32_e32 v2, v2, v2
	v_max_f32_e32 v3, v50, v50
	v_min_f32_e32 v74, v3, v2
.LBB6_5738:                             ;   in Loop: Header=BB6_5278 Depth=2
	v_and_b32_e32 v2, 0x7f800000, v74
	v_mov_b32_e32 v50, 0x80
	s_mov_b32 s28, exec_lo
	v_cmpx_ne_u32_e32 0x7f800000, v2
	s_cbranch_execz .LBB6_5746
; %bb.5739:                             ;   in Loop: Header=BB6_5278 Depth=2
	v_mov_b32_e32 v50, 0
	s_mov_b32 s29, exec_lo
	v_cmpx_ne_u32_e32 0, v74
	s_cbranch_execz .LBB6_5745
; %bb.5740:                             ;   in Loop: Header=BB6_5278 Depth=2
	v_bfe_u32 v2, v74, 23, 8
	v_and_b32_e32 v3, 0x7fffff, v74
	v_sub_nc_u32_e32 v50, 0x70, v2
	v_cmp_gt_u32_e32 vcc_lo, 0x71, v2
	v_or_b32_e32 v42, 0x800000, v3
	v_cndmask_b32_e32 v50, 0, v50, vcc_lo
	v_cmp_eq_u32_e32 vcc_lo, 0, v2
	v_add_nc_u32_e32 v2, 0xffffff91, v2
	v_cndmask_b32_e64 v50, v50, 0x6f, vcc_lo
	v_cndmask_b32_e32 v3, v42, v3, vcc_lo
	v_cndmask_b32_e64 v2, v2, 0xffffff92, vcc_lo
	v_lshl_add_u32 v75, 0x200000, v50, -1
	v_lshrrev_b32_e32 v42, v50, v3
	v_lshlrev_b32_e64 v77, v50, 0x100000
	v_add_nc_u32_e32 v2, v50, v2
	v_and_b32_e32 v3, v75, v3
	v_bfe_u32 v76, v42, 21, 1
	v_cmp_eq_u32_e64 s12, v3, v77
	v_add_nc_u32_e32 v75, -1, v76
	v_cndmask_b32_e64 v3, 0, v75, s12
	v_lshrrev_b32_e32 v75, 23, v42
	s_mov_b32 s12, exec_lo
	v_add_nc_u32_e32 v3, v3, v42
	v_and_b32_e32 v50, 0x1fffff, v3
	v_xor_b32_e32 v3, 1, v75
	v_add_nc_u32_e32 v75, v50, v42
                                        ; implicit-def: $vgpr50
	v_cmpx_ne_u32_e64 v2, v3
	s_xor_b32 s12, exec_lo, s12
; %bb.5741:                             ;   in Loop: Header=BB6_5278 Depth=2
	v_cmp_lt_u32_e32 vcc_lo, 0xffffff, v75
	v_sub_nc_u32_e32 v2, v2, v3
	v_cndmask_b32_e64 v3, 0, 1, vcc_lo
	v_add_co_ci_u32_e64 v50, null, 0, v2, vcc_lo
	v_lshrrev_b32_e32 v75, v3, v75
; %bb.5742:                             ;   in Loop: Header=BB6_5278 Depth=2
	s_andn2_saveexec_b32 s12, s12
; %bb.5743:                             ;   in Loop: Header=BB6_5278 Depth=2
	v_bfe_u32 v50, v75, 23, 1
; %bb.5744:                             ;   in Loop: Header=BB6_5278 Depth=2
	s_or_b32 exec_lo, exec_lo, s12
	v_lshrrev_b32_e32 v2, 21, v75
	v_min_i32_e32 v3, 31, v50
	v_cmp_gt_i32_e32 vcc_lo, 32, v50
	v_and_b32_sdwa v42, v74, v44 dst_sel:DWORD dst_unused:UNUSED_PAD src0_sel:BYTE_3 src1_sel:DWORD
	v_lshlrev_b32_e32 v3, 2, v3
	v_cndmask_b32_e32 v2, 3, v2, vcc_lo
	v_and_b32_e32 v3, 0xfc, v3
	v_and_b32_e32 v74, 3, v2
	v_or_b32_e32 v2, v50, v2
	v_or3_b32 v3, v3, v42, v74
	v_cmp_ne_u32_e32 vcc_lo, 0, v2
	v_cndmask_b32_e32 v50, 0, v3, vcc_lo
.LBB6_5745:                             ;   in Loop: Header=BB6_5278 Depth=2
	s_or_b32 exec_lo, exec_lo, s29
.LBB6_5746:                             ;   in Loop: Header=BB6_5278 Depth=2
	s_or_b32 exec_lo, exec_lo, s28
	v_cmp_gt_i16_sdwa s28, v51, v43 src0_sel:BYTE_1 src1_sel:DWORD
	s_and_b32 vcc_lo, exec_lo, s27
	s_mov_b32 s12, -1
                                        ; implicit-def: $vgpr75
	s_cbranch_vccz .LBB6_5760
; %bb.5747:                             ;   in Loop: Header=BB6_5278 Depth=2
	s_mov_b32 s12, 0
	s_and_saveexec_b32 s29, s28
	s_xor_b32 s28, exec_lo, s29
	s_cbranch_execz .LBB6_7684
; %bb.5748:                             ;   in Loop: Header=BB6_5278 Depth=2
	v_cmp_eq_u16_sdwa s40, v51, v44 src0_sel:BYTE_1 src1_sel:DWORD
	s_mov_b32 s12, -1
	s_and_saveexec_b32 s29, s40
; %bb.5749:                             ;   in Loop: Header=BB6_5278 Depth=2
	s_xor_b32 s12, exec_lo, -1
; %bb.5750:                             ;   in Loop: Header=BB6_5278 Depth=2
	s_or_b32 exec_lo, exec_lo, s29
	s_and_b32 s12, s12, exec_lo
	s_or_saveexec_b32 s28, s28
	v_mov_b32_e32 v74, 0x7f800001
	s_xor_b32 exec_lo, exec_lo, s28
	s_cbranch_execnz .LBB6_7685
.LBB6_5751:                             ;   in Loop: Header=BB6_5278 Depth=2
	s_or_b32 exec_lo, exec_lo, s28
	s_and_saveexec_b32 s28, s12
	s_cbranch_execz .LBB6_5753
.LBB6_5752:                             ;   in Loop: Header=BB6_5278 Depth=2
	v_and_b32_sdwa v2, v45, v51 dst_sel:DWORD dst_unused:UNUSED_PAD src0_sel:DWORD src1_sel:BYTE_1
	v_and_b32_e32 v3, 3, v2
	v_bfe_u32 v75, v2, 2, 5
	v_ffbh_u32_e32 v42, v3
	v_cmp_eq_u32_e32 vcc_lo, 0, v75
	v_min_u32_e32 v42, 32, v42
	v_subrev_nc_u32_e32 v74, 29, v42
	v_sub_nc_u32_e32 v42, 30, v42
	v_lshlrev_b32_e32 v2, v74, v2
	v_lshlrev_b32_e32 v74, 16, v51
	v_cndmask_b32_e32 v42, v75, v42, vcc_lo
	v_and_b32_e32 v2, 3, v2
	v_lshl_add_u32 v42, v42, 23, 0x37800000
	v_cndmask_b32_e32 v2, v3, v2, vcc_lo
	v_and_b32_e32 v3, 0x80000000, v74
	v_lshlrev_b32_e32 v2, 21, v2
	v_or3_b32 v74, v3, v42, v2
.LBB6_5753:                             ;   in Loop: Header=BB6_5278 Depth=2
	s_or_b32 exec_lo, exec_lo, s28
	v_cmp_gt_i16_sdwa s28, v39, v43 src0_sel:BYTE_1 src1_sel:DWORD
	s_mov_b32 s12, 0
	s_and_saveexec_b32 s29, s28
	s_xor_b32 s28, exec_lo, s29
	s_cbranch_execz .LBB6_7686
; %bb.5754:                             ;   in Loop: Header=BB6_5278 Depth=2
	v_cmp_eq_u16_sdwa s40, v39, v44 src0_sel:BYTE_1 src1_sel:DWORD
	s_mov_b32 s12, -1
	s_and_saveexec_b32 s29, s40
; %bb.5755:                             ;   in Loop: Header=BB6_5278 Depth=2
	s_xor_b32 s12, exec_lo, -1
; %bb.5756:                             ;   in Loop: Header=BB6_5278 Depth=2
	s_or_b32 exec_lo, exec_lo, s29
	s_and_b32 s12, s12, exec_lo
	s_or_saveexec_b32 s28, s28
	v_mov_b32_e32 v2, 0x7f800001
	s_xor_b32 exec_lo, exec_lo, s28
	s_cbranch_execnz .LBB6_7687
.LBB6_5757:                             ;   in Loop: Header=BB6_5278 Depth=2
	s_or_b32 exec_lo, exec_lo, s28
	s_and_saveexec_b32 s28, s12
	s_cbranch_execz .LBB6_5759
.LBB6_5758:                             ;   in Loop: Header=BB6_5278 Depth=2
	v_and_b32_sdwa v2, v45, v39 dst_sel:DWORD dst_unused:UNUSED_PAD src0_sel:DWORD src1_sel:BYTE_1
	v_and_b32_e32 v3, 3, v2
	v_bfe_u32 v76, v2, 2, 5
	v_ffbh_u32_e32 v42, v3
	v_cmp_eq_u32_e32 vcc_lo, 0, v76
	v_min_u32_e32 v42, 32, v42
	v_subrev_nc_u32_e32 v75, 29, v42
	v_sub_nc_u32_e32 v42, 30, v42
	v_lshlrev_b32_e32 v2, v75, v2
	v_lshlrev_b32_e32 v75, 16, v39
	v_cndmask_b32_e32 v42, v76, v42, vcc_lo
	v_and_b32_e32 v2, 3, v2
	v_lshl_add_u32 v42, v42, 23, 0x37800000
	v_cndmask_b32_e32 v2, v3, v2, vcc_lo
	v_and_b32_e32 v3, 0x80000000, v75
	v_lshlrev_b32_e32 v2, 21, v2
	v_or3_b32 v2, v3, v42, v2
.LBB6_5759:                             ;   in Loop: Header=BB6_5278 Depth=2
	s_or_b32 exec_lo, exec_lo, s28
	v_max_f32_e32 v2, v2, v2
	v_max_f32_e32 v3, v74, v74
	s_mov_b32 s12, 0
	v_max_f32_e32 v75, v3, v2
.LBB6_5760:                             ;   in Loop: Header=BB6_5278 Depth=2
	s_and_b32 vcc_lo, exec_lo, s12
	s_cbranch_vccz .LBB6_5774
; %bb.5761:                             ;   in Loop: Header=BB6_5278 Depth=2
	v_cmp_gt_i16_sdwa s28, v51, v43 src0_sel:BYTE_1 src1_sel:DWORD
	s_mov_b32 s12, 0
	s_and_saveexec_b32 s29, s28
	s_xor_b32 s28, exec_lo, s29
	s_cbranch_execz .LBB6_7688
; %bb.5762:                             ;   in Loop: Header=BB6_5278 Depth=2
	v_cmp_eq_u16_sdwa s40, v51, v44 src0_sel:BYTE_1 src1_sel:DWORD
	s_mov_b32 s12, -1
	s_and_saveexec_b32 s29, s40
; %bb.5763:                             ;   in Loop: Header=BB6_5278 Depth=2
	s_xor_b32 s12, exec_lo, -1
; %bb.5764:                             ;   in Loop: Header=BB6_5278 Depth=2
	s_or_b32 exec_lo, exec_lo, s29
	s_and_b32 s12, s12, exec_lo
	s_or_saveexec_b32 s28, s28
	v_mov_b32_e32 v74, 0x7f800001
	s_xor_b32 exec_lo, exec_lo, s28
	s_cbranch_execnz .LBB6_7689
.LBB6_5765:                             ;   in Loop: Header=BB6_5278 Depth=2
	s_or_b32 exec_lo, exec_lo, s28
	s_and_saveexec_b32 s28, s12
	s_cbranch_execz .LBB6_5767
.LBB6_5766:                             ;   in Loop: Header=BB6_5278 Depth=2
	v_and_b32_sdwa v2, v45, v51 dst_sel:DWORD dst_unused:UNUSED_PAD src0_sel:DWORD src1_sel:BYTE_1
	v_and_b32_e32 v3, 3, v2
	v_bfe_u32 v75, v2, 2, 5
	v_ffbh_u32_e32 v42, v3
	v_cmp_eq_u32_e32 vcc_lo, 0, v75
	v_min_u32_e32 v42, 32, v42
	v_subrev_nc_u32_e32 v74, 29, v42
	v_sub_nc_u32_e32 v42, 30, v42
	v_lshlrev_b32_e32 v2, v74, v2
	v_lshlrev_b32_e32 v74, 16, v51
	v_cndmask_b32_e32 v42, v75, v42, vcc_lo
	v_and_b32_e32 v2, 3, v2
	v_lshl_add_u32 v42, v42, 23, 0x37800000
	v_cndmask_b32_e32 v2, v3, v2, vcc_lo
	v_and_b32_e32 v3, 0x80000000, v74
	v_lshlrev_b32_e32 v2, 21, v2
	v_or3_b32 v74, v3, v42, v2
.LBB6_5767:                             ;   in Loop: Header=BB6_5278 Depth=2
	s_or_b32 exec_lo, exec_lo, s28
	v_cmp_gt_i16_sdwa s28, v39, v43 src0_sel:BYTE_1 src1_sel:DWORD
	s_mov_b32 s12, 0
	s_and_saveexec_b32 s29, s28
	s_xor_b32 s28, exec_lo, s29
	s_cbranch_execz .LBB6_7690
; %bb.5768:                             ;   in Loop: Header=BB6_5278 Depth=2
	v_cmp_eq_u16_sdwa s40, v39, v44 src0_sel:BYTE_1 src1_sel:DWORD
	s_mov_b32 s12, -1
	s_and_saveexec_b32 s29, s40
; %bb.5769:                             ;   in Loop: Header=BB6_5278 Depth=2
	s_xor_b32 s12, exec_lo, -1
; %bb.5770:                             ;   in Loop: Header=BB6_5278 Depth=2
	s_or_b32 exec_lo, exec_lo, s29
	s_and_b32 s12, s12, exec_lo
	s_or_saveexec_b32 s28, s28
	v_mov_b32_e32 v2, 0x7f800001
	s_xor_b32 exec_lo, exec_lo, s28
	s_cbranch_execnz .LBB6_7691
.LBB6_5771:                             ;   in Loop: Header=BB6_5278 Depth=2
	s_or_b32 exec_lo, exec_lo, s28
	s_and_saveexec_b32 s28, s12
	s_cbranch_execz .LBB6_5773
.LBB6_5772:                             ;   in Loop: Header=BB6_5278 Depth=2
	v_and_b32_sdwa v2, v45, v39 dst_sel:DWORD dst_unused:UNUSED_PAD src0_sel:DWORD src1_sel:BYTE_1
	v_and_b32_e32 v3, 3, v2
	v_bfe_u32 v76, v2, 2, 5
	v_ffbh_u32_e32 v42, v3
	v_cmp_eq_u32_e32 vcc_lo, 0, v76
	v_min_u32_e32 v42, 32, v42
	v_subrev_nc_u32_e32 v75, 29, v42
	v_sub_nc_u32_e32 v42, 30, v42
	v_lshlrev_b32_e32 v2, v75, v2
	v_lshlrev_b32_e32 v75, 16, v39
	v_cndmask_b32_e32 v42, v76, v42, vcc_lo
	v_and_b32_e32 v2, 3, v2
	v_lshl_add_u32 v42, v42, 23, 0x37800000
	v_cndmask_b32_e32 v2, v3, v2, vcc_lo
	v_and_b32_e32 v3, 0x80000000, v75
	v_lshlrev_b32_e32 v2, 21, v2
	v_or3_b32 v2, v3, v42, v2
.LBB6_5773:                             ;   in Loop: Header=BB6_5278 Depth=2
	s_or_b32 exec_lo, exec_lo, s28
	v_max_f32_e32 v2, v2, v2
	v_max_f32_e32 v3, v74, v74
	v_min_f32_e32 v75, v3, v2
.LBB6_5774:                             ;   in Loop: Header=BB6_5278 Depth=2
	v_and_b32_e32 v2, 0x7f800000, v75
	v_mov_b32_e32 v74, 0x8000
	s_mov_b32 s28, exec_lo
	v_cmpx_ne_u32_e32 0x7f800000, v2
	s_cbranch_execz .LBB6_5782
; %bb.5775:                             ;   in Loop: Header=BB6_5278 Depth=2
	v_mov_b32_e32 v74, 0
	s_mov_b32 s29, exec_lo
	v_cmpx_ne_u32_e32 0, v75
	s_cbranch_execz .LBB6_5781
; %bb.5776:                             ;   in Loop: Header=BB6_5278 Depth=2
	v_bfe_u32 v2, v75, 23, 8
	v_and_b32_e32 v3, 0x7fffff, v75
	v_sub_nc_u32_e32 v42, 0x70, v2
	v_cmp_gt_u32_e32 vcc_lo, 0x71, v2
	v_or_b32_e32 v74, 0x800000, v3
	v_cndmask_b32_e32 v42, 0, v42, vcc_lo
	v_cmp_eq_u32_e32 vcc_lo, 0, v2
	v_add_nc_u32_e32 v2, 0xffffff91, v2
	v_cndmask_b32_e64 v42, v42, 0x6f, vcc_lo
	v_cndmask_b32_e32 v3, v74, v3, vcc_lo
	v_cndmask_b32_e64 v2, v2, 0xffffff92, vcc_lo
	v_lshl_add_u32 v76, 0x200000, v42, -1
	v_lshrrev_b32_e32 v74, v42, v3
	v_lshlrev_b32_e64 v78, v42, 0x100000
	v_add_nc_u32_e32 v2, v42, v2
	v_and_b32_e32 v3, v76, v3
	v_bfe_u32 v77, v74, 21, 1
	v_cmp_eq_u32_e64 s12, v3, v78
	v_add_nc_u32_e32 v76, -1, v77
	v_cndmask_b32_e64 v3, 0, v76, s12
	v_lshrrev_b32_e32 v76, 23, v74
	s_mov_b32 s12, exec_lo
	v_add_nc_u32_e32 v3, v3, v74
	v_and_b32_e32 v42, 0x1fffff, v3
	v_xor_b32_e32 v3, 1, v76
	v_add_nc_u32_e32 v76, v42, v74
                                        ; implicit-def: $vgpr74
	v_cmpx_ne_u32_e64 v2, v3
	s_xor_b32 s12, exec_lo, s12
; %bb.5777:                             ;   in Loop: Header=BB6_5278 Depth=2
	v_cmp_lt_u32_e32 vcc_lo, 0xffffff, v76
	v_sub_nc_u32_e32 v2, v2, v3
	v_cndmask_b32_e64 v3, 0, 1, vcc_lo
	v_add_co_ci_u32_e64 v74, null, 0, v2, vcc_lo
	v_lshrrev_b32_e32 v76, v3, v76
; %bb.5778:                             ;   in Loop: Header=BB6_5278 Depth=2
	s_andn2_saveexec_b32 s12, s12
; %bb.5779:                             ;   in Loop: Header=BB6_5278 Depth=2
	v_bfe_u32 v74, v76, 23, 1
; %bb.5780:                             ;   in Loop: Header=BB6_5278 Depth=2
	s_or_b32 exec_lo, exec_lo, s12
	v_lshrrev_b32_e32 v2, 21, v76
	v_min_i32_e32 v3, 31, v74
	v_cmp_gt_i32_e32 vcc_lo, 32, v74
	v_and_b32_sdwa v42, v75, v44 dst_sel:DWORD dst_unused:UNUSED_PAD src0_sel:BYTE_3 src1_sel:DWORD
	v_lshlrev_b32_e32 v3, 2, v3
	v_cndmask_b32_e32 v2, 3, v2, vcc_lo
	v_and_b32_e32 v3, 0xfc, v3
	v_and_b32_e32 v75, 3, v2
	v_or_b32_e32 v2, v74, v2
	v_or3_b32 v3, v42, v3, v75
	v_cmp_ne_u32_e32 vcc_lo, 0, v2
	v_lshlrev_b32_e32 v3, 8, v3
	v_cndmask_b32_e32 v74, 0, v3, vcc_lo
.LBB6_5781:                             ;   in Loop: Header=BB6_5278 Depth=2
	s_or_b32 exec_lo, exec_lo, s29
.LBB6_5782:                             ;   in Loop: Header=BB6_5278 Depth=2
	s_or_b32 exec_lo, exec_lo, s28
	v_and_b32_sdwa v75, v51, v46 dst_sel:DWORD dst_unused:UNUSED_PAD src0_sel:WORD_1 src1_sel:DWORD
	s_and_b32 vcc_lo, exec_lo, s27
	s_mov_b32 s28, -1
                                        ; implicit-def: $vgpr76
	v_cmp_lt_i16_e64 s12, 0x7f, v75
	s_cbranch_vccz .LBB6_5796
; %bb.5783:                             ;   in Loop: Header=BB6_5278 Depth=2
	s_mov_b32 s28, 0
	s_and_saveexec_b32 s29, s12
	s_xor_b32 s12, exec_lo, s29
	s_cbranch_execz .LBB6_7692
; %bb.5784:                             ;   in Loop: Header=BB6_5278 Depth=2
	s_mov_b32 s28, -1
	s_mov_b32 s29, exec_lo
	v_cmpx_eq_u16_e32 0x80, v75
; %bb.5785:                             ;   in Loop: Header=BB6_5278 Depth=2
	s_xor_b32 s28, exec_lo, -1
; %bb.5786:                             ;   in Loop: Header=BB6_5278 Depth=2
	s_or_b32 exec_lo, exec_lo, s29
	s_and_b32 s28, s28, exec_lo
	s_or_saveexec_b32 s12, s12
	v_mov_b32_e32 v76, 0x7f800001
	s_xor_b32 exec_lo, exec_lo, s12
	s_cbranch_execnz .LBB6_7693
.LBB6_5787:                             ;   in Loop: Header=BB6_5278 Depth=2
	s_or_b32 exec_lo, exec_lo, s12
	s_and_saveexec_b32 s12, s28
	s_cbranch_execz .LBB6_5789
.LBB6_5788:                             ;   in Loop: Header=BB6_5278 Depth=2
	v_bfe_u32 v2, v51, 16, 2
	v_bfe_u32 v76, v51, 18, 5
	v_lshlrev_b32_sdwa v77, v47, v51 dst_sel:DWORD dst_unused:UNUSED_PAD src0_sel:DWORD src1_sel:WORD_1
	v_ffbh_u32_e32 v3, v2
	v_cmp_eq_u32_e32 vcc_lo, 0, v76
	v_min_u32_e32 v3, 32, v3
	v_subrev_nc_u32_e32 v42, 29, v3
	v_sub_nc_u32_e32 v3, 30, v3
	v_lshlrev_b32_sdwa v42, v42, v51 dst_sel:DWORD dst_unused:UNUSED_PAD src0_sel:DWORD src1_sel:WORD_1
	v_cndmask_b32_e32 v3, v76, v3, vcc_lo
	v_and_b32_e32 v42, 3, v42
	v_lshl_add_u32 v3, v3, 23, 0x37800000
	v_cndmask_b32_e32 v2, v2, v42, vcc_lo
	v_and_b32_e32 v42, 0x80000000, v77
	v_lshlrev_b32_e32 v2, 21, v2
	v_or3_b32 v76, v42, v3, v2
.LBB6_5789:                             ;   in Loop: Header=BB6_5278 Depth=2
	s_or_b32 exec_lo, exec_lo, s12
	v_and_b32_sdwa v3, v39, v46 dst_sel:DWORD dst_unused:UNUSED_PAD src0_sel:WORD_1 src1_sel:DWORD
	s_mov_b32 s12, 0
	s_mov_b32 s28, exec_lo
	v_cmpx_lt_i16_e32 0x7f, v3
	s_xor_b32 s28, exec_lo, s28
	s_cbranch_execz .LBB6_7694
; %bb.5790:                             ;   in Loop: Header=BB6_5278 Depth=2
	s_mov_b32 s12, -1
	s_mov_b32 s29, exec_lo
	v_cmpx_eq_u16_e32 0x80, v3
; %bb.5791:                             ;   in Loop: Header=BB6_5278 Depth=2
	s_xor_b32 s12, exec_lo, -1
; %bb.5792:                             ;   in Loop: Header=BB6_5278 Depth=2
	s_or_b32 exec_lo, exec_lo, s29
	s_and_b32 s12, s12, exec_lo
                                        ; implicit-def: $vgpr3
	s_or_saveexec_b32 s28, s28
	v_mov_b32_e32 v2, 0x7f800001
	s_xor_b32 exec_lo, exec_lo, s28
	s_cbranch_execnz .LBB6_7695
.LBB6_5793:                             ;   in Loop: Header=BB6_5278 Depth=2
	s_or_b32 exec_lo, exec_lo, s28
	s_and_saveexec_b32 s28, s12
	s_cbranch_execz .LBB6_5795
.LBB6_5794:                             ;   in Loop: Header=BB6_5278 Depth=2
	v_bfe_u32 v2, v39, 16, 2
	v_bfe_u32 v77, v39, 18, 5
	v_lshlrev_b32_sdwa v78, v47, v39 dst_sel:DWORD dst_unused:UNUSED_PAD src0_sel:DWORD src1_sel:WORD_1
	v_ffbh_u32_e32 v3, v2
	v_cmp_eq_u32_e32 vcc_lo, 0, v77
	v_min_u32_e32 v3, 32, v3
	v_subrev_nc_u32_e32 v42, 29, v3
	v_sub_nc_u32_e32 v3, 30, v3
	v_lshlrev_b32_sdwa v42, v42, v39 dst_sel:DWORD dst_unused:UNUSED_PAD src0_sel:DWORD src1_sel:WORD_1
	v_cndmask_b32_e32 v3, v77, v3, vcc_lo
	v_and_b32_e32 v42, 3, v42
	v_lshl_add_u32 v3, v3, 23, 0x37800000
	v_cndmask_b32_e32 v2, v2, v42, vcc_lo
	v_and_b32_e32 v42, 0x80000000, v78
	v_lshlrev_b32_e32 v2, 21, v2
	v_or3_b32 v2, v42, v3, v2
.LBB6_5795:                             ;   in Loop: Header=BB6_5278 Depth=2
	s_or_b32 exec_lo, exec_lo, s28
	v_max_f32_e32 v2, v2, v2
	v_max_f32_e32 v3, v76, v76
	s_mov_b32 s28, 0
	v_max_f32_e32 v76, v3, v2
.LBB6_5796:                             ;   in Loop: Header=BB6_5278 Depth=2
	s_and_b32 vcc_lo, exec_lo, s28
	s_cbranch_vccz .LBB6_5810
; %bb.5797:                             ;   in Loop: Header=BB6_5278 Depth=2
	s_mov_b32 s12, 0
	s_mov_b32 s28, exec_lo
	v_cmpx_lt_i16_e32 0x7f, v75
	s_xor_b32 s28, exec_lo, s28
	s_cbranch_execz .LBB6_7696
; %bb.5798:                             ;   in Loop: Header=BB6_5278 Depth=2
	s_mov_b32 s12, -1
	s_mov_b32 s29, exec_lo
	v_cmpx_eq_u16_e32 0x80, v75
; %bb.5799:                             ;   in Loop: Header=BB6_5278 Depth=2
	s_xor_b32 s12, exec_lo, -1
; %bb.5800:                             ;   in Loop: Header=BB6_5278 Depth=2
	s_or_b32 exec_lo, exec_lo, s29
	s_and_b32 s12, s12, exec_lo
                                        ; implicit-def: $vgpr75
	s_or_saveexec_b32 s28, s28
	v_mov_b32_e32 v76, 0x7f800001
	s_xor_b32 exec_lo, exec_lo, s28
	s_cbranch_execnz .LBB6_7697
.LBB6_5801:                             ;   in Loop: Header=BB6_5278 Depth=2
	s_or_b32 exec_lo, exec_lo, s28
	s_and_saveexec_b32 s28, s12
	s_cbranch_execz .LBB6_5803
.LBB6_5802:                             ;   in Loop: Header=BB6_5278 Depth=2
	v_bfe_u32 v2, v51, 16, 2
	v_bfe_u32 v75, v51, 18, 5
	v_lshlrev_b32_sdwa v76, v47, v51 dst_sel:DWORD dst_unused:UNUSED_PAD src0_sel:DWORD src1_sel:WORD_1
	v_ffbh_u32_e32 v3, v2
	v_cmp_eq_u32_e32 vcc_lo, 0, v75
	v_min_u32_e32 v3, 32, v3
	v_subrev_nc_u32_e32 v42, 29, v3
	v_sub_nc_u32_e32 v3, 30, v3
	v_lshlrev_b32_sdwa v42, v42, v51 dst_sel:DWORD dst_unused:UNUSED_PAD src0_sel:DWORD src1_sel:WORD_1
	v_cndmask_b32_e32 v3, v75, v3, vcc_lo
	v_and_b32_e32 v42, 3, v42
	v_lshl_add_u32 v3, v3, 23, 0x37800000
	v_cndmask_b32_e32 v2, v2, v42, vcc_lo
	v_and_b32_e32 v42, 0x80000000, v76
	v_lshlrev_b32_e32 v2, 21, v2
	v_or3_b32 v76, v42, v3, v2
.LBB6_5803:                             ;   in Loop: Header=BB6_5278 Depth=2
	s_or_b32 exec_lo, exec_lo, s28
	v_and_b32_sdwa v3, v39, v46 dst_sel:DWORD dst_unused:UNUSED_PAD src0_sel:WORD_1 src1_sel:DWORD
	s_mov_b32 s12, 0
	s_mov_b32 s28, exec_lo
	v_cmpx_lt_i16_e32 0x7f, v3
	s_xor_b32 s28, exec_lo, s28
	s_cbranch_execz .LBB6_7698
; %bb.5804:                             ;   in Loop: Header=BB6_5278 Depth=2
	s_mov_b32 s12, -1
	s_mov_b32 s29, exec_lo
	v_cmpx_eq_u16_e32 0x80, v3
; %bb.5805:                             ;   in Loop: Header=BB6_5278 Depth=2
	s_xor_b32 s12, exec_lo, -1
; %bb.5806:                             ;   in Loop: Header=BB6_5278 Depth=2
	s_or_b32 exec_lo, exec_lo, s29
	s_and_b32 s12, s12, exec_lo
                                        ; implicit-def: $vgpr3
	s_or_saveexec_b32 s28, s28
	v_mov_b32_e32 v2, 0x7f800001
	s_xor_b32 exec_lo, exec_lo, s28
	s_cbranch_execnz .LBB6_7699
.LBB6_5807:                             ;   in Loop: Header=BB6_5278 Depth=2
	s_or_b32 exec_lo, exec_lo, s28
	s_and_saveexec_b32 s28, s12
	s_cbranch_execz .LBB6_5809
.LBB6_5808:                             ;   in Loop: Header=BB6_5278 Depth=2
	v_bfe_u32 v2, v39, 16, 2
	v_bfe_u32 v75, v39, 18, 5
	v_lshlrev_b32_sdwa v77, v47, v39 dst_sel:DWORD dst_unused:UNUSED_PAD src0_sel:DWORD src1_sel:WORD_1
	v_ffbh_u32_e32 v3, v2
	v_cmp_eq_u32_e32 vcc_lo, 0, v75
	v_min_u32_e32 v3, 32, v3
	v_subrev_nc_u32_e32 v42, 29, v3
	v_sub_nc_u32_e32 v3, 30, v3
	v_lshlrev_b32_sdwa v42, v42, v39 dst_sel:DWORD dst_unused:UNUSED_PAD src0_sel:DWORD src1_sel:WORD_1
	v_cndmask_b32_e32 v3, v75, v3, vcc_lo
	v_and_b32_e32 v42, 3, v42
	v_lshl_add_u32 v3, v3, 23, 0x37800000
	v_cndmask_b32_e32 v2, v2, v42, vcc_lo
	v_and_b32_e32 v42, 0x80000000, v77
	v_lshlrev_b32_e32 v2, 21, v2
	v_or3_b32 v2, v42, v3, v2
.LBB6_5809:                             ;   in Loop: Header=BB6_5278 Depth=2
	s_or_b32 exec_lo, exec_lo, s28
	v_max_f32_e32 v2, v2, v2
	v_max_f32_e32 v3, v76, v76
	v_min_f32_e32 v76, v3, v2
.LBB6_5810:                             ;   in Loop: Header=BB6_5278 Depth=2
	v_and_b32_e32 v2, 0x7f800000, v76
	v_mov_b32_e32 v75, 0x80
	s_mov_b32 s28, exec_lo
	v_cmpx_ne_u32_e32 0x7f800000, v2
	s_cbranch_execz .LBB6_5818
; %bb.5811:                             ;   in Loop: Header=BB6_5278 Depth=2
	v_mov_b32_e32 v75, 0
	s_mov_b32 s29, exec_lo
	v_cmpx_ne_u32_e32 0, v76
	s_cbranch_execz .LBB6_5817
; %bb.5812:                             ;   in Loop: Header=BB6_5278 Depth=2
	v_bfe_u32 v2, v76, 23, 8
	v_and_b32_e32 v3, 0x7fffff, v76
	v_sub_nc_u32_e32 v42, 0x70, v2
	v_cmp_gt_u32_e32 vcc_lo, 0x71, v2
	v_or_b32_e32 v75, 0x800000, v3
	v_cndmask_b32_e32 v42, 0, v42, vcc_lo
	v_cmp_eq_u32_e32 vcc_lo, 0, v2
	v_add_nc_u32_e32 v2, 0xffffff91, v2
	v_cndmask_b32_e64 v42, v42, 0x6f, vcc_lo
	v_cndmask_b32_e32 v3, v75, v3, vcc_lo
	v_cndmask_b32_e64 v2, v2, 0xffffff92, vcc_lo
	v_lshl_add_u32 v77, 0x200000, v42, -1
	v_lshrrev_b32_e32 v75, v42, v3
	v_lshlrev_b32_e64 v79, v42, 0x100000
	v_add_nc_u32_e32 v2, v42, v2
	v_and_b32_e32 v3, v77, v3
	v_bfe_u32 v78, v75, 21, 1
	v_cmp_eq_u32_e64 s12, v3, v79
	v_add_nc_u32_e32 v77, -1, v78
	v_cndmask_b32_e64 v3, 0, v77, s12
	v_lshrrev_b32_e32 v77, 23, v75
	s_mov_b32 s12, exec_lo
	v_add_nc_u32_e32 v3, v3, v75
	v_and_b32_e32 v42, 0x1fffff, v3
	v_xor_b32_e32 v3, 1, v77
	v_add_nc_u32_e32 v77, v42, v75
                                        ; implicit-def: $vgpr75
	v_cmpx_ne_u32_e64 v2, v3
	s_xor_b32 s12, exec_lo, s12
; %bb.5813:                             ;   in Loop: Header=BB6_5278 Depth=2
	v_cmp_lt_u32_e32 vcc_lo, 0xffffff, v77
	v_sub_nc_u32_e32 v2, v2, v3
	v_cndmask_b32_e64 v3, 0, 1, vcc_lo
	v_add_co_ci_u32_e64 v75, null, 0, v2, vcc_lo
	v_lshrrev_b32_e32 v77, v3, v77
; %bb.5814:                             ;   in Loop: Header=BB6_5278 Depth=2
	s_andn2_saveexec_b32 s12, s12
; %bb.5815:                             ;   in Loop: Header=BB6_5278 Depth=2
	v_bfe_u32 v75, v77, 23, 1
; %bb.5816:                             ;   in Loop: Header=BB6_5278 Depth=2
	s_or_b32 exec_lo, exec_lo, s12
	v_lshrrev_b32_e32 v2, 21, v77
	v_min_i32_e32 v3, 31, v75
	v_cmp_gt_i32_e32 vcc_lo, 32, v75
	v_and_b32_sdwa v42, v76, v44 dst_sel:DWORD dst_unused:UNUSED_PAD src0_sel:BYTE_3 src1_sel:DWORD
	v_lshlrev_b32_e32 v3, 2, v3
	v_cndmask_b32_e32 v2, 3, v2, vcc_lo
	v_and_b32_e32 v3, 0xfc, v3
	v_and_b32_e32 v76, 3, v2
	v_or_b32_e32 v2, v75, v2
	v_or3_b32 v3, v3, v42, v76
	v_cmp_ne_u32_e32 vcc_lo, 0, v2
	v_cndmask_b32_e32 v75, 0, v3, vcc_lo
.LBB6_5817:                             ;   in Loop: Header=BB6_5278 Depth=2
	s_or_b32 exec_lo, exec_lo, s29
.LBB6_5818:                             ;   in Loop: Header=BB6_5278 Depth=2
	s_or_b32 exec_lo, exec_lo, s28
	v_cmp_gt_i16_sdwa s28, v51, v43 src0_sel:BYTE_3 src1_sel:DWORD
	s_and_b32 vcc_lo, exec_lo, s27
	s_mov_b32 s12, -1
                                        ; implicit-def: $vgpr76
	s_cbranch_vccz .LBB6_5832
; %bb.5819:                             ;   in Loop: Header=BB6_5278 Depth=2
	s_mov_b32 s12, 0
	s_and_saveexec_b32 s29, s28
	s_xor_b32 s28, exec_lo, s29
	s_cbranch_execz .LBB6_7700
; %bb.5820:                             ;   in Loop: Header=BB6_5278 Depth=2
	v_cmp_eq_u16_sdwa s40, v51, v44 src0_sel:BYTE_3 src1_sel:DWORD
	s_mov_b32 s12, -1
	s_and_saveexec_b32 s29, s40
; %bb.5821:                             ;   in Loop: Header=BB6_5278 Depth=2
	s_xor_b32 s12, exec_lo, -1
; %bb.5822:                             ;   in Loop: Header=BB6_5278 Depth=2
	s_or_b32 exec_lo, exec_lo, s29
	s_and_b32 s12, s12, exec_lo
	s_or_saveexec_b32 s28, s28
	v_mov_b32_e32 v76, 0x7f800001
	s_xor_b32 exec_lo, exec_lo, s28
	s_cbranch_execnz .LBB6_7701
.LBB6_5823:                             ;   in Loop: Header=BB6_5278 Depth=2
	s_or_b32 exec_lo, exec_lo, s28
	s_and_saveexec_b32 s28, s12
	s_cbranch_execz .LBB6_5825
.LBB6_5824:                             ;   in Loop: Header=BB6_5278 Depth=2
	v_bfe_u32 v2, v51, 24, 2
	v_bfe_u32 v76, v51, 26, 5
	v_ffbh_u32_e32 v3, v2
	v_cmp_eq_u32_e32 vcc_lo, 0, v76
	v_min_u32_e32 v3, 32, v3
	v_subrev_nc_u32_e32 v42, 29, v3
	v_sub_nc_u32_e32 v3, 30, v3
	v_lshlrev_b32_sdwa v42, v42, v51 dst_sel:DWORD dst_unused:UNUSED_PAD src0_sel:DWORD src1_sel:BYTE_3
	v_cndmask_b32_e32 v3, v76, v3, vcc_lo
	v_and_b32_e32 v42, 3, v42
	v_lshl_add_u32 v3, v3, 23, 0x37800000
	v_cndmask_b32_e32 v2, v2, v42, vcc_lo
	v_and_b32_e32 v42, 0x80000000, v51
	v_lshlrev_b32_e32 v2, 21, v2
	v_or3_b32 v76, v42, v3, v2
.LBB6_5825:                             ;   in Loop: Header=BB6_5278 Depth=2
	s_or_b32 exec_lo, exec_lo, s28
	v_cmp_gt_i16_sdwa s28, v39, v43 src0_sel:BYTE_3 src1_sel:DWORD
	s_mov_b32 s12, 0
	s_and_saveexec_b32 s29, s28
	s_xor_b32 s28, exec_lo, s29
	s_cbranch_execz .LBB6_7702
; %bb.5826:                             ;   in Loop: Header=BB6_5278 Depth=2
	v_cmp_eq_u16_sdwa s40, v39, v44 src0_sel:BYTE_3 src1_sel:DWORD
	s_mov_b32 s12, -1
	s_and_saveexec_b32 s29, s40
; %bb.5827:                             ;   in Loop: Header=BB6_5278 Depth=2
	s_xor_b32 s12, exec_lo, -1
; %bb.5828:                             ;   in Loop: Header=BB6_5278 Depth=2
	s_or_b32 exec_lo, exec_lo, s29
	s_and_b32 s12, s12, exec_lo
	s_or_saveexec_b32 s28, s28
	v_mov_b32_e32 v2, 0x7f800001
	s_xor_b32 exec_lo, exec_lo, s28
	s_cbranch_execnz .LBB6_7703
.LBB6_5829:                             ;   in Loop: Header=BB6_5278 Depth=2
	s_or_b32 exec_lo, exec_lo, s28
	s_and_saveexec_b32 s28, s12
	s_cbranch_execz .LBB6_5831
.LBB6_5830:                             ;   in Loop: Header=BB6_5278 Depth=2
	v_bfe_u32 v2, v39, 24, 2
	v_bfe_u32 v77, v39, 26, 5
	v_ffbh_u32_e32 v3, v2
	v_cmp_eq_u32_e32 vcc_lo, 0, v77
	v_min_u32_e32 v3, 32, v3
	v_subrev_nc_u32_e32 v42, 29, v3
	v_sub_nc_u32_e32 v3, 30, v3
	v_lshlrev_b32_sdwa v42, v42, v39 dst_sel:DWORD dst_unused:UNUSED_PAD src0_sel:DWORD src1_sel:BYTE_3
	v_cndmask_b32_e32 v3, v77, v3, vcc_lo
	v_and_b32_e32 v42, 3, v42
	v_lshl_add_u32 v3, v3, 23, 0x37800000
	v_cndmask_b32_e32 v2, v2, v42, vcc_lo
	v_and_b32_e32 v42, 0x80000000, v39
	v_lshlrev_b32_e32 v2, 21, v2
	v_or3_b32 v2, v42, v3, v2
.LBB6_5831:                             ;   in Loop: Header=BB6_5278 Depth=2
	s_or_b32 exec_lo, exec_lo, s28
	v_max_f32_e32 v2, v2, v2
	v_max_f32_e32 v3, v76, v76
	s_mov_b32 s12, 0
	v_max_f32_e32 v76, v3, v2
.LBB6_5832:                             ;   in Loop: Header=BB6_5278 Depth=2
	s_and_b32 vcc_lo, exec_lo, s12
	s_cbranch_vccz .LBB6_5846
; %bb.5833:                             ;   in Loop: Header=BB6_5278 Depth=2
	v_cmp_gt_i16_sdwa s28, v51, v43 src0_sel:BYTE_3 src1_sel:DWORD
	s_mov_b32 s12, 0
	s_and_saveexec_b32 s29, s28
	s_xor_b32 s28, exec_lo, s29
	s_cbranch_execz .LBB6_7704
; %bb.5834:                             ;   in Loop: Header=BB6_5278 Depth=2
	v_cmp_eq_u16_sdwa s40, v51, v44 src0_sel:BYTE_3 src1_sel:DWORD
	s_mov_b32 s12, -1
	s_and_saveexec_b32 s29, s40
; %bb.5835:                             ;   in Loop: Header=BB6_5278 Depth=2
	s_xor_b32 s12, exec_lo, -1
; %bb.5836:                             ;   in Loop: Header=BB6_5278 Depth=2
	s_or_b32 exec_lo, exec_lo, s29
	s_and_b32 s12, s12, exec_lo
	s_or_saveexec_b32 s28, s28
	v_mov_b32_e32 v76, 0x7f800001
	s_xor_b32 exec_lo, exec_lo, s28
	s_cbranch_execnz .LBB6_7705
.LBB6_5837:                             ;   in Loop: Header=BB6_5278 Depth=2
	s_or_b32 exec_lo, exec_lo, s28
	s_and_saveexec_b32 s28, s12
	s_cbranch_execz .LBB6_5839
.LBB6_5838:                             ;   in Loop: Header=BB6_5278 Depth=2
	v_bfe_u32 v2, v51, 24, 2
	v_bfe_u32 v76, v51, 26, 5
	v_ffbh_u32_e32 v3, v2
	v_cmp_eq_u32_e32 vcc_lo, 0, v76
	v_min_u32_e32 v3, 32, v3
	v_subrev_nc_u32_e32 v42, 29, v3
	v_sub_nc_u32_e32 v3, 30, v3
	v_lshlrev_b32_sdwa v42, v42, v51 dst_sel:DWORD dst_unused:UNUSED_PAD src0_sel:DWORD src1_sel:BYTE_3
	v_cndmask_b32_e32 v3, v76, v3, vcc_lo
	v_and_b32_e32 v51, 0x80000000, v51
	v_and_b32_e32 v42, 3, v42
	v_lshl_add_u32 v3, v3, 23, 0x37800000
	v_cndmask_b32_e32 v2, v2, v42, vcc_lo
	v_lshlrev_b32_e32 v2, 21, v2
	v_or3_b32 v76, v51, v3, v2
.LBB6_5839:                             ;   in Loop: Header=BB6_5278 Depth=2
	s_or_b32 exec_lo, exec_lo, s28
	v_cmp_gt_i16_sdwa s28, v39, v43 src0_sel:BYTE_3 src1_sel:DWORD
	s_mov_b32 s12, 0
	s_and_saveexec_b32 s29, s28
	s_xor_b32 s28, exec_lo, s29
	s_cbranch_execz .LBB6_7706
; %bb.5840:                             ;   in Loop: Header=BB6_5278 Depth=2
	v_cmp_eq_u16_sdwa s40, v39, v44 src0_sel:BYTE_3 src1_sel:DWORD
	s_mov_b32 s12, -1
	s_and_saveexec_b32 s29, s40
; %bb.5841:                             ;   in Loop: Header=BB6_5278 Depth=2
	s_xor_b32 s12, exec_lo, -1
; %bb.5842:                             ;   in Loop: Header=BB6_5278 Depth=2
	s_or_b32 exec_lo, exec_lo, s29
	s_and_b32 s12, s12, exec_lo
	s_or_saveexec_b32 s28, s28
	v_mov_b32_e32 v2, 0x7f800001
	s_xor_b32 exec_lo, exec_lo, s28
	s_cbranch_execnz .LBB6_7707
.LBB6_5843:                             ;   in Loop: Header=BB6_5278 Depth=2
	s_or_b32 exec_lo, exec_lo, s28
	s_and_saveexec_b32 s28, s12
	s_cbranch_execz .LBB6_5845
.LBB6_5844:                             ;   in Loop: Header=BB6_5278 Depth=2
	v_bfe_u32 v2, v39, 24, 2
	v_bfe_u32 v42, v39, 26, 5
	v_ffbh_u32_e32 v3, v2
	v_cmp_eq_u32_e32 vcc_lo, 0, v42
	v_min_u32_e32 v3, 32, v3
	v_subrev_nc_u32_e32 v51, 29, v3
	v_sub_nc_u32_e32 v3, 30, v3
	v_lshlrev_b32_sdwa v51, v51, v39 dst_sel:DWORD dst_unused:UNUSED_PAD src0_sel:DWORD src1_sel:BYTE_3
	v_cndmask_b32_e32 v3, v42, v3, vcc_lo
	v_and_b32_e32 v39, 0x80000000, v39
	v_and_b32_e32 v51, 3, v51
	v_lshl_add_u32 v3, v3, 23, 0x37800000
	v_cndmask_b32_e32 v2, v2, v51, vcc_lo
	v_lshlrev_b32_e32 v2, 21, v2
	v_or3_b32 v2, v39, v3, v2
.LBB6_5845:                             ;   in Loop: Header=BB6_5278 Depth=2
	s_or_b32 exec_lo, exec_lo, s28
	v_max_f32_e32 v2, v2, v2
	v_max_f32_e32 v3, v76, v76
	v_min_f32_e32 v76, v3, v2
.LBB6_5846:                             ;   in Loop: Header=BB6_5278 Depth=2
	v_and_b32_e32 v2, 0x7f800000, v76
	v_mov_b32_e32 v39, 0x8000
	s_mov_b32 s28, exec_lo
	v_cmpx_ne_u32_e32 0x7f800000, v2
	s_cbranch_execz .LBB6_5854
; %bb.5847:                             ;   in Loop: Header=BB6_5278 Depth=2
	v_mov_b32_e32 v39, 0
	s_mov_b32 s29, exec_lo
	v_cmpx_ne_u32_e32 0, v76
	s_cbranch_execz .LBB6_5853
; %bb.5848:                             ;   in Loop: Header=BB6_5278 Depth=2
	v_bfe_u32 v2, v76, 23, 8
	v_and_b32_e32 v3, 0x7fffff, v76
	v_sub_nc_u32_e32 v39, 0x70, v2
	v_cmp_gt_u32_e32 vcc_lo, 0x71, v2
	v_or_b32_e32 v51, 0x800000, v3
	v_cndmask_b32_e32 v39, 0, v39, vcc_lo
	v_cmp_eq_u32_e32 vcc_lo, 0, v2
	v_add_nc_u32_e32 v2, 0xffffff91, v2
	v_cndmask_b32_e64 v39, v39, 0x6f, vcc_lo
	v_cndmask_b32_e32 v3, v51, v3, vcc_lo
	v_cndmask_b32_e64 v2, v2, 0xffffff92, vcc_lo
	v_lshl_add_u32 v42, 0x200000, v39, -1
	v_lshrrev_b32_e32 v51, v39, v3
	v_lshlrev_b32_e64 v78, v39, 0x100000
	v_add_nc_u32_e32 v2, v39, v2
	v_and_b32_e32 v3, v42, v3
	v_bfe_u32 v77, v51, 21, 1
	v_cmp_eq_u32_e64 s12, v3, v78
	v_add_nc_u32_e32 v42, -1, v77
	v_cndmask_b32_e64 v3, 0, v42, s12
	v_lshrrev_b32_e32 v42, 23, v51
	s_mov_b32 s12, exec_lo
	v_add_nc_u32_e32 v3, v3, v51
	v_and_b32_e32 v39, 0x1fffff, v3
	v_xor_b32_e32 v3, 1, v42
	v_add_nc_u32_e32 v51, v39, v51
                                        ; implicit-def: $vgpr39
	v_cmpx_ne_u32_e64 v2, v3
	s_xor_b32 s12, exec_lo, s12
; %bb.5849:                             ;   in Loop: Header=BB6_5278 Depth=2
	v_cmp_lt_u32_e32 vcc_lo, 0xffffff, v51
	v_sub_nc_u32_e32 v2, v2, v3
	v_cndmask_b32_e64 v3, 0, 1, vcc_lo
	v_add_co_ci_u32_e64 v39, null, 0, v2, vcc_lo
	v_lshrrev_b32_e32 v51, v3, v51
; %bb.5850:                             ;   in Loop: Header=BB6_5278 Depth=2
	s_andn2_saveexec_b32 s12, s12
; %bb.5851:                             ;   in Loop: Header=BB6_5278 Depth=2
	v_bfe_u32 v39, v51, 23, 1
; %bb.5852:                             ;   in Loop: Header=BB6_5278 Depth=2
	s_or_b32 exec_lo, exec_lo, s12
	v_lshrrev_b32_e32 v2, 21, v51
	v_min_i32_e32 v3, 31, v39
	v_cmp_gt_i32_e32 vcc_lo, 32, v39
	v_and_b32_sdwa v51, v76, v44 dst_sel:DWORD dst_unused:UNUSED_PAD src0_sel:BYTE_3 src1_sel:DWORD
	v_lshlrev_b32_e32 v3, 2, v3
	v_cndmask_b32_e32 v2, 3, v2, vcc_lo
	v_and_b32_e32 v3, 0xfc, v3
	v_and_b32_e32 v42, 3, v2
	v_or_b32_e32 v2, v39, v2
	v_or3_b32 v3, v51, v3, v42
	v_cmp_ne_u32_e32 vcc_lo, 0, v2
	v_lshlrev_b32_e32 v3, 8, v3
	v_cndmask_b32_e32 v39, 0, v3, vcc_lo
.LBB6_5853:                             ;   in Loop: Header=BB6_5278 Depth=2
	s_or_b32 exec_lo, exec_lo, s29
.LBB6_5854:                             ;   in Loop: Header=BB6_5278 Depth=2
	s_or_b32 exec_lo, exec_lo, s28
	v_cmp_gt_i16_sdwa s28, v32, v43 src0_sel:BYTE_0 src1_sel:DWORD
	s_andn2_b32 vcc_lo, exec_lo, s27
	s_mov_b32 s12, -1
                                        ; implicit-def: $vgpr76
	s_cbranch_vccnz .LBB6_5868
; %bb.5855:                             ;   in Loop: Header=BB6_5278 Depth=2
	s_mov_b32 s12, 0
	s_and_saveexec_b32 s29, s28
	s_xor_b32 s28, exec_lo, s29
	s_cbranch_execz .LBB6_7708
; %bb.5856:                             ;   in Loop: Header=BB6_5278 Depth=2
	v_cmp_eq_u16_sdwa s40, v32, v44 src0_sel:BYTE_0 src1_sel:DWORD
	s_mov_b32 s12, -1
	s_and_saveexec_b32 s29, s40
; %bb.5857:                             ;   in Loop: Header=BB6_5278 Depth=2
	s_xor_b32 s12, exec_lo, -1
; %bb.5858:                             ;   in Loop: Header=BB6_5278 Depth=2
	s_or_b32 exec_lo, exec_lo, s29
	s_and_b32 s12, s12, exec_lo
	s_or_saveexec_b32 s28, s28
	v_mov_b32_e32 v51, 0x7f800001
	s_xor_b32 exec_lo, exec_lo, s28
	s_cbranch_execnz .LBB6_7709
.LBB6_5859:                             ;   in Loop: Header=BB6_5278 Depth=2
	s_or_b32 exec_lo, exec_lo, s28
	s_and_saveexec_b32 s28, s12
	s_cbranch_execz .LBB6_5861
.LBB6_5860:                             ;   in Loop: Header=BB6_5278 Depth=2
	v_and_b32_e32 v2, 3, v32
	v_bfe_u32 v42, v32, 2, 5
	v_lshlrev_b32_e32 v76, 24, v32
	v_ffbh_u32_e32 v3, v2
	v_cmp_eq_u32_e32 vcc_lo, 0, v42
	v_min_u32_e32 v3, 32, v3
	v_subrev_nc_u32_e32 v51, 29, v3
	v_sub_nc_u32_e32 v3, 30, v3
	v_lshlrev_b32_e32 v51, v51, v32
	v_cndmask_b32_e32 v3, v42, v3, vcc_lo
	v_and_b32_e32 v51, 3, v51
	v_lshl_add_u32 v3, v3, 23, 0x37800000
	v_cndmask_b32_e32 v2, v2, v51, vcc_lo
	v_and_b32_e32 v51, 0x80000000, v76
	v_lshlrev_b32_e32 v2, 21, v2
	v_or3_b32 v51, v51, v3, v2
.LBB6_5861:                             ;   in Loop: Header=BB6_5278 Depth=2
	s_or_b32 exec_lo, exec_lo, s28
	s_waitcnt vmcnt(2)
	v_cmp_gt_i16_sdwa s28, v26, v43 src0_sel:BYTE_0 src1_sel:DWORD
	s_mov_b32 s12, 0
	s_and_saveexec_b32 s29, s28
	s_xor_b32 s28, exec_lo, s29
	s_cbranch_execz .LBB6_7710
; %bb.5862:                             ;   in Loop: Header=BB6_5278 Depth=2
	v_cmp_eq_u16_sdwa s40, v26, v44 src0_sel:BYTE_0 src1_sel:DWORD
	s_mov_b32 s12, -1
	s_and_saveexec_b32 s29, s40
; %bb.5863:                             ;   in Loop: Header=BB6_5278 Depth=2
	s_xor_b32 s12, exec_lo, -1
; %bb.5864:                             ;   in Loop: Header=BB6_5278 Depth=2
	s_or_b32 exec_lo, exec_lo, s29
	s_and_b32 s12, s12, exec_lo
	s_or_saveexec_b32 s28, s28
	v_mov_b32_e32 v2, 0x7f800001
	s_xor_b32 exec_lo, exec_lo, s28
	s_cbranch_execnz .LBB6_7711
.LBB6_5865:                             ;   in Loop: Header=BB6_5278 Depth=2
	s_or_b32 exec_lo, exec_lo, s28
	s_and_saveexec_b32 s28, s12
	s_cbranch_execz .LBB6_5867
.LBB6_5866:                             ;   in Loop: Header=BB6_5278 Depth=2
	v_and_b32_e32 v2, 3, v26
	v_bfe_u32 v76, v26, 2, 5
	v_lshlrev_b32_e32 v77, 24, v26
	v_ffbh_u32_e32 v3, v2
	v_cmp_eq_u32_e32 vcc_lo, 0, v76
	v_min_u32_e32 v3, 32, v3
	v_subrev_nc_u32_e32 v42, 29, v3
	v_sub_nc_u32_e32 v3, 30, v3
	v_lshlrev_b32_e32 v42, v42, v26
	v_cndmask_b32_e32 v3, v76, v3, vcc_lo
	v_and_b32_e32 v42, 3, v42
	v_lshl_add_u32 v3, v3, 23, 0x37800000
	v_cndmask_b32_e32 v2, v2, v42, vcc_lo
	v_and_b32_e32 v42, 0x80000000, v77
	v_lshlrev_b32_e32 v2, 21, v2
	v_or3_b32 v2, v42, v3, v2
.LBB6_5867:                             ;   in Loop: Header=BB6_5278 Depth=2
	s_or_b32 exec_lo, exec_lo, s28
	v_max_f32_e32 v2, v2, v2
	v_max_f32_e32 v3, v51, v51
	s_mov_b32 s12, 0
	v_max_f32_e32 v76, v3, v2
.LBB6_5868:                             ;   in Loop: Header=BB6_5278 Depth=2
	s_and_b32 vcc_lo, exec_lo, s12
	s_cbranch_vccz .LBB6_5882
; %bb.5869:                             ;   in Loop: Header=BB6_5278 Depth=2
	v_cmp_gt_i16_sdwa s28, v32, v43 src0_sel:BYTE_0 src1_sel:DWORD
	s_mov_b32 s12, 0
	s_and_saveexec_b32 s29, s28
	s_xor_b32 s28, exec_lo, s29
	s_cbranch_execz .LBB6_7712
; %bb.5870:                             ;   in Loop: Header=BB6_5278 Depth=2
	v_cmp_eq_u16_sdwa s40, v32, v44 src0_sel:BYTE_0 src1_sel:DWORD
	s_mov_b32 s12, -1
	s_and_saveexec_b32 s29, s40
; %bb.5871:                             ;   in Loop: Header=BB6_5278 Depth=2
	s_xor_b32 s12, exec_lo, -1
; %bb.5872:                             ;   in Loop: Header=BB6_5278 Depth=2
	s_or_b32 exec_lo, exec_lo, s29
	s_and_b32 s12, s12, exec_lo
	s_or_saveexec_b32 s28, s28
	v_mov_b32_e32 v51, 0x7f800001
	s_xor_b32 exec_lo, exec_lo, s28
	s_cbranch_execnz .LBB6_7713
.LBB6_5873:                             ;   in Loop: Header=BB6_5278 Depth=2
	s_or_b32 exec_lo, exec_lo, s28
	s_and_saveexec_b32 s28, s12
	s_cbranch_execz .LBB6_5875
.LBB6_5874:                             ;   in Loop: Header=BB6_5278 Depth=2
	v_and_b32_e32 v2, 3, v32
	v_bfe_u32 v42, v32, 2, 5
	v_lshlrev_b32_e32 v76, 24, v32
	v_ffbh_u32_e32 v3, v2
	v_cmp_eq_u32_e32 vcc_lo, 0, v42
	v_min_u32_e32 v3, 32, v3
	v_subrev_nc_u32_e32 v51, 29, v3
	v_sub_nc_u32_e32 v3, 30, v3
	v_lshlrev_b32_e32 v51, v51, v32
	v_cndmask_b32_e32 v3, v42, v3, vcc_lo
	v_and_b32_e32 v51, 3, v51
	v_lshl_add_u32 v3, v3, 23, 0x37800000
	v_cndmask_b32_e32 v2, v2, v51, vcc_lo
	v_and_b32_e32 v51, 0x80000000, v76
	v_lshlrev_b32_e32 v2, 21, v2
	v_or3_b32 v51, v51, v3, v2
.LBB6_5875:                             ;   in Loop: Header=BB6_5278 Depth=2
	s_or_b32 exec_lo, exec_lo, s28
	s_waitcnt vmcnt(2)
	v_cmp_gt_i16_sdwa s28, v26, v43 src0_sel:BYTE_0 src1_sel:DWORD
	s_mov_b32 s12, 0
	s_and_saveexec_b32 s29, s28
	s_xor_b32 s28, exec_lo, s29
	s_cbranch_execz .LBB6_7714
; %bb.5876:                             ;   in Loop: Header=BB6_5278 Depth=2
	v_cmp_eq_u16_sdwa s40, v26, v44 src0_sel:BYTE_0 src1_sel:DWORD
	s_mov_b32 s12, -1
	s_and_saveexec_b32 s29, s40
; %bb.5877:                             ;   in Loop: Header=BB6_5278 Depth=2
	s_xor_b32 s12, exec_lo, -1
; %bb.5878:                             ;   in Loop: Header=BB6_5278 Depth=2
	s_or_b32 exec_lo, exec_lo, s29
	s_and_b32 s12, s12, exec_lo
	s_or_saveexec_b32 s28, s28
	v_mov_b32_e32 v2, 0x7f800001
	s_xor_b32 exec_lo, exec_lo, s28
	s_cbranch_execnz .LBB6_7715
.LBB6_5879:                             ;   in Loop: Header=BB6_5278 Depth=2
	s_or_b32 exec_lo, exec_lo, s28
	s_and_saveexec_b32 s28, s12
	s_cbranch_execz .LBB6_5881
.LBB6_5880:                             ;   in Loop: Header=BB6_5278 Depth=2
	v_and_b32_e32 v2, 3, v26
	v_bfe_u32 v76, v26, 2, 5
	v_lshlrev_b32_e32 v77, 24, v26
	v_ffbh_u32_e32 v3, v2
	v_cmp_eq_u32_e32 vcc_lo, 0, v76
	v_min_u32_e32 v3, 32, v3
	v_subrev_nc_u32_e32 v42, 29, v3
	v_sub_nc_u32_e32 v3, 30, v3
	v_lshlrev_b32_e32 v42, v42, v26
	v_cndmask_b32_e32 v3, v76, v3, vcc_lo
	v_and_b32_e32 v42, 3, v42
	v_lshl_add_u32 v3, v3, 23, 0x37800000
	v_cndmask_b32_e32 v2, v2, v42, vcc_lo
	v_and_b32_e32 v42, 0x80000000, v77
	v_lshlrev_b32_e32 v2, 21, v2
	v_or3_b32 v2, v42, v3, v2
.LBB6_5881:                             ;   in Loop: Header=BB6_5278 Depth=2
	s_or_b32 exec_lo, exec_lo, s28
	v_max_f32_e32 v2, v2, v2
	v_max_f32_e32 v3, v51, v51
	v_min_f32_e32 v76, v3, v2
.LBB6_5882:                             ;   in Loop: Header=BB6_5278 Depth=2
	v_and_b32_e32 v2, 0x7f800000, v76
	v_mov_b32_e32 v51, 0x80
	s_mov_b32 s28, exec_lo
	v_cmpx_ne_u32_e32 0x7f800000, v2
	s_cbranch_execz .LBB6_5890
; %bb.5883:                             ;   in Loop: Header=BB6_5278 Depth=2
	v_mov_b32_e32 v51, 0
	s_mov_b32 s29, exec_lo
	v_cmpx_ne_u32_e32 0, v76
	s_cbranch_execz .LBB6_5889
; %bb.5884:                             ;   in Loop: Header=BB6_5278 Depth=2
	v_bfe_u32 v2, v76, 23, 8
	v_and_b32_e32 v3, 0x7fffff, v76
	v_sub_nc_u32_e32 v51, 0x70, v2
	v_cmp_gt_u32_e32 vcc_lo, 0x71, v2
	v_or_b32_e32 v42, 0x800000, v3
	v_cndmask_b32_e32 v51, 0, v51, vcc_lo
	v_cmp_eq_u32_e32 vcc_lo, 0, v2
	v_add_nc_u32_e32 v2, 0xffffff91, v2
	v_cndmask_b32_e64 v51, v51, 0x6f, vcc_lo
	v_cndmask_b32_e32 v3, v42, v3, vcc_lo
	v_cndmask_b32_e64 v2, v2, 0xffffff92, vcc_lo
	v_lshl_add_u32 v42, 0x200000, v51, -1
	v_lshrrev_b32_e32 v77, v51, v3
	v_lshlrev_b32_e64 v79, v51, 0x100000
	v_and_b32_e32 v3, v42, v3
	v_bfe_u32 v78, v77, 21, 1
	v_cmp_eq_u32_e64 s12, v3, v79
	v_add_nc_u32_e32 v42, -1, v78
	v_lshrrev_b32_e32 v78, 23, v77
	v_cndmask_b32_e64 v3, 0, v42, s12
	s_mov_b32 s12, exec_lo
	v_add_nc_u32_e32 v42, v3, v77
	v_add_nc_u32_e32 v3, v51, v2
                                        ; implicit-def: $vgpr51
	v_and_b32_e32 v2, 0x1fffff, v42
	v_xor_b32_e32 v42, 1, v78
	v_add_nc_u32_e32 v2, v2, v77
	v_cmpx_ne_u32_e64 v3, v42
	s_xor_b32 s12, exec_lo, s12
; %bb.5885:                             ;   in Loop: Header=BB6_5278 Depth=2
	v_cmp_lt_u32_e32 vcc_lo, 0xffffff, v2
	v_sub_nc_u32_e32 v3, v3, v42
	v_cndmask_b32_e64 v42, 0, 1, vcc_lo
	v_add_co_ci_u32_e64 v51, null, 0, v3, vcc_lo
	v_lshrrev_b32_e32 v2, v42, v2
; %bb.5886:                             ;   in Loop: Header=BB6_5278 Depth=2
	s_andn2_saveexec_b32 s12, s12
; %bb.5887:                             ;   in Loop: Header=BB6_5278 Depth=2
	v_bfe_u32 v51, v2, 23, 1
; %bb.5888:                             ;   in Loop: Header=BB6_5278 Depth=2
	s_or_b32 exec_lo, exec_lo, s12
	v_lshrrev_b32_e32 v2, 21, v2
	v_min_i32_e32 v3, 31, v51
	v_cmp_gt_i32_e32 vcc_lo, 32, v51
	v_and_b32_sdwa v42, v76, v44 dst_sel:DWORD dst_unused:UNUSED_PAD src0_sel:BYTE_3 src1_sel:DWORD
	v_lshlrev_b32_e32 v3, 2, v3
	v_cndmask_b32_e32 v2, 3, v2, vcc_lo
	v_and_b32_e32 v3, 0xfc, v3
	v_and_b32_e32 v76, 3, v2
	v_or_b32_e32 v2, v51, v2
	v_or3_b32 v3, v3, v42, v76
	v_cmp_ne_u32_e32 vcc_lo, 0, v2
	v_cndmask_b32_e32 v51, 0, v3, vcc_lo
.LBB6_5889:                             ;   in Loop: Header=BB6_5278 Depth=2
	s_or_b32 exec_lo, exec_lo, s29
.LBB6_5890:                             ;   in Loop: Header=BB6_5278 Depth=2
	s_or_b32 exec_lo, exec_lo, s28
	v_cmp_gt_i16_sdwa s28, v32, v43 src0_sel:BYTE_1 src1_sel:DWORD
	s_andn2_b32 vcc_lo, exec_lo, s27
	s_mov_b32 s12, -1
                                        ; implicit-def: $vgpr77
	s_cbranch_vccnz .LBB6_5904
; %bb.5891:                             ;   in Loop: Header=BB6_5278 Depth=2
	s_mov_b32 s12, 0
	s_and_saveexec_b32 s29, s28
	s_xor_b32 s28, exec_lo, s29
	s_cbranch_execz .LBB6_7716
; %bb.5892:                             ;   in Loop: Header=BB6_5278 Depth=2
	v_cmp_eq_u16_sdwa s40, v32, v44 src0_sel:BYTE_1 src1_sel:DWORD
	s_mov_b32 s12, -1
	s_and_saveexec_b32 s29, s40
; %bb.5893:                             ;   in Loop: Header=BB6_5278 Depth=2
	s_xor_b32 s12, exec_lo, -1
; %bb.5894:                             ;   in Loop: Header=BB6_5278 Depth=2
	s_or_b32 exec_lo, exec_lo, s29
	s_and_b32 s12, s12, exec_lo
	s_or_saveexec_b32 s28, s28
	v_mov_b32_e32 v76, 0x7f800001
	s_xor_b32 exec_lo, exec_lo, s28
	s_cbranch_execnz .LBB6_7717
.LBB6_5895:                             ;   in Loop: Header=BB6_5278 Depth=2
	s_or_b32 exec_lo, exec_lo, s28
	s_and_saveexec_b32 s28, s12
	s_cbranch_execz .LBB6_5897
.LBB6_5896:                             ;   in Loop: Header=BB6_5278 Depth=2
	v_and_b32_sdwa v2, v45, v32 dst_sel:DWORD dst_unused:UNUSED_PAD src0_sel:DWORD src1_sel:BYTE_1
	v_and_b32_e32 v3, 3, v2
	v_bfe_u32 v77, v2, 2, 5
	v_ffbh_u32_e32 v42, v3
	v_cmp_eq_u32_e32 vcc_lo, 0, v77
	v_min_u32_e32 v42, 32, v42
	v_subrev_nc_u32_e32 v76, 29, v42
	v_sub_nc_u32_e32 v42, 30, v42
	v_lshlrev_b32_e32 v2, v76, v2
	v_lshlrev_b32_e32 v76, 16, v32
	v_cndmask_b32_e32 v42, v77, v42, vcc_lo
	v_and_b32_e32 v2, 3, v2
	v_lshl_add_u32 v42, v42, 23, 0x37800000
	v_cndmask_b32_e32 v2, v3, v2, vcc_lo
	v_and_b32_e32 v3, 0x80000000, v76
	v_lshlrev_b32_e32 v2, 21, v2
	v_or3_b32 v76, v3, v42, v2
.LBB6_5897:                             ;   in Loop: Header=BB6_5278 Depth=2
	s_or_b32 exec_lo, exec_lo, s28
	s_waitcnt vmcnt(2)
	v_cmp_gt_i16_sdwa s28, v26, v43 src0_sel:BYTE_1 src1_sel:DWORD
	s_mov_b32 s12, 0
	s_and_saveexec_b32 s29, s28
	s_xor_b32 s28, exec_lo, s29
	s_cbranch_execz .LBB6_7718
; %bb.5898:                             ;   in Loop: Header=BB6_5278 Depth=2
	v_cmp_eq_u16_sdwa s40, v26, v44 src0_sel:BYTE_1 src1_sel:DWORD
	s_mov_b32 s12, -1
	s_and_saveexec_b32 s29, s40
; %bb.5899:                             ;   in Loop: Header=BB6_5278 Depth=2
	s_xor_b32 s12, exec_lo, -1
; %bb.5900:                             ;   in Loop: Header=BB6_5278 Depth=2
	s_or_b32 exec_lo, exec_lo, s29
	s_and_b32 s12, s12, exec_lo
	s_or_saveexec_b32 s28, s28
	v_mov_b32_e32 v2, 0x7f800001
	s_xor_b32 exec_lo, exec_lo, s28
	s_cbranch_execnz .LBB6_7719
.LBB6_5901:                             ;   in Loop: Header=BB6_5278 Depth=2
	s_or_b32 exec_lo, exec_lo, s28
	s_and_saveexec_b32 s28, s12
	s_cbranch_execz .LBB6_5903
.LBB6_5902:                             ;   in Loop: Header=BB6_5278 Depth=2
	v_and_b32_sdwa v2, v45, v26 dst_sel:DWORD dst_unused:UNUSED_PAD src0_sel:DWORD src1_sel:BYTE_1
	v_and_b32_e32 v3, 3, v2
	v_bfe_u32 v78, v2, 2, 5
	v_ffbh_u32_e32 v42, v3
	v_cmp_eq_u32_e32 vcc_lo, 0, v78
	v_min_u32_e32 v42, 32, v42
	v_subrev_nc_u32_e32 v77, 29, v42
	v_sub_nc_u32_e32 v42, 30, v42
	v_lshlrev_b32_e32 v2, v77, v2
	v_lshlrev_b32_e32 v77, 16, v26
	v_cndmask_b32_e32 v42, v78, v42, vcc_lo
	v_and_b32_e32 v2, 3, v2
	v_lshl_add_u32 v42, v42, 23, 0x37800000
	v_cndmask_b32_e32 v2, v3, v2, vcc_lo
	v_and_b32_e32 v3, 0x80000000, v77
	v_lshlrev_b32_e32 v2, 21, v2
	v_or3_b32 v2, v3, v42, v2
.LBB6_5903:                             ;   in Loop: Header=BB6_5278 Depth=2
	s_or_b32 exec_lo, exec_lo, s28
	v_max_f32_e32 v2, v2, v2
	v_max_f32_e32 v3, v76, v76
	s_mov_b32 s12, 0
	v_max_f32_e32 v77, v3, v2
.LBB6_5904:                             ;   in Loop: Header=BB6_5278 Depth=2
	s_and_b32 vcc_lo, exec_lo, s12
	s_cbranch_vccz .LBB6_5918
; %bb.5905:                             ;   in Loop: Header=BB6_5278 Depth=2
	v_cmp_gt_i16_sdwa s28, v32, v43 src0_sel:BYTE_1 src1_sel:DWORD
	s_mov_b32 s12, 0
	s_and_saveexec_b32 s29, s28
	s_xor_b32 s28, exec_lo, s29
	s_cbranch_execz .LBB6_7720
; %bb.5906:                             ;   in Loop: Header=BB6_5278 Depth=2
	v_cmp_eq_u16_sdwa s40, v32, v44 src0_sel:BYTE_1 src1_sel:DWORD
	s_mov_b32 s12, -1
	s_and_saveexec_b32 s29, s40
; %bb.5907:                             ;   in Loop: Header=BB6_5278 Depth=2
	s_xor_b32 s12, exec_lo, -1
; %bb.5908:                             ;   in Loop: Header=BB6_5278 Depth=2
	s_or_b32 exec_lo, exec_lo, s29
	s_and_b32 s12, s12, exec_lo
	s_or_saveexec_b32 s28, s28
	v_mov_b32_e32 v76, 0x7f800001
	s_xor_b32 exec_lo, exec_lo, s28
	s_cbranch_execnz .LBB6_7721
.LBB6_5909:                             ;   in Loop: Header=BB6_5278 Depth=2
	s_or_b32 exec_lo, exec_lo, s28
	s_and_saveexec_b32 s28, s12
	s_cbranch_execz .LBB6_5911
.LBB6_5910:                             ;   in Loop: Header=BB6_5278 Depth=2
	v_and_b32_sdwa v2, v45, v32 dst_sel:DWORD dst_unused:UNUSED_PAD src0_sel:DWORD src1_sel:BYTE_1
	v_and_b32_e32 v3, 3, v2
	v_bfe_u32 v77, v2, 2, 5
	v_ffbh_u32_e32 v42, v3
	v_cmp_eq_u32_e32 vcc_lo, 0, v77
	v_min_u32_e32 v42, 32, v42
	v_subrev_nc_u32_e32 v76, 29, v42
	v_sub_nc_u32_e32 v42, 30, v42
	v_lshlrev_b32_e32 v2, v76, v2
	v_lshlrev_b32_e32 v76, 16, v32
	v_cndmask_b32_e32 v42, v77, v42, vcc_lo
	v_and_b32_e32 v2, 3, v2
	v_lshl_add_u32 v42, v42, 23, 0x37800000
	v_cndmask_b32_e32 v2, v3, v2, vcc_lo
	v_and_b32_e32 v3, 0x80000000, v76
	v_lshlrev_b32_e32 v2, 21, v2
	v_or3_b32 v76, v3, v42, v2
.LBB6_5911:                             ;   in Loop: Header=BB6_5278 Depth=2
	s_or_b32 exec_lo, exec_lo, s28
	s_waitcnt vmcnt(2)
	v_cmp_gt_i16_sdwa s28, v26, v43 src0_sel:BYTE_1 src1_sel:DWORD
	s_mov_b32 s12, 0
	s_and_saveexec_b32 s29, s28
	s_xor_b32 s28, exec_lo, s29
	s_cbranch_execz .LBB6_7722
; %bb.5912:                             ;   in Loop: Header=BB6_5278 Depth=2
	v_cmp_eq_u16_sdwa s40, v26, v44 src0_sel:BYTE_1 src1_sel:DWORD
	s_mov_b32 s12, -1
	s_and_saveexec_b32 s29, s40
; %bb.5913:                             ;   in Loop: Header=BB6_5278 Depth=2
	s_xor_b32 s12, exec_lo, -1
; %bb.5914:                             ;   in Loop: Header=BB6_5278 Depth=2
	s_or_b32 exec_lo, exec_lo, s29
	s_and_b32 s12, s12, exec_lo
	s_or_saveexec_b32 s28, s28
	v_mov_b32_e32 v2, 0x7f800001
	s_xor_b32 exec_lo, exec_lo, s28
	s_cbranch_execnz .LBB6_7723
.LBB6_5915:                             ;   in Loop: Header=BB6_5278 Depth=2
	s_or_b32 exec_lo, exec_lo, s28
	s_and_saveexec_b32 s28, s12
	s_cbranch_execz .LBB6_5917
.LBB6_5916:                             ;   in Loop: Header=BB6_5278 Depth=2
	v_and_b32_sdwa v2, v45, v26 dst_sel:DWORD dst_unused:UNUSED_PAD src0_sel:DWORD src1_sel:BYTE_1
	v_and_b32_e32 v3, 3, v2
	v_bfe_u32 v78, v2, 2, 5
	v_ffbh_u32_e32 v42, v3
	v_cmp_eq_u32_e32 vcc_lo, 0, v78
	v_min_u32_e32 v42, 32, v42
	v_subrev_nc_u32_e32 v77, 29, v42
	v_sub_nc_u32_e32 v42, 30, v42
	v_lshlrev_b32_e32 v2, v77, v2
	v_lshlrev_b32_e32 v77, 16, v26
	v_cndmask_b32_e32 v42, v78, v42, vcc_lo
	v_and_b32_e32 v2, 3, v2
	v_lshl_add_u32 v42, v42, 23, 0x37800000
	v_cndmask_b32_e32 v2, v3, v2, vcc_lo
	v_and_b32_e32 v3, 0x80000000, v77
	v_lshlrev_b32_e32 v2, 21, v2
	v_or3_b32 v2, v3, v42, v2
.LBB6_5917:                             ;   in Loop: Header=BB6_5278 Depth=2
	s_or_b32 exec_lo, exec_lo, s28
	v_max_f32_e32 v2, v2, v2
	v_max_f32_e32 v3, v76, v76
	v_min_f32_e32 v77, v3, v2
.LBB6_5918:                             ;   in Loop: Header=BB6_5278 Depth=2
	v_and_b32_e32 v2, 0x7f800000, v77
	v_mov_b32_e32 v76, 0x8000
	s_mov_b32 s28, exec_lo
	v_cmpx_ne_u32_e32 0x7f800000, v2
	s_cbranch_execz .LBB6_5926
; %bb.5919:                             ;   in Loop: Header=BB6_5278 Depth=2
	v_mov_b32_e32 v76, 0
	s_mov_b32 s29, exec_lo
	v_cmpx_ne_u32_e32 0, v77
	s_cbranch_execz .LBB6_5925
; %bb.5920:                             ;   in Loop: Header=BB6_5278 Depth=2
	v_bfe_u32 v2, v77, 23, 8
	v_and_b32_e32 v3, 0x7fffff, v77
	v_sub_nc_u32_e32 v42, 0x70, v2
	v_cmp_gt_u32_e32 vcc_lo, 0x71, v2
	v_or_b32_e32 v76, 0x800000, v3
	v_cndmask_b32_e32 v42, 0, v42, vcc_lo
	v_cmp_eq_u32_e32 vcc_lo, 0, v2
	v_add_nc_u32_e32 v2, 0xffffff91, v2
	v_cndmask_b32_e64 v42, v42, 0x6f, vcc_lo
	v_cndmask_b32_e32 v3, v76, v3, vcc_lo
	v_cndmask_b32_e64 v2, v2, 0xffffff92, vcc_lo
	v_lshl_add_u32 v78, 0x200000, v42, -1
	v_lshrrev_b32_e32 v76, v42, v3
	v_lshlrev_b32_e64 v88, v42, 0x100000
	v_and_b32_e32 v3, v78, v3
	v_bfe_u32 v79, v76, 21, 1
	v_cmp_eq_u32_e64 s12, v3, v88
	v_add_nc_u32_e32 v78, -1, v79
	v_lshrrev_b32_e32 v79, 23, v76
	v_cndmask_b32_e64 v3, 0, v78, s12
	s_mov_b32 s12, exec_lo
	v_add_nc_u32_e32 v78, v3, v76
	v_add_nc_u32_e32 v3, v42, v2
	v_xor_b32_e32 v42, 1, v79
	v_and_b32_e32 v2, 0x1fffff, v78
	v_add_nc_u32_e32 v2, v2, v76
                                        ; implicit-def: $vgpr76
	v_cmpx_ne_u32_e64 v3, v42
	s_xor_b32 s12, exec_lo, s12
; %bb.5921:                             ;   in Loop: Header=BB6_5278 Depth=2
	v_cmp_lt_u32_e32 vcc_lo, 0xffffff, v2
	v_sub_nc_u32_e32 v3, v3, v42
	v_cndmask_b32_e64 v42, 0, 1, vcc_lo
	v_add_co_ci_u32_e64 v76, null, 0, v3, vcc_lo
	v_lshrrev_b32_e32 v2, v42, v2
; %bb.5922:                             ;   in Loop: Header=BB6_5278 Depth=2
	s_andn2_saveexec_b32 s12, s12
; %bb.5923:                             ;   in Loop: Header=BB6_5278 Depth=2
	v_bfe_u32 v76, v2, 23, 1
; %bb.5924:                             ;   in Loop: Header=BB6_5278 Depth=2
	s_or_b32 exec_lo, exec_lo, s12
	v_lshrrev_b32_e32 v2, 21, v2
	v_min_i32_e32 v3, 31, v76
	v_cmp_gt_i32_e32 vcc_lo, 32, v76
	v_and_b32_sdwa v42, v77, v44 dst_sel:DWORD dst_unused:UNUSED_PAD src0_sel:BYTE_3 src1_sel:DWORD
	v_lshlrev_b32_e32 v3, 2, v3
	v_cndmask_b32_e32 v2, 3, v2, vcc_lo
	v_and_b32_e32 v3, 0xfc, v3
	v_and_b32_e32 v77, 3, v2
	v_or_b32_e32 v2, v76, v2
	v_or3_b32 v3, v42, v3, v77
	v_cmp_ne_u32_e32 vcc_lo, 0, v2
	v_lshlrev_b32_e32 v3, 8, v3
	v_cndmask_b32_e32 v76, 0, v3, vcc_lo
.LBB6_5925:                             ;   in Loop: Header=BB6_5278 Depth=2
	s_or_b32 exec_lo, exec_lo, s29
.LBB6_5926:                             ;   in Loop: Header=BB6_5278 Depth=2
	s_or_b32 exec_lo, exec_lo, s28
	v_and_b32_sdwa v77, v32, v46 dst_sel:DWORD dst_unused:UNUSED_PAD src0_sel:WORD_1 src1_sel:DWORD
	s_andn2_b32 vcc_lo, exec_lo, s27
	s_mov_b32 s28, -1
                                        ; implicit-def: $vgpr78
	v_cmp_lt_i16_e64 s12, 0x7f, v77
	s_cbranch_vccnz .LBB6_5940
; %bb.5927:                             ;   in Loop: Header=BB6_5278 Depth=2
	s_mov_b32 s28, 0
	s_and_saveexec_b32 s29, s12
	s_xor_b32 s12, exec_lo, s29
	s_cbranch_execz .LBB6_7724
; %bb.5928:                             ;   in Loop: Header=BB6_5278 Depth=2
	s_mov_b32 s28, -1
	s_mov_b32 s29, exec_lo
	v_cmpx_eq_u16_e32 0x80, v77
; %bb.5929:                             ;   in Loop: Header=BB6_5278 Depth=2
	s_xor_b32 s28, exec_lo, -1
; %bb.5930:                             ;   in Loop: Header=BB6_5278 Depth=2
	s_or_b32 exec_lo, exec_lo, s29
	s_and_b32 s28, s28, exec_lo
	s_or_saveexec_b32 s12, s12
	v_mov_b32_e32 v78, 0x7f800001
	s_xor_b32 exec_lo, exec_lo, s12
	s_cbranch_execnz .LBB6_7725
.LBB6_5931:                             ;   in Loop: Header=BB6_5278 Depth=2
	s_or_b32 exec_lo, exec_lo, s12
	s_and_saveexec_b32 s12, s28
	s_cbranch_execz .LBB6_5933
.LBB6_5932:                             ;   in Loop: Header=BB6_5278 Depth=2
	v_bfe_u32 v2, v32, 16, 2
	v_bfe_u32 v78, v32, 18, 5
	v_lshlrev_b32_sdwa v79, v47, v32 dst_sel:DWORD dst_unused:UNUSED_PAD src0_sel:DWORD src1_sel:WORD_1
	v_ffbh_u32_e32 v3, v2
	v_cmp_eq_u32_e32 vcc_lo, 0, v78
	v_min_u32_e32 v3, 32, v3
	v_subrev_nc_u32_e32 v42, 29, v3
	v_sub_nc_u32_e32 v3, 30, v3
	v_lshlrev_b32_sdwa v42, v42, v32 dst_sel:DWORD dst_unused:UNUSED_PAD src0_sel:DWORD src1_sel:WORD_1
	v_cndmask_b32_e32 v3, v78, v3, vcc_lo
	v_and_b32_e32 v42, 3, v42
	v_lshl_add_u32 v3, v3, 23, 0x37800000
	v_cndmask_b32_e32 v2, v2, v42, vcc_lo
	v_and_b32_e32 v42, 0x80000000, v79
	v_lshlrev_b32_e32 v2, 21, v2
	v_or3_b32 v78, v42, v3, v2
.LBB6_5933:                             ;   in Loop: Header=BB6_5278 Depth=2
	s_or_b32 exec_lo, exec_lo, s12
	s_waitcnt vmcnt(2)
	v_and_b32_sdwa v3, v26, v46 dst_sel:DWORD dst_unused:UNUSED_PAD src0_sel:WORD_1 src1_sel:DWORD
	s_mov_b32 s12, 0
	s_mov_b32 s28, exec_lo
	v_cmpx_lt_i16_e32 0x7f, v3
	s_xor_b32 s28, exec_lo, s28
	s_cbranch_execz .LBB6_7726
; %bb.5934:                             ;   in Loop: Header=BB6_5278 Depth=2
	s_mov_b32 s12, -1
	s_mov_b32 s29, exec_lo
	v_cmpx_eq_u16_e32 0x80, v3
; %bb.5935:                             ;   in Loop: Header=BB6_5278 Depth=2
	s_xor_b32 s12, exec_lo, -1
; %bb.5936:                             ;   in Loop: Header=BB6_5278 Depth=2
	s_or_b32 exec_lo, exec_lo, s29
	s_and_b32 s12, s12, exec_lo
                                        ; implicit-def: $vgpr3
	s_or_saveexec_b32 s28, s28
	v_mov_b32_e32 v2, 0x7f800001
	s_xor_b32 exec_lo, exec_lo, s28
	s_cbranch_execnz .LBB6_7727
.LBB6_5937:                             ;   in Loop: Header=BB6_5278 Depth=2
	s_or_b32 exec_lo, exec_lo, s28
	s_and_saveexec_b32 s28, s12
	s_cbranch_execz .LBB6_5939
.LBB6_5938:                             ;   in Loop: Header=BB6_5278 Depth=2
	v_bfe_u32 v2, v26, 16, 2
	v_bfe_u32 v79, v26, 18, 5
	v_lshlrev_b32_sdwa v88, v47, v26 dst_sel:DWORD dst_unused:UNUSED_PAD src0_sel:DWORD src1_sel:WORD_1
	v_ffbh_u32_e32 v3, v2
	v_cmp_eq_u32_e32 vcc_lo, 0, v79
	v_min_u32_e32 v3, 32, v3
	v_subrev_nc_u32_e32 v42, 29, v3
	v_sub_nc_u32_e32 v3, 30, v3
	v_lshlrev_b32_sdwa v42, v42, v26 dst_sel:DWORD dst_unused:UNUSED_PAD src0_sel:DWORD src1_sel:WORD_1
	v_cndmask_b32_e32 v3, v79, v3, vcc_lo
	v_and_b32_e32 v42, 3, v42
	v_lshl_add_u32 v3, v3, 23, 0x37800000
	v_cndmask_b32_e32 v2, v2, v42, vcc_lo
	v_and_b32_e32 v42, 0x80000000, v88
	v_lshlrev_b32_e32 v2, 21, v2
	v_or3_b32 v2, v42, v3, v2
.LBB6_5939:                             ;   in Loop: Header=BB6_5278 Depth=2
	s_or_b32 exec_lo, exec_lo, s28
	v_max_f32_e32 v2, v2, v2
	v_max_f32_e32 v3, v78, v78
	s_mov_b32 s28, 0
	v_max_f32_e32 v78, v3, v2
.LBB6_5940:                             ;   in Loop: Header=BB6_5278 Depth=2
	s_and_b32 vcc_lo, exec_lo, s28
	s_cbranch_vccz .LBB6_5954
; %bb.5941:                             ;   in Loop: Header=BB6_5278 Depth=2
	s_mov_b32 s12, 0
	s_mov_b32 s28, exec_lo
	v_cmpx_lt_i16_e32 0x7f, v77
	s_xor_b32 s28, exec_lo, s28
	s_cbranch_execz .LBB6_7728
; %bb.5942:                             ;   in Loop: Header=BB6_5278 Depth=2
	s_mov_b32 s12, -1
	s_mov_b32 s29, exec_lo
	v_cmpx_eq_u16_e32 0x80, v77
; %bb.5943:                             ;   in Loop: Header=BB6_5278 Depth=2
	s_xor_b32 s12, exec_lo, -1
; %bb.5944:                             ;   in Loop: Header=BB6_5278 Depth=2
	s_or_b32 exec_lo, exec_lo, s29
	s_and_b32 s12, s12, exec_lo
                                        ; implicit-def: $vgpr77
	s_or_saveexec_b32 s28, s28
	v_mov_b32_e32 v78, 0x7f800001
	s_xor_b32 exec_lo, exec_lo, s28
	s_cbranch_execnz .LBB6_7729
.LBB6_5945:                             ;   in Loop: Header=BB6_5278 Depth=2
	s_or_b32 exec_lo, exec_lo, s28
	s_and_saveexec_b32 s28, s12
	s_cbranch_execz .LBB6_5947
.LBB6_5946:                             ;   in Loop: Header=BB6_5278 Depth=2
	v_bfe_u32 v2, v32, 16, 2
	v_bfe_u32 v77, v32, 18, 5
	v_lshlrev_b32_sdwa v78, v47, v32 dst_sel:DWORD dst_unused:UNUSED_PAD src0_sel:DWORD src1_sel:WORD_1
	v_ffbh_u32_e32 v3, v2
	v_cmp_eq_u32_e32 vcc_lo, 0, v77
	v_min_u32_e32 v3, 32, v3
	v_subrev_nc_u32_e32 v42, 29, v3
	v_sub_nc_u32_e32 v3, 30, v3
	v_lshlrev_b32_sdwa v42, v42, v32 dst_sel:DWORD dst_unused:UNUSED_PAD src0_sel:DWORD src1_sel:WORD_1
	v_cndmask_b32_e32 v3, v77, v3, vcc_lo
	v_and_b32_e32 v42, 3, v42
	v_lshl_add_u32 v3, v3, 23, 0x37800000
	v_cndmask_b32_e32 v2, v2, v42, vcc_lo
	v_and_b32_e32 v42, 0x80000000, v78
	v_lshlrev_b32_e32 v2, 21, v2
	v_or3_b32 v78, v42, v3, v2
.LBB6_5947:                             ;   in Loop: Header=BB6_5278 Depth=2
	s_or_b32 exec_lo, exec_lo, s28
	s_waitcnt vmcnt(2)
	v_and_b32_sdwa v3, v26, v46 dst_sel:DWORD dst_unused:UNUSED_PAD src0_sel:WORD_1 src1_sel:DWORD
	s_mov_b32 s12, 0
	s_mov_b32 s28, exec_lo
	v_cmpx_lt_i16_e32 0x7f, v3
	s_xor_b32 s28, exec_lo, s28
	s_cbranch_execz .LBB6_7730
; %bb.5948:                             ;   in Loop: Header=BB6_5278 Depth=2
	s_mov_b32 s12, -1
	s_mov_b32 s29, exec_lo
	v_cmpx_eq_u16_e32 0x80, v3
; %bb.5949:                             ;   in Loop: Header=BB6_5278 Depth=2
	s_xor_b32 s12, exec_lo, -1
; %bb.5950:                             ;   in Loop: Header=BB6_5278 Depth=2
	s_or_b32 exec_lo, exec_lo, s29
	s_and_b32 s12, s12, exec_lo
                                        ; implicit-def: $vgpr3
	s_or_saveexec_b32 s28, s28
	v_mov_b32_e32 v2, 0x7f800001
	s_xor_b32 exec_lo, exec_lo, s28
	s_cbranch_execnz .LBB6_7731
.LBB6_5951:                             ;   in Loop: Header=BB6_5278 Depth=2
	s_or_b32 exec_lo, exec_lo, s28
	s_and_saveexec_b32 s28, s12
	s_cbranch_execz .LBB6_5953
.LBB6_5952:                             ;   in Loop: Header=BB6_5278 Depth=2
	v_bfe_u32 v2, v26, 16, 2
	v_bfe_u32 v77, v26, 18, 5
	v_lshlrev_b32_sdwa v79, v47, v26 dst_sel:DWORD dst_unused:UNUSED_PAD src0_sel:DWORD src1_sel:WORD_1
	v_ffbh_u32_e32 v3, v2
	v_cmp_eq_u32_e32 vcc_lo, 0, v77
	v_min_u32_e32 v3, 32, v3
	v_subrev_nc_u32_e32 v42, 29, v3
	v_sub_nc_u32_e32 v3, 30, v3
	v_lshlrev_b32_sdwa v42, v42, v26 dst_sel:DWORD dst_unused:UNUSED_PAD src0_sel:DWORD src1_sel:WORD_1
	v_cndmask_b32_e32 v3, v77, v3, vcc_lo
	v_and_b32_e32 v42, 3, v42
	v_lshl_add_u32 v3, v3, 23, 0x37800000
	v_cndmask_b32_e32 v2, v2, v42, vcc_lo
	v_and_b32_e32 v42, 0x80000000, v79
	v_lshlrev_b32_e32 v2, 21, v2
	v_or3_b32 v2, v42, v3, v2
.LBB6_5953:                             ;   in Loop: Header=BB6_5278 Depth=2
	s_or_b32 exec_lo, exec_lo, s28
	v_max_f32_e32 v2, v2, v2
	v_max_f32_e32 v3, v78, v78
	v_min_f32_e32 v78, v3, v2
.LBB6_5954:                             ;   in Loop: Header=BB6_5278 Depth=2
	v_and_b32_e32 v2, 0x7f800000, v78
	v_mov_b32_e32 v77, 0x80
	s_mov_b32 s28, exec_lo
	v_cmpx_ne_u32_e32 0x7f800000, v2
	s_cbranch_execz .LBB6_5962
; %bb.5955:                             ;   in Loop: Header=BB6_5278 Depth=2
	v_mov_b32_e32 v77, 0
	s_mov_b32 s29, exec_lo
	v_cmpx_ne_u32_e32 0, v78
	s_cbranch_execz .LBB6_5961
; %bb.5956:                             ;   in Loop: Header=BB6_5278 Depth=2
	v_bfe_u32 v2, v78, 23, 8
	v_and_b32_e32 v3, 0x7fffff, v78
	v_sub_nc_u32_e32 v42, 0x70, v2
	v_cmp_gt_u32_e32 vcc_lo, 0x71, v2
	v_or_b32_e32 v77, 0x800000, v3
	v_cndmask_b32_e32 v42, 0, v42, vcc_lo
	v_cmp_eq_u32_e32 vcc_lo, 0, v2
	v_add_nc_u32_e32 v2, 0xffffff91, v2
	v_cndmask_b32_e64 v42, v42, 0x6f, vcc_lo
	v_cndmask_b32_e32 v3, v77, v3, vcc_lo
	v_cndmask_b32_e64 v2, v2, 0xffffff92, vcc_lo
	v_lshl_add_u32 v79, 0x200000, v42, -1
	v_lshrrev_b32_e32 v77, v42, v3
	v_lshlrev_b32_e64 v89, v42, 0x100000
	v_and_b32_e32 v3, v79, v3
	v_bfe_u32 v88, v77, 21, 1
	v_cmp_eq_u32_e64 s12, v3, v89
	v_add_nc_u32_e32 v79, -1, v88
	v_lshrrev_b32_e32 v88, 23, v77
	v_cndmask_b32_e64 v3, 0, v79, s12
	s_mov_b32 s12, exec_lo
	v_add_nc_u32_e32 v79, v3, v77
	v_add_nc_u32_e32 v3, v42, v2
	v_xor_b32_e32 v42, 1, v88
	v_and_b32_e32 v2, 0x1fffff, v79
	v_add_nc_u32_e32 v2, v2, v77
                                        ; implicit-def: $vgpr77
	v_cmpx_ne_u32_e64 v3, v42
	s_xor_b32 s12, exec_lo, s12
; %bb.5957:                             ;   in Loop: Header=BB6_5278 Depth=2
	v_cmp_lt_u32_e32 vcc_lo, 0xffffff, v2
	v_sub_nc_u32_e32 v3, v3, v42
	v_cndmask_b32_e64 v42, 0, 1, vcc_lo
	v_add_co_ci_u32_e64 v77, null, 0, v3, vcc_lo
	v_lshrrev_b32_e32 v2, v42, v2
; %bb.5958:                             ;   in Loop: Header=BB6_5278 Depth=2
	s_andn2_saveexec_b32 s12, s12
; %bb.5959:                             ;   in Loop: Header=BB6_5278 Depth=2
	v_bfe_u32 v77, v2, 23, 1
; %bb.5960:                             ;   in Loop: Header=BB6_5278 Depth=2
	s_or_b32 exec_lo, exec_lo, s12
	v_lshrrev_b32_e32 v2, 21, v2
	v_min_i32_e32 v3, 31, v77
	v_cmp_gt_i32_e32 vcc_lo, 32, v77
	v_and_b32_sdwa v42, v78, v44 dst_sel:DWORD dst_unused:UNUSED_PAD src0_sel:BYTE_3 src1_sel:DWORD
	v_lshlrev_b32_e32 v3, 2, v3
	v_cndmask_b32_e32 v2, 3, v2, vcc_lo
	v_and_b32_e32 v3, 0xfc, v3
	v_and_b32_e32 v78, 3, v2
	v_or_b32_e32 v2, v77, v2
	v_or3_b32 v3, v3, v42, v78
	v_cmp_ne_u32_e32 vcc_lo, 0, v2
	v_cndmask_b32_e32 v77, 0, v3, vcc_lo
.LBB6_5961:                             ;   in Loop: Header=BB6_5278 Depth=2
	s_or_b32 exec_lo, exec_lo, s29
.LBB6_5962:                             ;   in Loop: Header=BB6_5278 Depth=2
	s_or_b32 exec_lo, exec_lo, s28
	v_cmp_gt_i16_sdwa s28, v32, v43 src0_sel:BYTE_3 src1_sel:DWORD
	s_andn2_b32 vcc_lo, exec_lo, s27
	s_mov_b32 s12, -1
                                        ; implicit-def: $vgpr78
	s_cbranch_vccnz .LBB6_5976
; %bb.5963:                             ;   in Loop: Header=BB6_5278 Depth=2
	s_mov_b32 s12, 0
	s_and_saveexec_b32 s29, s28
	s_xor_b32 s28, exec_lo, s29
	s_cbranch_execz .LBB6_7732
; %bb.5964:                             ;   in Loop: Header=BB6_5278 Depth=2
	v_cmp_eq_u16_sdwa s40, v32, v44 src0_sel:BYTE_3 src1_sel:DWORD
	s_mov_b32 s12, -1
	s_and_saveexec_b32 s29, s40
; %bb.5965:                             ;   in Loop: Header=BB6_5278 Depth=2
	s_xor_b32 s12, exec_lo, -1
; %bb.5966:                             ;   in Loop: Header=BB6_5278 Depth=2
	s_or_b32 exec_lo, exec_lo, s29
	s_and_b32 s12, s12, exec_lo
	s_or_saveexec_b32 s28, s28
	v_mov_b32_e32 v78, 0x7f800001
	s_xor_b32 exec_lo, exec_lo, s28
	s_cbranch_execnz .LBB6_7733
.LBB6_5967:                             ;   in Loop: Header=BB6_5278 Depth=2
	s_or_b32 exec_lo, exec_lo, s28
	s_and_saveexec_b32 s28, s12
	s_cbranch_execz .LBB6_5969
.LBB6_5968:                             ;   in Loop: Header=BB6_5278 Depth=2
	v_bfe_u32 v2, v32, 24, 2
	v_bfe_u32 v78, v32, 26, 5
	v_ffbh_u32_e32 v3, v2
	v_cmp_eq_u32_e32 vcc_lo, 0, v78
	v_min_u32_e32 v3, 32, v3
	v_subrev_nc_u32_e32 v42, 29, v3
	v_sub_nc_u32_e32 v3, 30, v3
	v_lshlrev_b32_sdwa v42, v42, v32 dst_sel:DWORD dst_unused:UNUSED_PAD src0_sel:DWORD src1_sel:BYTE_3
	v_cndmask_b32_e32 v3, v78, v3, vcc_lo
	v_and_b32_e32 v42, 3, v42
	v_lshl_add_u32 v3, v3, 23, 0x37800000
	v_cndmask_b32_e32 v2, v2, v42, vcc_lo
	v_and_b32_e32 v42, 0x80000000, v32
	v_lshlrev_b32_e32 v2, 21, v2
	v_or3_b32 v78, v42, v3, v2
.LBB6_5969:                             ;   in Loop: Header=BB6_5278 Depth=2
	s_or_b32 exec_lo, exec_lo, s28
	s_waitcnt vmcnt(2)
	v_cmp_gt_i16_sdwa s28, v26, v43 src0_sel:BYTE_3 src1_sel:DWORD
	s_mov_b32 s12, 0
	s_and_saveexec_b32 s29, s28
	s_xor_b32 s28, exec_lo, s29
	s_cbranch_execz .LBB6_7734
; %bb.5970:                             ;   in Loop: Header=BB6_5278 Depth=2
	v_cmp_eq_u16_sdwa s40, v26, v44 src0_sel:BYTE_3 src1_sel:DWORD
	s_mov_b32 s12, -1
	s_and_saveexec_b32 s29, s40
; %bb.5971:                             ;   in Loop: Header=BB6_5278 Depth=2
	s_xor_b32 s12, exec_lo, -1
; %bb.5972:                             ;   in Loop: Header=BB6_5278 Depth=2
	s_or_b32 exec_lo, exec_lo, s29
	s_and_b32 s12, s12, exec_lo
	s_or_saveexec_b32 s28, s28
	v_mov_b32_e32 v2, 0x7f800001
	s_xor_b32 exec_lo, exec_lo, s28
	s_cbranch_execnz .LBB6_7735
.LBB6_5973:                             ;   in Loop: Header=BB6_5278 Depth=2
	s_or_b32 exec_lo, exec_lo, s28
	s_and_saveexec_b32 s28, s12
	s_cbranch_execz .LBB6_5975
.LBB6_5974:                             ;   in Loop: Header=BB6_5278 Depth=2
	v_bfe_u32 v2, v26, 24, 2
	v_bfe_u32 v79, v26, 26, 5
	v_ffbh_u32_e32 v3, v2
	v_cmp_eq_u32_e32 vcc_lo, 0, v79
	v_min_u32_e32 v3, 32, v3
	v_subrev_nc_u32_e32 v42, 29, v3
	v_sub_nc_u32_e32 v3, 30, v3
	v_lshlrev_b32_sdwa v42, v42, v26 dst_sel:DWORD dst_unused:UNUSED_PAD src0_sel:DWORD src1_sel:BYTE_3
	v_cndmask_b32_e32 v3, v79, v3, vcc_lo
	v_and_b32_e32 v42, 3, v42
	v_lshl_add_u32 v3, v3, 23, 0x37800000
	v_cndmask_b32_e32 v2, v2, v42, vcc_lo
	v_and_b32_e32 v42, 0x80000000, v26
	v_lshlrev_b32_e32 v2, 21, v2
	v_or3_b32 v2, v42, v3, v2
.LBB6_5975:                             ;   in Loop: Header=BB6_5278 Depth=2
	s_or_b32 exec_lo, exec_lo, s28
	v_max_f32_e32 v2, v2, v2
	v_max_f32_e32 v3, v78, v78
	s_mov_b32 s12, 0
	v_max_f32_e32 v78, v3, v2
.LBB6_5976:                             ;   in Loop: Header=BB6_5278 Depth=2
	s_and_b32 vcc_lo, exec_lo, s12
	s_cbranch_vccz .LBB6_5990
; %bb.5977:                             ;   in Loop: Header=BB6_5278 Depth=2
	v_cmp_gt_i16_sdwa s28, v32, v43 src0_sel:BYTE_3 src1_sel:DWORD
	s_mov_b32 s12, 0
	s_and_saveexec_b32 s29, s28
	s_xor_b32 s28, exec_lo, s29
	s_cbranch_execz .LBB6_7736
; %bb.5978:                             ;   in Loop: Header=BB6_5278 Depth=2
	v_cmp_eq_u16_sdwa s40, v32, v44 src0_sel:BYTE_3 src1_sel:DWORD
	s_mov_b32 s12, -1
	s_and_saveexec_b32 s29, s40
; %bb.5979:                             ;   in Loop: Header=BB6_5278 Depth=2
	s_xor_b32 s12, exec_lo, -1
; %bb.5980:                             ;   in Loop: Header=BB6_5278 Depth=2
	s_or_b32 exec_lo, exec_lo, s29
	s_and_b32 s12, s12, exec_lo
	s_or_saveexec_b32 s28, s28
	v_mov_b32_e32 v78, 0x7f800001
	s_xor_b32 exec_lo, exec_lo, s28
	s_cbranch_execnz .LBB6_7737
.LBB6_5981:                             ;   in Loop: Header=BB6_5278 Depth=2
	s_or_b32 exec_lo, exec_lo, s28
	s_and_saveexec_b32 s28, s12
	s_cbranch_execz .LBB6_5983
.LBB6_5982:                             ;   in Loop: Header=BB6_5278 Depth=2
	v_bfe_u32 v2, v32, 24, 2
	v_bfe_u32 v78, v32, 26, 5
	v_ffbh_u32_e32 v3, v2
	v_cmp_eq_u32_e32 vcc_lo, 0, v78
	v_min_u32_e32 v3, 32, v3
	v_subrev_nc_u32_e32 v42, 29, v3
	v_sub_nc_u32_e32 v3, 30, v3
	v_lshlrev_b32_sdwa v42, v42, v32 dst_sel:DWORD dst_unused:UNUSED_PAD src0_sel:DWORD src1_sel:BYTE_3
	v_cndmask_b32_e32 v3, v78, v3, vcc_lo
	v_and_b32_e32 v32, 0x80000000, v32
	v_and_b32_e32 v42, 3, v42
	v_lshl_add_u32 v3, v3, 23, 0x37800000
	v_cndmask_b32_e32 v2, v2, v42, vcc_lo
	v_lshlrev_b32_e32 v2, 21, v2
	v_or3_b32 v78, v32, v3, v2
.LBB6_5983:                             ;   in Loop: Header=BB6_5278 Depth=2
	s_or_b32 exec_lo, exec_lo, s28
	s_waitcnt vmcnt(2)
	v_cmp_gt_i16_sdwa s28, v26, v43 src0_sel:BYTE_3 src1_sel:DWORD
	s_mov_b32 s12, 0
	s_and_saveexec_b32 s29, s28
	s_xor_b32 s28, exec_lo, s29
	s_cbranch_execz .LBB6_7738
; %bb.5984:                             ;   in Loop: Header=BB6_5278 Depth=2
	v_cmp_eq_u16_sdwa s40, v26, v44 src0_sel:BYTE_3 src1_sel:DWORD
	s_mov_b32 s12, -1
	s_and_saveexec_b32 s29, s40
; %bb.5985:                             ;   in Loop: Header=BB6_5278 Depth=2
	s_xor_b32 s12, exec_lo, -1
; %bb.5986:                             ;   in Loop: Header=BB6_5278 Depth=2
	s_or_b32 exec_lo, exec_lo, s29
	s_and_b32 s12, s12, exec_lo
	s_or_saveexec_b32 s28, s28
	v_mov_b32_e32 v2, 0x7f800001
	s_xor_b32 exec_lo, exec_lo, s28
	s_cbranch_execnz .LBB6_7739
.LBB6_5987:                             ;   in Loop: Header=BB6_5278 Depth=2
	s_or_b32 exec_lo, exec_lo, s28
	s_and_saveexec_b32 s28, s12
	s_cbranch_execz .LBB6_5989
.LBB6_5988:                             ;   in Loop: Header=BB6_5278 Depth=2
	v_bfe_u32 v2, v26, 24, 2
	v_bfe_u32 v42, v26, 26, 5
	v_ffbh_u32_e32 v3, v2
	v_cmp_eq_u32_e32 vcc_lo, 0, v42
	v_min_u32_e32 v3, 32, v3
	v_subrev_nc_u32_e32 v32, 29, v3
	v_sub_nc_u32_e32 v3, 30, v3
	v_lshlrev_b32_sdwa v32, v32, v26 dst_sel:DWORD dst_unused:UNUSED_PAD src0_sel:DWORD src1_sel:BYTE_3
	v_cndmask_b32_e32 v3, v42, v3, vcc_lo
	v_and_b32_e32 v26, 0x80000000, v26
	v_and_b32_e32 v32, 3, v32
	v_lshl_add_u32 v3, v3, 23, 0x37800000
	v_cndmask_b32_e32 v2, v2, v32, vcc_lo
	v_lshlrev_b32_e32 v2, 21, v2
	v_or3_b32 v2, v26, v3, v2
.LBB6_5989:                             ;   in Loop: Header=BB6_5278 Depth=2
	s_or_b32 exec_lo, exec_lo, s28
	v_max_f32_e32 v2, v2, v2
	v_max_f32_e32 v3, v78, v78
	v_min_f32_e32 v78, v3, v2
.LBB6_5990:                             ;   in Loop: Header=BB6_5278 Depth=2
	v_and_b32_e32 v2, 0x7f800000, v78
	s_waitcnt vmcnt(2)
	v_mov_b32_e32 v26, 0x8000
	s_mov_b32 s28, exec_lo
	v_cmpx_ne_u32_e32 0x7f800000, v2
	s_cbranch_execz .LBB6_5998
; %bb.5991:                             ;   in Loop: Header=BB6_5278 Depth=2
	v_mov_b32_e32 v26, 0
	s_mov_b32 s29, exec_lo
	v_cmpx_ne_u32_e32 0, v78
	s_cbranch_execz .LBB6_5997
; %bb.5992:                             ;   in Loop: Header=BB6_5278 Depth=2
	v_bfe_u32 v2, v78, 23, 8
	v_and_b32_e32 v3, 0x7fffff, v78
	v_sub_nc_u32_e32 v26, 0x70, v2
	v_cmp_gt_u32_e32 vcc_lo, 0x71, v2
	v_or_b32_e32 v32, 0x800000, v3
	v_cndmask_b32_e32 v26, 0, v26, vcc_lo
	v_cmp_eq_u32_e32 vcc_lo, 0, v2
	v_add_nc_u32_e32 v2, 0xffffff91, v2
	v_cndmask_b32_e64 v26, v26, 0x6f, vcc_lo
	v_cndmask_b32_e32 v3, v32, v3, vcc_lo
	v_cndmask_b32_e64 v2, v2, 0xffffff92, vcc_lo
	v_lshl_add_u32 v32, 0x200000, v26, -1
	v_lshrrev_b32_e32 v42, v26, v3
	v_lshlrev_b32_e64 v88, v26, 0x100000
	v_and_b32_e32 v3, v32, v3
	v_bfe_u32 v79, v42, 21, 1
	v_cmp_eq_u32_e64 s12, v3, v88
	v_add_nc_u32_e32 v32, -1, v79
	v_lshrrev_b32_e32 v79, 23, v42
	v_cndmask_b32_e64 v3, 0, v32, s12
	s_mov_b32 s12, exec_lo
	v_add_nc_u32_e32 v32, v3, v42
	v_add_nc_u32_e32 v3, v26, v2
                                        ; implicit-def: $vgpr26
	v_and_b32_e32 v2, 0x1fffff, v32
	v_xor_b32_e32 v32, 1, v79
	v_add_nc_u32_e32 v2, v2, v42
	v_cmpx_ne_u32_e64 v3, v32
	s_xor_b32 s12, exec_lo, s12
; %bb.5993:                             ;   in Loop: Header=BB6_5278 Depth=2
	v_cmp_lt_u32_e32 vcc_lo, 0xffffff, v2
	v_sub_nc_u32_e32 v3, v3, v32
	v_cndmask_b32_e64 v32, 0, 1, vcc_lo
	v_add_co_ci_u32_e64 v26, null, 0, v3, vcc_lo
	v_lshrrev_b32_e32 v2, v32, v2
; %bb.5994:                             ;   in Loop: Header=BB6_5278 Depth=2
	s_andn2_saveexec_b32 s12, s12
; %bb.5995:                             ;   in Loop: Header=BB6_5278 Depth=2
	v_bfe_u32 v26, v2, 23, 1
; %bb.5996:                             ;   in Loop: Header=BB6_5278 Depth=2
	s_or_b32 exec_lo, exec_lo, s12
	v_lshrrev_b32_e32 v2, 21, v2
	v_min_i32_e32 v3, 31, v26
	v_cmp_gt_i32_e32 vcc_lo, 32, v26
	v_and_b32_sdwa v32, v78, v44 dst_sel:DWORD dst_unused:UNUSED_PAD src0_sel:BYTE_3 src1_sel:DWORD
	v_lshlrev_b32_e32 v3, 2, v3
	v_cndmask_b32_e32 v2, 3, v2, vcc_lo
	v_and_b32_e32 v3, 0xfc, v3
	v_and_b32_e32 v42, 3, v2
	v_or_b32_e32 v2, v26, v2
	v_or3_b32 v3, v32, v3, v42
	v_cmp_ne_u32_e32 vcc_lo, 0, v2
	v_lshlrev_b32_e32 v3, 8, v3
	v_cndmask_b32_e32 v26, 0, v3, vcc_lo
.LBB6_5997:                             ;   in Loop: Header=BB6_5278 Depth=2
	s_or_b32 exec_lo, exec_lo, s29
.LBB6_5998:                             ;   in Loop: Header=BB6_5278 Depth=2
	s_or_b32 exec_lo, exec_lo, s28
	v_cmp_gt_i16_sdwa s28, v33, v43 src0_sel:BYTE_0 src1_sel:DWORD
	s_andn2_b32 vcc_lo, exec_lo, s27
	s_mov_b32 s12, -1
                                        ; implicit-def: $vgpr78
	s_cbranch_vccnz .LBB6_6012
; %bb.5999:                             ;   in Loop: Header=BB6_5278 Depth=2
	s_mov_b32 s12, 0
	s_and_saveexec_b32 s29, s28
	s_xor_b32 s28, exec_lo, s29
	s_cbranch_execz .LBB6_7740
; %bb.6000:                             ;   in Loop: Header=BB6_5278 Depth=2
	v_cmp_eq_u16_sdwa s40, v33, v44 src0_sel:BYTE_0 src1_sel:DWORD
	s_mov_b32 s12, -1
	s_and_saveexec_b32 s29, s40
; %bb.6001:                             ;   in Loop: Header=BB6_5278 Depth=2
	s_xor_b32 s12, exec_lo, -1
; %bb.6002:                             ;   in Loop: Header=BB6_5278 Depth=2
	s_or_b32 exec_lo, exec_lo, s29
	s_and_b32 s12, s12, exec_lo
	s_or_saveexec_b32 s28, s28
	v_mov_b32_e32 v32, 0x7f800001
	s_xor_b32 exec_lo, exec_lo, s28
	s_cbranch_execnz .LBB6_7741
.LBB6_6003:                             ;   in Loop: Header=BB6_5278 Depth=2
	s_or_b32 exec_lo, exec_lo, s28
	s_and_saveexec_b32 s28, s12
	s_cbranch_execz .LBB6_6005
.LBB6_6004:                             ;   in Loop: Header=BB6_5278 Depth=2
	v_and_b32_e32 v2, 3, v33
	v_bfe_u32 v42, v33, 2, 5
	v_lshlrev_b32_e32 v78, 24, v33
	v_ffbh_u32_e32 v3, v2
	v_cmp_eq_u32_e32 vcc_lo, 0, v42
	v_min_u32_e32 v3, 32, v3
	v_subrev_nc_u32_e32 v32, 29, v3
	v_sub_nc_u32_e32 v3, 30, v3
	v_lshlrev_b32_e32 v32, v32, v33
	v_cndmask_b32_e32 v3, v42, v3, vcc_lo
	v_and_b32_e32 v32, 3, v32
	v_lshl_add_u32 v3, v3, 23, 0x37800000
	v_cndmask_b32_e32 v2, v2, v32, vcc_lo
	v_and_b32_e32 v32, 0x80000000, v78
	v_lshlrev_b32_e32 v2, 21, v2
	v_or3_b32 v32, v32, v3, v2
.LBB6_6005:                             ;   in Loop: Header=BB6_5278 Depth=2
	s_or_b32 exec_lo, exec_lo, s28
	v_cmp_gt_i16_sdwa s28, v27, v43 src0_sel:BYTE_0 src1_sel:DWORD
	s_mov_b32 s12, 0
	s_and_saveexec_b32 s29, s28
	s_xor_b32 s28, exec_lo, s29
	s_cbranch_execz .LBB6_7742
; %bb.6006:                             ;   in Loop: Header=BB6_5278 Depth=2
	v_cmp_eq_u16_sdwa s40, v27, v44 src0_sel:BYTE_0 src1_sel:DWORD
	s_mov_b32 s12, -1
	s_and_saveexec_b32 s29, s40
; %bb.6007:                             ;   in Loop: Header=BB6_5278 Depth=2
	s_xor_b32 s12, exec_lo, -1
; %bb.6008:                             ;   in Loop: Header=BB6_5278 Depth=2
	s_or_b32 exec_lo, exec_lo, s29
	s_and_b32 s12, s12, exec_lo
	s_or_saveexec_b32 s28, s28
	v_mov_b32_e32 v2, 0x7f800001
	s_xor_b32 exec_lo, exec_lo, s28
	s_cbranch_execnz .LBB6_7743
.LBB6_6009:                             ;   in Loop: Header=BB6_5278 Depth=2
	s_or_b32 exec_lo, exec_lo, s28
	s_and_saveexec_b32 s28, s12
	s_cbranch_execz .LBB6_6011
.LBB6_6010:                             ;   in Loop: Header=BB6_5278 Depth=2
	v_and_b32_e32 v2, 3, v27
	v_bfe_u32 v78, v27, 2, 5
	v_lshlrev_b32_e32 v79, 24, v27
	v_ffbh_u32_e32 v3, v2
	v_cmp_eq_u32_e32 vcc_lo, 0, v78
	v_min_u32_e32 v3, 32, v3
	v_subrev_nc_u32_e32 v42, 29, v3
	v_sub_nc_u32_e32 v3, 30, v3
	v_lshlrev_b32_e32 v42, v42, v27
	v_cndmask_b32_e32 v3, v78, v3, vcc_lo
	v_and_b32_e32 v42, 3, v42
	v_lshl_add_u32 v3, v3, 23, 0x37800000
	v_cndmask_b32_e32 v2, v2, v42, vcc_lo
	v_and_b32_e32 v42, 0x80000000, v79
	v_lshlrev_b32_e32 v2, 21, v2
	v_or3_b32 v2, v42, v3, v2
.LBB6_6011:                             ;   in Loop: Header=BB6_5278 Depth=2
	s_or_b32 exec_lo, exec_lo, s28
	v_max_f32_e32 v2, v2, v2
	v_max_f32_e32 v3, v32, v32
	s_mov_b32 s12, 0
	v_max_f32_e32 v78, v3, v2
.LBB6_6012:                             ;   in Loop: Header=BB6_5278 Depth=2
	s_and_b32 vcc_lo, exec_lo, s12
	s_cbranch_vccz .LBB6_6026
; %bb.6013:                             ;   in Loop: Header=BB6_5278 Depth=2
	v_cmp_gt_i16_sdwa s28, v33, v43 src0_sel:BYTE_0 src1_sel:DWORD
	s_mov_b32 s12, 0
	s_and_saveexec_b32 s29, s28
	s_xor_b32 s28, exec_lo, s29
	s_cbranch_execz .LBB6_7744
; %bb.6014:                             ;   in Loop: Header=BB6_5278 Depth=2
	v_cmp_eq_u16_sdwa s40, v33, v44 src0_sel:BYTE_0 src1_sel:DWORD
	s_mov_b32 s12, -1
	s_and_saveexec_b32 s29, s40
; %bb.6015:                             ;   in Loop: Header=BB6_5278 Depth=2
	s_xor_b32 s12, exec_lo, -1
; %bb.6016:                             ;   in Loop: Header=BB6_5278 Depth=2
	s_or_b32 exec_lo, exec_lo, s29
	s_and_b32 s12, s12, exec_lo
	s_or_saveexec_b32 s28, s28
	v_mov_b32_e32 v32, 0x7f800001
	s_xor_b32 exec_lo, exec_lo, s28
	s_cbranch_execnz .LBB6_7745
.LBB6_6017:                             ;   in Loop: Header=BB6_5278 Depth=2
	s_or_b32 exec_lo, exec_lo, s28
	s_and_saveexec_b32 s28, s12
	s_cbranch_execz .LBB6_6019
.LBB6_6018:                             ;   in Loop: Header=BB6_5278 Depth=2
	v_and_b32_e32 v2, 3, v33
	v_bfe_u32 v42, v33, 2, 5
	v_lshlrev_b32_e32 v78, 24, v33
	v_ffbh_u32_e32 v3, v2
	v_cmp_eq_u32_e32 vcc_lo, 0, v42
	v_min_u32_e32 v3, 32, v3
	v_subrev_nc_u32_e32 v32, 29, v3
	v_sub_nc_u32_e32 v3, 30, v3
	v_lshlrev_b32_e32 v32, v32, v33
	v_cndmask_b32_e32 v3, v42, v3, vcc_lo
	v_and_b32_e32 v32, 3, v32
	v_lshl_add_u32 v3, v3, 23, 0x37800000
	v_cndmask_b32_e32 v2, v2, v32, vcc_lo
	v_and_b32_e32 v32, 0x80000000, v78
	v_lshlrev_b32_e32 v2, 21, v2
	v_or3_b32 v32, v32, v3, v2
.LBB6_6019:                             ;   in Loop: Header=BB6_5278 Depth=2
	s_or_b32 exec_lo, exec_lo, s28
	v_cmp_gt_i16_sdwa s28, v27, v43 src0_sel:BYTE_0 src1_sel:DWORD
	s_mov_b32 s12, 0
	s_and_saveexec_b32 s29, s28
	s_xor_b32 s28, exec_lo, s29
	s_cbranch_execz .LBB6_7746
; %bb.6020:                             ;   in Loop: Header=BB6_5278 Depth=2
	v_cmp_eq_u16_sdwa s40, v27, v44 src0_sel:BYTE_0 src1_sel:DWORD
	s_mov_b32 s12, -1
	s_and_saveexec_b32 s29, s40
; %bb.6021:                             ;   in Loop: Header=BB6_5278 Depth=2
	s_xor_b32 s12, exec_lo, -1
; %bb.6022:                             ;   in Loop: Header=BB6_5278 Depth=2
	s_or_b32 exec_lo, exec_lo, s29
	s_and_b32 s12, s12, exec_lo
	s_or_saveexec_b32 s28, s28
	v_mov_b32_e32 v2, 0x7f800001
	s_xor_b32 exec_lo, exec_lo, s28
	s_cbranch_execnz .LBB6_7747
.LBB6_6023:                             ;   in Loop: Header=BB6_5278 Depth=2
	s_or_b32 exec_lo, exec_lo, s28
	s_and_saveexec_b32 s28, s12
	s_cbranch_execz .LBB6_6025
.LBB6_6024:                             ;   in Loop: Header=BB6_5278 Depth=2
	v_and_b32_e32 v2, 3, v27
	v_bfe_u32 v78, v27, 2, 5
	v_lshlrev_b32_e32 v79, 24, v27
	v_ffbh_u32_e32 v3, v2
	v_cmp_eq_u32_e32 vcc_lo, 0, v78
	v_min_u32_e32 v3, 32, v3
	v_subrev_nc_u32_e32 v42, 29, v3
	v_sub_nc_u32_e32 v3, 30, v3
	v_lshlrev_b32_e32 v42, v42, v27
	v_cndmask_b32_e32 v3, v78, v3, vcc_lo
	v_and_b32_e32 v42, 3, v42
	v_lshl_add_u32 v3, v3, 23, 0x37800000
	v_cndmask_b32_e32 v2, v2, v42, vcc_lo
	v_and_b32_e32 v42, 0x80000000, v79
	v_lshlrev_b32_e32 v2, 21, v2
	v_or3_b32 v2, v42, v3, v2
.LBB6_6025:                             ;   in Loop: Header=BB6_5278 Depth=2
	s_or_b32 exec_lo, exec_lo, s28
	v_max_f32_e32 v2, v2, v2
	v_max_f32_e32 v3, v32, v32
	v_min_f32_e32 v78, v3, v2
.LBB6_6026:                             ;   in Loop: Header=BB6_5278 Depth=2
	v_and_b32_e32 v2, 0x7f800000, v78
	v_mov_b32_e32 v32, 0x80
	s_mov_b32 s28, exec_lo
	v_cmpx_ne_u32_e32 0x7f800000, v2
	s_cbranch_execz .LBB6_6034
; %bb.6027:                             ;   in Loop: Header=BB6_5278 Depth=2
	v_mov_b32_e32 v32, 0
	s_mov_b32 s29, exec_lo
	v_cmpx_ne_u32_e32 0, v78
	s_cbranch_execz .LBB6_6033
; %bb.6028:                             ;   in Loop: Header=BB6_5278 Depth=2
	v_bfe_u32 v2, v78, 23, 8
	v_and_b32_e32 v3, 0x7fffff, v78
	v_sub_nc_u32_e32 v32, 0x70, v2
	v_cmp_gt_u32_e32 vcc_lo, 0x71, v2
	v_or_b32_e32 v42, 0x800000, v3
	v_cndmask_b32_e32 v32, 0, v32, vcc_lo
	v_cmp_eq_u32_e32 vcc_lo, 0, v2
	v_add_nc_u32_e32 v2, 0xffffff91, v2
	v_cndmask_b32_e64 v32, v32, 0x6f, vcc_lo
	v_cndmask_b32_e32 v3, v42, v3, vcc_lo
	v_cndmask_b32_e64 v2, v2, 0xffffff92, vcc_lo
	v_lshl_add_u32 v42, 0x200000, v32, -1
	v_lshrrev_b32_e32 v79, v32, v3
	v_lshlrev_b32_e64 v89, v32, 0x100000
	v_and_b32_e32 v3, v42, v3
	v_bfe_u32 v88, v79, 21, 1
	v_cmp_eq_u32_e64 s12, v3, v89
	v_add_nc_u32_e32 v42, -1, v88
	v_lshrrev_b32_e32 v88, 23, v79
	v_cndmask_b32_e64 v3, 0, v42, s12
	s_mov_b32 s12, exec_lo
	v_add_nc_u32_e32 v42, v3, v79
	v_add_nc_u32_e32 v3, v32, v2
                                        ; implicit-def: $vgpr32
	v_and_b32_e32 v2, 0x1fffff, v42
	v_xor_b32_e32 v42, 1, v88
	v_add_nc_u32_e32 v2, v2, v79
	v_cmpx_ne_u32_e64 v3, v42
	s_xor_b32 s12, exec_lo, s12
; %bb.6029:                             ;   in Loop: Header=BB6_5278 Depth=2
	v_cmp_lt_u32_e32 vcc_lo, 0xffffff, v2
	v_sub_nc_u32_e32 v3, v3, v42
	v_cndmask_b32_e64 v42, 0, 1, vcc_lo
	v_add_co_ci_u32_e64 v32, null, 0, v3, vcc_lo
	v_lshrrev_b32_e32 v2, v42, v2
; %bb.6030:                             ;   in Loop: Header=BB6_5278 Depth=2
	s_andn2_saveexec_b32 s12, s12
; %bb.6031:                             ;   in Loop: Header=BB6_5278 Depth=2
	v_bfe_u32 v32, v2, 23, 1
; %bb.6032:                             ;   in Loop: Header=BB6_5278 Depth=2
	s_or_b32 exec_lo, exec_lo, s12
	v_lshrrev_b32_e32 v2, 21, v2
	v_min_i32_e32 v3, 31, v32
	v_cmp_gt_i32_e32 vcc_lo, 32, v32
	v_and_b32_sdwa v42, v78, v44 dst_sel:DWORD dst_unused:UNUSED_PAD src0_sel:BYTE_3 src1_sel:DWORD
	v_lshlrev_b32_e32 v3, 2, v3
	v_cndmask_b32_e32 v2, 3, v2, vcc_lo
	v_and_b32_e32 v3, 0xfc, v3
	v_and_b32_e32 v78, 3, v2
	v_or_b32_e32 v2, v32, v2
	v_or3_b32 v3, v3, v42, v78
	v_cmp_ne_u32_e32 vcc_lo, 0, v2
	v_cndmask_b32_e32 v32, 0, v3, vcc_lo
.LBB6_6033:                             ;   in Loop: Header=BB6_5278 Depth=2
	s_or_b32 exec_lo, exec_lo, s29
.LBB6_6034:                             ;   in Loop: Header=BB6_5278 Depth=2
	s_or_b32 exec_lo, exec_lo, s28
	v_cmp_gt_i16_sdwa s28, v33, v43 src0_sel:BYTE_1 src1_sel:DWORD
	s_andn2_b32 vcc_lo, exec_lo, s27
	s_mov_b32 s12, -1
                                        ; implicit-def: $vgpr79
	s_cbranch_vccnz .LBB6_6048
; %bb.6035:                             ;   in Loop: Header=BB6_5278 Depth=2
	s_mov_b32 s12, 0
	s_and_saveexec_b32 s29, s28
	s_xor_b32 s28, exec_lo, s29
	s_cbranch_execz .LBB6_7748
; %bb.6036:                             ;   in Loop: Header=BB6_5278 Depth=2
	v_cmp_eq_u16_sdwa s40, v33, v44 src0_sel:BYTE_1 src1_sel:DWORD
	s_mov_b32 s12, -1
	s_and_saveexec_b32 s29, s40
; %bb.6037:                             ;   in Loop: Header=BB6_5278 Depth=2
	s_xor_b32 s12, exec_lo, -1
; %bb.6038:                             ;   in Loop: Header=BB6_5278 Depth=2
	s_or_b32 exec_lo, exec_lo, s29
	s_and_b32 s12, s12, exec_lo
	s_or_saveexec_b32 s28, s28
	v_mov_b32_e32 v78, 0x7f800001
	s_xor_b32 exec_lo, exec_lo, s28
	s_cbranch_execnz .LBB6_7749
.LBB6_6039:                             ;   in Loop: Header=BB6_5278 Depth=2
	s_or_b32 exec_lo, exec_lo, s28
	s_and_saveexec_b32 s28, s12
	s_cbranch_execz .LBB6_6041
.LBB6_6040:                             ;   in Loop: Header=BB6_5278 Depth=2
	v_and_b32_sdwa v2, v45, v33 dst_sel:DWORD dst_unused:UNUSED_PAD src0_sel:DWORD src1_sel:BYTE_1
	v_and_b32_e32 v3, 3, v2
	v_bfe_u32 v79, v2, 2, 5
	v_ffbh_u32_e32 v42, v3
	v_cmp_eq_u32_e32 vcc_lo, 0, v79
	v_min_u32_e32 v42, 32, v42
	v_subrev_nc_u32_e32 v78, 29, v42
	v_sub_nc_u32_e32 v42, 30, v42
	v_lshlrev_b32_e32 v2, v78, v2
	v_lshlrev_b32_e32 v78, 16, v33
	v_cndmask_b32_e32 v42, v79, v42, vcc_lo
	v_and_b32_e32 v2, 3, v2
	v_lshl_add_u32 v42, v42, 23, 0x37800000
	v_cndmask_b32_e32 v2, v3, v2, vcc_lo
	v_and_b32_e32 v3, 0x80000000, v78
	v_lshlrev_b32_e32 v2, 21, v2
	v_or3_b32 v78, v3, v42, v2
.LBB6_6041:                             ;   in Loop: Header=BB6_5278 Depth=2
	s_or_b32 exec_lo, exec_lo, s28
	v_cmp_gt_i16_sdwa s28, v27, v43 src0_sel:BYTE_1 src1_sel:DWORD
	s_mov_b32 s12, 0
	s_and_saveexec_b32 s29, s28
	s_xor_b32 s28, exec_lo, s29
	s_cbranch_execz .LBB6_7750
; %bb.6042:                             ;   in Loop: Header=BB6_5278 Depth=2
	v_cmp_eq_u16_sdwa s40, v27, v44 src0_sel:BYTE_1 src1_sel:DWORD
	s_mov_b32 s12, -1
	s_and_saveexec_b32 s29, s40
; %bb.6043:                             ;   in Loop: Header=BB6_5278 Depth=2
	s_xor_b32 s12, exec_lo, -1
; %bb.6044:                             ;   in Loop: Header=BB6_5278 Depth=2
	s_or_b32 exec_lo, exec_lo, s29
	s_and_b32 s12, s12, exec_lo
	s_or_saveexec_b32 s28, s28
	v_mov_b32_e32 v2, 0x7f800001
	s_xor_b32 exec_lo, exec_lo, s28
	s_cbranch_execnz .LBB6_7751
.LBB6_6045:                             ;   in Loop: Header=BB6_5278 Depth=2
	s_or_b32 exec_lo, exec_lo, s28
	s_and_saveexec_b32 s28, s12
	s_cbranch_execz .LBB6_6047
.LBB6_6046:                             ;   in Loop: Header=BB6_5278 Depth=2
	v_and_b32_sdwa v2, v45, v27 dst_sel:DWORD dst_unused:UNUSED_PAD src0_sel:DWORD src1_sel:BYTE_1
	v_and_b32_e32 v3, 3, v2
	v_bfe_u32 v88, v2, 2, 5
	v_ffbh_u32_e32 v42, v3
	v_cmp_eq_u32_e32 vcc_lo, 0, v88
	v_min_u32_e32 v42, 32, v42
	v_subrev_nc_u32_e32 v79, 29, v42
	v_sub_nc_u32_e32 v42, 30, v42
	v_lshlrev_b32_e32 v2, v79, v2
	v_lshlrev_b32_e32 v79, 16, v27
	v_cndmask_b32_e32 v42, v88, v42, vcc_lo
	v_and_b32_e32 v2, 3, v2
	v_lshl_add_u32 v42, v42, 23, 0x37800000
	v_cndmask_b32_e32 v2, v3, v2, vcc_lo
	v_and_b32_e32 v3, 0x80000000, v79
	v_lshlrev_b32_e32 v2, 21, v2
	v_or3_b32 v2, v3, v42, v2
.LBB6_6047:                             ;   in Loop: Header=BB6_5278 Depth=2
	s_or_b32 exec_lo, exec_lo, s28
	v_max_f32_e32 v2, v2, v2
	v_max_f32_e32 v3, v78, v78
	s_mov_b32 s12, 0
	v_max_f32_e32 v79, v3, v2
.LBB6_6048:                             ;   in Loop: Header=BB6_5278 Depth=2
	s_and_b32 vcc_lo, exec_lo, s12
	s_cbranch_vccz .LBB6_6062
; %bb.6049:                             ;   in Loop: Header=BB6_5278 Depth=2
	v_cmp_gt_i16_sdwa s28, v33, v43 src0_sel:BYTE_1 src1_sel:DWORD
	s_mov_b32 s12, 0
	s_and_saveexec_b32 s29, s28
	s_xor_b32 s28, exec_lo, s29
	s_cbranch_execz .LBB6_7752
; %bb.6050:                             ;   in Loop: Header=BB6_5278 Depth=2
	v_cmp_eq_u16_sdwa s40, v33, v44 src0_sel:BYTE_1 src1_sel:DWORD
	s_mov_b32 s12, -1
	s_and_saveexec_b32 s29, s40
; %bb.6051:                             ;   in Loop: Header=BB6_5278 Depth=2
	s_xor_b32 s12, exec_lo, -1
; %bb.6052:                             ;   in Loop: Header=BB6_5278 Depth=2
	s_or_b32 exec_lo, exec_lo, s29
	s_and_b32 s12, s12, exec_lo
	s_or_saveexec_b32 s28, s28
	v_mov_b32_e32 v78, 0x7f800001
	s_xor_b32 exec_lo, exec_lo, s28
	s_cbranch_execnz .LBB6_7753
.LBB6_6053:                             ;   in Loop: Header=BB6_5278 Depth=2
	s_or_b32 exec_lo, exec_lo, s28
	s_and_saveexec_b32 s28, s12
	s_cbranch_execz .LBB6_6055
.LBB6_6054:                             ;   in Loop: Header=BB6_5278 Depth=2
	v_and_b32_sdwa v2, v45, v33 dst_sel:DWORD dst_unused:UNUSED_PAD src0_sel:DWORD src1_sel:BYTE_1
	v_and_b32_e32 v3, 3, v2
	v_bfe_u32 v79, v2, 2, 5
	v_ffbh_u32_e32 v42, v3
	v_cmp_eq_u32_e32 vcc_lo, 0, v79
	v_min_u32_e32 v42, 32, v42
	v_subrev_nc_u32_e32 v78, 29, v42
	v_sub_nc_u32_e32 v42, 30, v42
	v_lshlrev_b32_e32 v2, v78, v2
	v_lshlrev_b32_e32 v78, 16, v33
	v_cndmask_b32_e32 v42, v79, v42, vcc_lo
	v_and_b32_e32 v2, 3, v2
	v_lshl_add_u32 v42, v42, 23, 0x37800000
	v_cndmask_b32_e32 v2, v3, v2, vcc_lo
	v_and_b32_e32 v3, 0x80000000, v78
	v_lshlrev_b32_e32 v2, 21, v2
	v_or3_b32 v78, v3, v42, v2
.LBB6_6055:                             ;   in Loop: Header=BB6_5278 Depth=2
	s_or_b32 exec_lo, exec_lo, s28
	v_cmp_gt_i16_sdwa s28, v27, v43 src0_sel:BYTE_1 src1_sel:DWORD
	s_mov_b32 s12, 0
	s_and_saveexec_b32 s29, s28
	s_xor_b32 s28, exec_lo, s29
	s_cbranch_execz .LBB6_7754
; %bb.6056:                             ;   in Loop: Header=BB6_5278 Depth=2
	v_cmp_eq_u16_sdwa s40, v27, v44 src0_sel:BYTE_1 src1_sel:DWORD
	s_mov_b32 s12, -1
	s_and_saveexec_b32 s29, s40
; %bb.6057:                             ;   in Loop: Header=BB6_5278 Depth=2
	s_xor_b32 s12, exec_lo, -1
; %bb.6058:                             ;   in Loop: Header=BB6_5278 Depth=2
	s_or_b32 exec_lo, exec_lo, s29
	s_and_b32 s12, s12, exec_lo
	s_or_saveexec_b32 s28, s28
	v_mov_b32_e32 v2, 0x7f800001
	s_xor_b32 exec_lo, exec_lo, s28
	s_cbranch_execnz .LBB6_7755
.LBB6_6059:                             ;   in Loop: Header=BB6_5278 Depth=2
	s_or_b32 exec_lo, exec_lo, s28
	s_and_saveexec_b32 s28, s12
	s_cbranch_execz .LBB6_6061
.LBB6_6060:                             ;   in Loop: Header=BB6_5278 Depth=2
	v_and_b32_sdwa v2, v45, v27 dst_sel:DWORD dst_unused:UNUSED_PAD src0_sel:DWORD src1_sel:BYTE_1
	v_and_b32_e32 v3, 3, v2
	v_bfe_u32 v88, v2, 2, 5
	v_ffbh_u32_e32 v42, v3
	v_cmp_eq_u32_e32 vcc_lo, 0, v88
	v_min_u32_e32 v42, 32, v42
	v_subrev_nc_u32_e32 v79, 29, v42
	v_sub_nc_u32_e32 v42, 30, v42
	v_lshlrev_b32_e32 v2, v79, v2
	v_lshlrev_b32_e32 v79, 16, v27
	v_cndmask_b32_e32 v42, v88, v42, vcc_lo
	v_and_b32_e32 v2, 3, v2
	v_lshl_add_u32 v42, v42, 23, 0x37800000
	v_cndmask_b32_e32 v2, v3, v2, vcc_lo
	v_and_b32_e32 v3, 0x80000000, v79
	v_lshlrev_b32_e32 v2, 21, v2
	v_or3_b32 v2, v3, v42, v2
.LBB6_6061:                             ;   in Loop: Header=BB6_5278 Depth=2
	s_or_b32 exec_lo, exec_lo, s28
	v_max_f32_e32 v2, v2, v2
	v_max_f32_e32 v3, v78, v78
	v_min_f32_e32 v79, v3, v2
.LBB6_6062:                             ;   in Loop: Header=BB6_5278 Depth=2
	v_and_b32_e32 v2, 0x7f800000, v79
	v_mov_b32_e32 v78, 0x8000
	s_mov_b32 s28, exec_lo
	v_cmpx_ne_u32_e32 0x7f800000, v2
	s_cbranch_execz .LBB6_6070
; %bb.6063:                             ;   in Loop: Header=BB6_5278 Depth=2
	v_mov_b32_e32 v78, 0
	s_mov_b32 s29, exec_lo
	v_cmpx_ne_u32_e32 0, v79
	s_cbranch_execz .LBB6_6069
; %bb.6064:                             ;   in Loop: Header=BB6_5278 Depth=2
	v_bfe_u32 v2, v79, 23, 8
	v_and_b32_e32 v3, 0x7fffff, v79
	v_sub_nc_u32_e32 v42, 0x70, v2
	v_cmp_gt_u32_e32 vcc_lo, 0x71, v2
	v_or_b32_e32 v78, 0x800000, v3
	v_cndmask_b32_e32 v42, 0, v42, vcc_lo
	v_cmp_eq_u32_e32 vcc_lo, 0, v2
	v_add_nc_u32_e32 v2, 0xffffff91, v2
	v_cndmask_b32_e64 v42, v42, 0x6f, vcc_lo
	v_cndmask_b32_e32 v3, v78, v3, vcc_lo
	v_cndmask_b32_e64 v2, v2, 0xffffff92, vcc_lo
	v_lshl_add_u32 v88, 0x200000, v42, -1
	v_lshrrev_b32_e32 v78, v42, v3
	v_lshlrev_b32_e64 v90, v42, 0x100000
	v_and_b32_e32 v3, v88, v3
	v_bfe_u32 v89, v78, 21, 1
	v_cmp_eq_u32_e64 s12, v3, v90
	v_add_nc_u32_e32 v88, -1, v89
	v_lshrrev_b32_e32 v89, 23, v78
	v_cndmask_b32_e64 v3, 0, v88, s12
	s_mov_b32 s12, exec_lo
	v_add_nc_u32_e32 v88, v3, v78
	v_add_nc_u32_e32 v3, v42, v2
	v_xor_b32_e32 v42, 1, v89
	v_and_b32_e32 v2, 0x1fffff, v88
	v_add_nc_u32_e32 v2, v2, v78
                                        ; implicit-def: $vgpr78
	v_cmpx_ne_u32_e64 v3, v42
	s_xor_b32 s12, exec_lo, s12
; %bb.6065:                             ;   in Loop: Header=BB6_5278 Depth=2
	v_cmp_lt_u32_e32 vcc_lo, 0xffffff, v2
	v_sub_nc_u32_e32 v3, v3, v42
	v_cndmask_b32_e64 v42, 0, 1, vcc_lo
	v_add_co_ci_u32_e64 v78, null, 0, v3, vcc_lo
	v_lshrrev_b32_e32 v2, v42, v2
; %bb.6066:                             ;   in Loop: Header=BB6_5278 Depth=2
	s_andn2_saveexec_b32 s12, s12
; %bb.6067:                             ;   in Loop: Header=BB6_5278 Depth=2
	v_bfe_u32 v78, v2, 23, 1
; %bb.6068:                             ;   in Loop: Header=BB6_5278 Depth=2
	s_or_b32 exec_lo, exec_lo, s12
	v_lshrrev_b32_e32 v2, 21, v2
	v_min_i32_e32 v3, 31, v78
	v_cmp_gt_i32_e32 vcc_lo, 32, v78
	v_and_b32_sdwa v42, v79, v44 dst_sel:DWORD dst_unused:UNUSED_PAD src0_sel:BYTE_3 src1_sel:DWORD
	v_lshlrev_b32_e32 v3, 2, v3
	v_cndmask_b32_e32 v2, 3, v2, vcc_lo
	v_and_b32_e32 v3, 0xfc, v3
	v_and_b32_e32 v79, 3, v2
	v_or_b32_e32 v2, v78, v2
	v_or3_b32 v3, v42, v3, v79
	v_cmp_ne_u32_e32 vcc_lo, 0, v2
	v_lshlrev_b32_e32 v3, 8, v3
	v_cndmask_b32_e32 v78, 0, v3, vcc_lo
.LBB6_6069:                             ;   in Loop: Header=BB6_5278 Depth=2
	s_or_b32 exec_lo, exec_lo, s29
.LBB6_6070:                             ;   in Loop: Header=BB6_5278 Depth=2
	s_or_b32 exec_lo, exec_lo, s28
	v_and_b32_sdwa v79, v33, v46 dst_sel:DWORD dst_unused:UNUSED_PAD src0_sel:WORD_1 src1_sel:DWORD
	s_andn2_b32 vcc_lo, exec_lo, s27
	s_mov_b32 s28, -1
                                        ; implicit-def: $vgpr88
	v_cmp_lt_i16_e64 s12, 0x7f, v79
	s_cbranch_vccnz .LBB6_6084
; %bb.6071:                             ;   in Loop: Header=BB6_5278 Depth=2
	s_mov_b32 s28, 0
	s_and_saveexec_b32 s29, s12
	s_xor_b32 s12, exec_lo, s29
	s_cbranch_execz .LBB6_7756
; %bb.6072:                             ;   in Loop: Header=BB6_5278 Depth=2
	s_mov_b32 s28, -1
	s_mov_b32 s29, exec_lo
	v_cmpx_eq_u16_e32 0x80, v79
; %bb.6073:                             ;   in Loop: Header=BB6_5278 Depth=2
	s_xor_b32 s28, exec_lo, -1
; %bb.6074:                             ;   in Loop: Header=BB6_5278 Depth=2
	s_or_b32 exec_lo, exec_lo, s29
	s_and_b32 s28, s28, exec_lo
	s_or_saveexec_b32 s12, s12
	v_mov_b32_e32 v88, 0x7f800001
	s_xor_b32 exec_lo, exec_lo, s12
	s_cbranch_execnz .LBB6_7757
.LBB6_6075:                             ;   in Loop: Header=BB6_5278 Depth=2
	s_or_b32 exec_lo, exec_lo, s12
	s_and_saveexec_b32 s12, s28
	s_cbranch_execz .LBB6_6077
.LBB6_6076:                             ;   in Loop: Header=BB6_5278 Depth=2
	v_bfe_u32 v2, v33, 16, 2
	v_bfe_u32 v88, v33, 18, 5
	v_lshlrev_b32_sdwa v89, v47, v33 dst_sel:DWORD dst_unused:UNUSED_PAD src0_sel:DWORD src1_sel:WORD_1
	v_ffbh_u32_e32 v3, v2
	v_cmp_eq_u32_e32 vcc_lo, 0, v88
	v_min_u32_e32 v3, 32, v3
	v_subrev_nc_u32_e32 v42, 29, v3
	v_sub_nc_u32_e32 v3, 30, v3
	v_lshlrev_b32_sdwa v42, v42, v33 dst_sel:DWORD dst_unused:UNUSED_PAD src0_sel:DWORD src1_sel:WORD_1
	v_cndmask_b32_e32 v3, v88, v3, vcc_lo
	v_and_b32_e32 v42, 3, v42
	v_lshl_add_u32 v3, v3, 23, 0x37800000
	v_cndmask_b32_e32 v2, v2, v42, vcc_lo
	v_and_b32_e32 v42, 0x80000000, v89
	v_lshlrev_b32_e32 v2, 21, v2
	v_or3_b32 v88, v42, v3, v2
.LBB6_6077:                             ;   in Loop: Header=BB6_5278 Depth=2
	s_or_b32 exec_lo, exec_lo, s12
	v_and_b32_sdwa v3, v27, v46 dst_sel:DWORD dst_unused:UNUSED_PAD src0_sel:WORD_1 src1_sel:DWORD
	s_mov_b32 s12, 0
	s_mov_b32 s28, exec_lo
	v_cmpx_lt_i16_e32 0x7f, v3
	s_xor_b32 s28, exec_lo, s28
	s_cbranch_execz .LBB6_7758
; %bb.6078:                             ;   in Loop: Header=BB6_5278 Depth=2
	s_mov_b32 s12, -1
	s_mov_b32 s29, exec_lo
	v_cmpx_eq_u16_e32 0x80, v3
; %bb.6079:                             ;   in Loop: Header=BB6_5278 Depth=2
	s_xor_b32 s12, exec_lo, -1
; %bb.6080:                             ;   in Loop: Header=BB6_5278 Depth=2
	s_or_b32 exec_lo, exec_lo, s29
	s_and_b32 s12, s12, exec_lo
                                        ; implicit-def: $vgpr3
	s_or_saveexec_b32 s28, s28
	v_mov_b32_e32 v2, 0x7f800001
	s_xor_b32 exec_lo, exec_lo, s28
	s_cbranch_execnz .LBB6_7759
.LBB6_6081:                             ;   in Loop: Header=BB6_5278 Depth=2
	s_or_b32 exec_lo, exec_lo, s28
	s_and_saveexec_b32 s28, s12
	s_cbranch_execz .LBB6_6083
.LBB6_6082:                             ;   in Loop: Header=BB6_5278 Depth=2
	v_bfe_u32 v2, v27, 16, 2
	v_bfe_u32 v89, v27, 18, 5
	v_lshlrev_b32_sdwa v90, v47, v27 dst_sel:DWORD dst_unused:UNUSED_PAD src0_sel:DWORD src1_sel:WORD_1
	v_ffbh_u32_e32 v3, v2
	v_cmp_eq_u32_e32 vcc_lo, 0, v89
	v_min_u32_e32 v3, 32, v3
	v_subrev_nc_u32_e32 v42, 29, v3
	v_sub_nc_u32_e32 v3, 30, v3
	v_lshlrev_b32_sdwa v42, v42, v27 dst_sel:DWORD dst_unused:UNUSED_PAD src0_sel:DWORD src1_sel:WORD_1
	v_cndmask_b32_e32 v3, v89, v3, vcc_lo
	v_and_b32_e32 v42, 3, v42
	v_lshl_add_u32 v3, v3, 23, 0x37800000
	v_cndmask_b32_e32 v2, v2, v42, vcc_lo
	v_and_b32_e32 v42, 0x80000000, v90
	v_lshlrev_b32_e32 v2, 21, v2
	v_or3_b32 v2, v42, v3, v2
.LBB6_6083:                             ;   in Loop: Header=BB6_5278 Depth=2
	s_or_b32 exec_lo, exec_lo, s28
	v_max_f32_e32 v2, v2, v2
	v_max_f32_e32 v3, v88, v88
	s_mov_b32 s28, 0
	v_max_f32_e32 v88, v3, v2
.LBB6_6084:                             ;   in Loop: Header=BB6_5278 Depth=2
	s_and_b32 vcc_lo, exec_lo, s28
	s_cbranch_vccz .LBB6_6098
; %bb.6085:                             ;   in Loop: Header=BB6_5278 Depth=2
	s_mov_b32 s12, 0
	s_mov_b32 s28, exec_lo
	v_cmpx_lt_i16_e32 0x7f, v79
	s_xor_b32 s28, exec_lo, s28
	s_cbranch_execz .LBB6_7760
; %bb.6086:                             ;   in Loop: Header=BB6_5278 Depth=2
	s_mov_b32 s12, -1
	s_mov_b32 s29, exec_lo
	v_cmpx_eq_u16_e32 0x80, v79
; %bb.6087:                             ;   in Loop: Header=BB6_5278 Depth=2
	s_xor_b32 s12, exec_lo, -1
; %bb.6088:                             ;   in Loop: Header=BB6_5278 Depth=2
	s_or_b32 exec_lo, exec_lo, s29
	s_and_b32 s12, s12, exec_lo
                                        ; implicit-def: $vgpr79
	s_or_saveexec_b32 s28, s28
	v_mov_b32_e32 v88, 0x7f800001
	s_xor_b32 exec_lo, exec_lo, s28
	s_cbranch_execnz .LBB6_7761
.LBB6_6089:                             ;   in Loop: Header=BB6_5278 Depth=2
	s_or_b32 exec_lo, exec_lo, s28
	s_and_saveexec_b32 s28, s12
	s_cbranch_execz .LBB6_6091
.LBB6_6090:                             ;   in Loop: Header=BB6_5278 Depth=2
	v_bfe_u32 v2, v33, 16, 2
	v_bfe_u32 v79, v33, 18, 5
	v_lshlrev_b32_sdwa v88, v47, v33 dst_sel:DWORD dst_unused:UNUSED_PAD src0_sel:DWORD src1_sel:WORD_1
	v_ffbh_u32_e32 v3, v2
	v_cmp_eq_u32_e32 vcc_lo, 0, v79
	v_min_u32_e32 v3, 32, v3
	v_subrev_nc_u32_e32 v42, 29, v3
	v_sub_nc_u32_e32 v3, 30, v3
	v_lshlrev_b32_sdwa v42, v42, v33 dst_sel:DWORD dst_unused:UNUSED_PAD src0_sel:DWORD src1_sel:WORD_1
	v_cndmask_b32_e32 v3, v79, v3, vcc_lo
	v_and_b32_e32 v42, 3, v42
	v_lshl_add_u32 v3, v3, 23, 0x37800000
	v_cndmask_b32_e32 v2, v2, v42, vcc_lo
	v_and_b32_e32 v42, 0x80000000, v88
	v_lshlrev_b32_e32 v2, 21, v2
	v_or3_b32 v88, v42, v3, v2
.LBB6_6091:                             ;   in Loop: Header=BB6_5278 Depth=2
	s_or_b32 exec_lo, exec_lo, s28
	v_and_b32_sdwa v3, v27, v46 dst_sel:DWORD dst_unused:UNUSED_PAD src0_sel:WORD_1 src1_sel:DWORD
	s_mov_b32 s12, 0
	s_mov_b32 s28, exec_lo
	v_cmpx_lt_i16_e32 0x7f, v3
	s_xor_b32 s28, exec_lo, s28
	s_cbranch_execz .LBB6_7762
; %bb.6092:                             ;   in Loop: Header=BB6_5278 Depth=2
	s_mov_b32 s12, -1
	s_mov_b32 s29, exec_lo
	v_cmpx_eq_u16_e32 0x80, v3
; %bb.6093:                             ;   in Loop: Header=BB6_5278 Depth=2
	s_xor_b32 s12, exec_lo, -1
; %bb.6094:                             ;   in Loop: Header=BB6_5278 Depth=2
	s_or_b32 exec_lo, exec_lo, s29
	s_and_b32 s12, s12, exec_lo
                                        ; implicit-def: $vgpr3
	s_or_saveexec_b32 s28, s28
	v_mov_b32_e32 v2, 0x7f800001
	s_xor_b32 exec_lo, exec_lo, s28
	s_cbranch_execnz .LBB6_7763
.LBB6_6095:                             ;   in Loop: Header=BB6_5278 Depth=2
	s_or_b32 exec_lo, exec_lo, s28
	s_and_saveexec_b32 s28, s12
	s_cbranch_execz .LBB6_6097
.LBB6_6096:                             ;   in Loop: Header=BB6_5278 Depth=2
	v_bfe_u32 v2, v27, 16, 2
	v_bfe_u32 v79, v27, 18, 5
	v_lshlrev_b32_sdwa v89, v47, v27 dst_sel:DWORD dst_unused:UNUSED_PAD src0_sel:DWORD src1_sel:WORD_1
	v_ffbh_u32_e32 v3, v2
	v_cmp_eq_u32_e32 vcc_lo, 0, v79
	v_min_u32_e32 v3, 32, v3
	v_subrev_nc_u32_e32 v42, 29, v3
	v_sub_nc_u32_e32 v3, 30, v3
	v_lshlrev_b32_sdwa v42, v42, v27 dst_sel:DWORD dst_unused:UNUSED_PAD src0_sel:DWORD src1_sel:WORD_1
	v_cndmask_b32_e32 v3, v79, v3, vcc_lo
	v_and_b32_e32 v42, 3, v42
	v_lshl_add_u32 v3, v3, 23, 0x37800000
	v_cndmask_b32_e32 v2, v2, v42, vcc_lo
	v_and_b32_e32 v42, 0x80000000, v89
	v_lshlrev_b32_e32 v2, 21, v2
	v_or3_b32 v2, v42, v3, v2
.LBB6_6097:                             ;   in Loop: Header=BB6_5278 Depth=2
	s_or_b32 exec_lo, exec_lo, s28
	v_max_f32_e32 v2, v2, v2
	v_max_f32_e32 v3, v88, v88
	v_min_f32_e32 v88, v3, v2
.LBB6_6098:                             ;   in Loop: Header=BB6_5278 Depth=2
	v_and_b32_e32 v2, 0x7f800000, v88
	v_mov_b32_e32 v79, 0x80
	s_mov_b32 s28, exec_lo
	v_cmpx_ne_u32_e32 0x7f800000, v2
	s_cbranch_execz .LBB6_6106
; %bb.6099:                             ;   in Loop: Header=BB6_5278 Depth=2
	v_mov_b32_e32 v79, 0
	s_mov_b32 s29, exec_lo
	v_cmpx_ne_u32_e32 0, v88
	s_cbranch_execz .LBB6_6105
; %bb.6100:                             ;   in Loop: Header=BB6_5278 Depth=2
	v_bfe_u32 v2, v88, 23, 8
	v_and_b32_e32 v3, 0x7fffff, v88
	v_sub_nc_u32_e32 v42, 0x70, v2
	v_cmp_gt_u32_e32 vcc_lo, 0x71, v2
	v_or_b32_e32 v79, 0x800000, v3
	v_cndmask_b32_e32 v42, 0, v42, vcc_lo
	v_cmp_eq_u32_e32 vcc_lo, 0, v2
	v_add_nc_u32_e32 v2, 0xffffff91, v2
	v_cndmask_b32_e64 v42, v42, 0x6f, vcc_lo
	v_cndmask_b32_e32 v3, v79, v3, vcc_lo
	v_cndmask_b32_e64 v2, v2, 0xffffff92, vcc_lo
	v_lshl_add_u32 v89, 0x200000, v42, -1
	v_lshrrev_b32_e32 v79, v42, v3
	v_lshlrev_b32_e64 v91, v42, 0x100000
	v_and_b32_e32 v3, v89, v3
	v_bfe_u32 v90, v79, 21, 1
	v_cmp_eq_u32_e64 s12, v3, v91
	v_add_nc_u32_e32 v89, -1, v90
	v_lshrrev_b32_e32 v90, 23, v79
	v_cndmask_b32_e64 v3, 0, v89, s12
	s_mov_b32 s12, exec_lo
	v_add_nc_u32_e32 v89, v3, v79
	v_add_nc_u32_e32 v3, v42, v2
	v_xor_b32_e32 v42, 1, v90
	v_and_b32_e32 v2, 0x1fffff, v89
	v_add_nc_u32_e32 v2, v2, v79
                                        ; implicit-def: $vgpr79
	v_cmpx_ne_u32_e64 v3, v42
	s_xor_b32 s12, exec_lo, s12
; %bb.6101:                             ;   in Loop: Header=BB6_5278 Depth=2
	v_cmp_lt_u32_e32 vcc_lo, 0xffffff, v2
	v_sub_nc_u32_e32 v3, v3, v42
	v_cndmask_b32_e64 v42, 0, 1, vcc_lo
	v_add_co_ci_u32_e64 v79, null, 0, v3, vcc_lo
	v_lshrrev_b32_e32 v2, v42, v2
; %bb.6102:                             ;   in Loop: Header=BB6_5278 Depth=2
	s_andn2_saveexec_b32 s12, s12
; %bb.6103:                             ;   in Loop: Header=BB6_5278 Depth=2
	v_bfe_u32 v79, v2, 23, 1
; %bb.6104:                             ;   in Loop: Header=BB6_5278 Depth=2
	s_or_b32 exec_lo, exec_lo, s12
	v_lshrrev_b32_e32 v2, 21, v2
	v_min_i32_e32 v3, 31, v79
	v_cmp_gt_i32_e32 vcc_lo, 32, v79
	v_and_b32_sdwa v42, v88, v44 dst_sel:DWORD dst_unused:UNUSED_PAD src0_sel:BYTE_3 src1_sel:DWORD
	v_lshlrev_b32_e32 v3, 2, v3
	v_cndmask_b32_e32 v2, 3, v2, vcc_lo
	v_and_b32_e32 v3, 0xfc, v3
	v_and_b32_e32 v88, 3, v2
	v_or_b32_e32 v2, v79, v2
	v_or3_b32 v3, v3, v42, v88
	v_cmp_ne_u32_e32 vcc_lo, 0, v2
	v_cndmask_b32_e32 v79, 0, v3, vcc_lo
.LBB6_6105:                             ;   in Loop: Header=BB6_5278 Depth=2
	s_or_b32 exec_lo, exec_lo, s29
.LBB6_6106:                             ;   in Loop: Header=BB6_5278 Depth=2
	s_or_b32 exec_lo, exec_lo, s28
	v_cmp_gt_i16_sdwa s28, v33, v43 src0_sel:BYTE_3 src1_sel:DWORD
	s_andn2_b32 vcc_lo, exec_lo, s27
	s_mov_b32 s12, -1
                                        ; implicit-def: $vgpr88
	s_cbranch_vccnz .LBB6_6120
; %bb.6107:                             ;   in Loop: Header=BB6_5278 Depth=2
	s_mov_b32 s12, 0
	s_and_saveexec_b32 s29, s28
	s_xor_b32 s28, exec_lo, s29
	s_cbranch_execz .LBB6_7764
; %bb.6108:                             ;   in Loop: Header=BB6_5278 Depth=2
	v_cmp_eq_u16_sdwa s40, v33, v44 src0_sel:BYTE_3 src1_sel:DWORD
	s_mov_b32 s12, -1
	s_and_saveexec_b32 s29, s40
; %bb.6109:                             ;   in Loop: Header=BB6_5278 Depth=2
	s_xor_b32 s12, exec_lo, -1
; %bb.6110:                             ;   in Loop: Header=BB6_5278 Depth=2
	s_or_b32 exec_lo, exec_lo, s29
	s_and_b32 s12, s12, exec_lo
	s_or_saveexec_b32 s28, s28
	v_mov_b32_e32 v88, 0x7f800001
	s_xor_b32 exec_lo, exec_lo, s28
	s_cbranch_execnz .LBB6_7765
.LBB6_6111:                             ;   in Loop: Header=BB6_5278 Depth=2
	s_or_b32 exec_lo, exec_lo, s28
	s_and_saveexec_b32 s28, s12
	s_cbranch_execz .LBB6_6113
.LBB6_6112:                             ;   in Loop: Header=BB6_5278 Depth=2
	v_bfe_u32 v2, v33, 24, 2
	v_bfe_u32 v88, v33, 26, 5
	v_ffbh_u32_e32 v3, v2
	v_cmp_eq_u32_e32 vcc_lo, 0, v88
	v_min_u32_e32 v3, 32, v3
	v_subrev_nc_u32_e32 v42, 29, v3
	v_sub_nc_u32_e32 v3, 30, v3
	v_lshlrev_b32_sdwa v42, v42, v33 dst_sel:DWORD dst_unused:UNUSED_PAD src0_sel:DWORD src1_sel:BYTE_3
	v_cndmask_b32_e32 v3, v88, v3, vcc_lo
	v_and_b32_e32 v42, 3, v42
	v_lshl_add_u32 v3, v3, 23, 0x37800000
	v_cndmask_b32_e32 v2, v2, v42, vcc_lo
	v_and_b32_e32 v42, 0x80000000, v33
	v_lshlrev_b32_e32 v2, 21, v2
	v_or3_b32 v88, v42, v3, v2
.LBB6_6113:                             ;   in Loop: Header=BB6_5278 Depth=2
	s_or_b32 exec_lo, exec_lo, s28
	v_cmp_gt_i16_sdwa s28, v27, v43 src0_sel:BYTE_3 src1_sel:DWORD
	s_mov_b32 s12, 0
	s_and_saveexec_b32 s29, s28
	s_xor_b32 s28, exec_lo, s29
	s_cbranch_execz .LBB6_7766
; %bb.6114:                             ;   in Loop: Header=BB6_5278 Depth=2
	v_cmp_eq_u16_sdwa s40, v27, v44 src0_sel:BYTE_3 src1_sel:DWORD
	s_mov_b32 s12, -1
	s_and_saveexec_b32 s29, s40
; %bb.6115:                             ;   in Loop: Header=BB6_5278 Depth=2
	s_xor_b32 s12, exec_lo, -1
; %bb.6116:                             ;   in Loop: Header=BB6_5278 Depth=2
	s_or_b32 exec_lo, exec_lo, s29
	s_and_b32 s12, s12, exec_lo
	s_or_saveexec_b32 s28, s28
	v_mov_b32_e32 v2, 0x7f800001
	s_xor_b32 exec_lo, exec_lo, s28
	s_cbranch_execnz .LBB6_7767
.LBB6_6117:                             ;   in Loop: Header=BB6_5278 Depth=2
	s_or_b32 exec_lo, exec_lo, s28
	s_and_saveexec_b32 s28, s12
	s_cbranch_execz .LBB6_6119
.LBB6_6118:                             ;   in Loop: Header=BB6_5278 Depth=2
	v_bfe_u32 v2, v27, 24, 2
	v_bfe_u32 v89, v27, 26, 5
	v_ffbh_u32_e32 v3, v2
	v_cmp_eq_u32_e32 vcc_lo, 0, v89
	v_min_u32_e32 v3, 32, v3
	v_subrev_nc_u32_e32 v42, 29, v3
	v_sub_nc_u32_e32 v3, 30, v3
	v_lshlrev_b32_sdwa v42, v42, v27 dst_sel:DWORD dst_unused:UNUSED_PAD src0_sel:DWORD src1_sel:BYTE_3
	v_cndmask_b32_e32 v3, v89, v3, vcc_lo
	v_and_b32_e32 v42, 3, v42
	v_lshl_add_u32 v3, v3, 23, 0x37800000
	v_cndmask_b32_e32 v2, v2, v42, vcc_lo
	v_and_b32_e32 v42, 0x80000000, v27
	v_lshlrev_b32_e32 v2, 21, v2
	v_or3_b32 v2, v42, v3, v2
.LBB6_6119:                             ;   in Loop: Header=BB6_5278 Depth=2
	s_or_b32 exec_lo, exec_lo, s28
	v_max_f32_e32 v2, v2, v2
	v_max_f32_e32 v3, v88, v88
	s_mov_b32 s12, 0
	v_max_f32_e32 v88, v3, v2
.LBB6_6120:                             ;   in Loop: Header=BB6_5278 Depth=2
	s_and_b32 vcc_lo, exec_lo, s12
	s_cbranch_vccz .LBB6_6134
; %bb.6121:                             ;   in Loop: Header=BB6_5278 Depth=2
	v_cmp_gt_i16_sdwa s28, v33, v43 src0_sel:BYTE_3 src1_sel:DWORD
	s_mov_b32 s12, 0
	s_and_saveexec_b32 s29, s28
	s_xor_b32 s28, exec_lo, s29
	s_cbranch_execz .LBB6_7768
; %bb.6122:                             ;   in Loop: Header=BB6_5278 Depth=2
	v_cmp_eq_u16_sdwa s40, v33, v44 src0_sel:BYTE_3 src1_sel:DWORD
	s_mov_b32 s12, -1
	s_and_saveexec_b32 s29, s40
; %bb.6123:                             ;   in Loop: Header=BB6_5278 Depth=2
	s_xor_b32 s12, exec_lo, -1
; %bb.6124:                             ;   in Loop: Header=BB6_5278 Depth=2
	s_or_b32 exec_lo, exec_lo, s29
	s_and_b32 s12, s12, exec_lo
	s_or_saveexec_b32 s28, s28
	v_mov_b32_e32 v88, 0x7f800001
	s_xor_b32 exec_lo, exec_lo, s28
	s_cbranch_execnz .LBB6_7769
.LBB6_6125:                             ;   in Loop: Header=BB6_5278 Depth=2
	s_or_b32 exec_lo, exec_lo, s28
	s_and_saveexec_b32 s28, s12
	s_cbranch_execz .LBB6_6127
.LBB6_6126:                             ;   in Loop: Header=BB6_5278 Depth=2
	v_bfe_u32 v2, v33, 24, 2
	v_bfe_u32 v88, v33, 26, 5
	v_ffbh_u32_e32 v3, v2
	v_cmp_eq_u32_e32 vcc_lo, 0, v88
	v_min_u32_e32 v3, 32, v3
	v_subrev_nc_u32_e32 v42, 29, v3
	v_sub_nc_u32_e32 v3, 30, v3
	v_lshlrev_b32_sdwa v42, v42, v33 dst_sel:DWORD dst_unused:UNUSED_PAD src0_sel:DWORD src1_sel:BYTE_3
	v_cndmask_b32_e32 v3, v88, v3, vcc_lo
	v_and_b32_e32 v33, 0x80000000, v33
	v_and_b32_e32 v42, 3, v42
	v_lshl_add_u32 v3, v3, 23, 0x37800000
	v_cndmask_b32_e32 v2, v2, v42, vcc_lo
	v_lshlrev_b32_e32 v2, 21, v2
	v_or3_b32 v88, v33, v3, v2
.LBB6_6127:                             ;   in Loop: Header=BB6_5278 Depth=2
	s_or_b32 exec_lo, exec_lo, s28
	v_cmp_gt_i16_sdwa s28, v27, v43 src0_sel:BYTE_3 src1_sel:DWORD
	s_mov_b32 s12, 0
	s_and_saveexec_b32 s29, s28
	s_xor_b32 s28, exec_lo, s29
	s_cbranch_execz .LBB6_7770
; %bb.6128:                             ;   in Loop: Header=BB6_5278 Depth=2
	v_cmp_eq_u16_sdwa s40, v27, v44 src0_sel:BYTE_3 src1_sel:DWORD
	s_mov_b32 s12, -1
	s_and_saveexec_b32 s29, s40
; %bb.6129:                             ;   in Loop: Header=BB6_5278 Depth=2
	s_xor_b32 s12, exec_lo, -1
; %bb.6130:                             ;   in Loop: Header=BB6_5278 Depth=2
	s_or_b32 exec_lo, exec_lo, s29
	s_and_b32 s12, s12, exec_lo
	s_or_saveexec_b32 s28, s28
	v_mov_b32_e32 v2, 0x7f800001
	s_xor_b32 exec_lo, exec_lo, s28
	s_cbranch_execnz .LBB6_7771
.LBB6_6131:                             ;   in Loop: Header=BB6_5278 Depth=2
	s_or_b32 exec_lo, exec_lo, s28
	s_and_saveexec_b32 s28, s12
	s_cbranch_execz .LBB6_6133
.LBB6_6132:                             ;   in Loop: Header=BB6_5278 Depth=2
	v_bfe_u32 v2, v27, 24, 2
	v_bfe_u32 v42, v27, 26, 5
	v_ffbh_u32_e32 v3, v2
	v_cmp_eq_u32_e32 vcc_lo, 0, v42
	v_min_u32_e32 v3, 32, v3
	v_subrev_nc_u32_e32 v33, 29, v3
	v_sub_nc_u32_e32 v3, 30, v3
	v_lshlrev_b32_sdwa v33, v33, v27 dst_sel:DWORD dst_unused:UNUSED_PAD src0_sel:DWORD src1_sel:BYTE_3
	v_cndmask_b32_e32 v3, v42, v3, vcc_lo
	v_and_b32_e32 v27, 0x80000000, v27
	v_and_b32_e32 v33, 3, v33
	v_lshl_add_u32 v3, v3, 23, 0x37800000
	v_cndmask_b32_e32 v2, v2, v33, vcc_lo
	v_lshlrev_b32_e32 v2, 21, v2
	v_or3_b32 v2, v27, v3, v2
.LBB6_6133:                             ;   in Loop: Header=BB6_5278 Depth=2
	s_or_b32 exec_lo, exec_lo, s28
	v_max_f32_e32 v2, v2, v2
	v_max_f32_e32 v3, v88, v88
	v_min_f32_e32 v88, v3, v2
.LBB6_6134:                             ;   in Loop: Header=BB6_5278 Depth=2
	v_and_b32_e32 v2, 0x7f800000, v88
	v_mov_b32_e32 v27, 0x8000
	s_mov_b32 s28, exec_lo
	v_cmpx_ne_u32_e32 0x7f800000, v2
	s_cbranch_execz .LBB6_6142
; %bb.6135:                             ;   in Loop: Header=BB6_5278 Depth=2
	v_mov_b32_e32 v27, 0
	s_mov_b32 s29, exec_lo
	v_cmpx_ne_u32_e32 0, v88
	s_cbranch_execz .LBB6_6141
; %bb.6136:                             ;   in Loop: Header=BB6_5278 Depth=2
	v_bfe_u32 v2, v88, 23, 8
	v_and_b32_e32 v3, 0x7fffff, v88
	v_sub_nc_u32_e32 v27, 0x70, v2
	v_cmp_gt_u32_e32 vcc_lo, 0x71, v2
	v_or_b32_e32 v33, 0x800000, v3
	v_cndmask_b32_e32 v27, 0, v27, vcc_lo
	v_cmp_eq_u32_e32 vcc_lo, 0, v2
	v_add_nc_u32_e32 v2, 0xffffff91, v2
	v_cndmask_b32_e64 v27, v27, 0x6f, vcc_lo
	v_cndmask_b32_e32 v3, v33, v3, vcc_lo
	v_cndmask_b32_e64 v2, v2, 0xffffff92, vcc_lo
	v_lshl_add_u32 v33, 0x200000, v27, -1
	v_lshrrev_b32_e32 v42, v27, v3
	v_lshlrev_b32_e64 v90, v27, 0x100000
	v_and_b32_e32 v3, v33, v3
	v_bfe_u32 v89, v42, 21, 1
	v_cmp_eq_u32_e64 s12, v3, v90
	v_add_nc_u32_e32 v33, -1, v89
	v_lshrrev_b32_e32 v89, 23, v42
	v_cndmask_b32_e64 v3, 0, v33, s12
	s_mov_b32 s12, exec_lo
	v_add_nc_u32_e32 v33, v3, v42
	v_add_nc_u32_e32 v3, v27, v2
                                        ; implicit-def: $vgpr27
	v_and_b32_e32 v2, 0x1fffff, v33
	v_xor_b32_e32 v33, 1, v89
	v_add_nc_u32_e32 v2, v2, v42
	v_cmpx_ne_u32_e64 v3, v33
	s_xor_b32 s12, exec_lo, s12
; %bb.6137:                             ;   in Loop: Header=BB6_5278 Depth=2
	v_cmp_lt_u32_e32 vcc_lo, 0xffffff, v2
	v_sub_nc_u32_e32 v3, v3, v33
	v_cndmask_b32_e64 v33, 0, 1, vcc_lo
	v_add_co_ci_u32_e64 v27, null, 0, v3, vcc_lo
	v_lshrrev_b32_e32 v2, v33, v2
; %bb.6138:                             ;   in Loop: Header=BB6_5278 Depth=2
	s_andn2_saveexec_b32 s12, s12
; %bb.6139:                             ;   in Loop: Header=BB6_5278 Depth=2
	v_bfe_u32 v27, v2, 23, 1
; %bb.6140:                             ;   in Loop: Header=BB6_5278 Depth=2
	s_or_b32 exec_lo, exec_lo, s12
	v_lshrrev_b32_e32 v2, 21, v2
	v_min_i32_e32 v3, 31, v27
	v_cmp_gt_i32_e32 vcc_lo, 32, v27
	v_and_b32_sdwa v33, v88, v44 dst_sel:DWORD dst_unused:UNUSED_PAD src0_sel:BYTE_3 src1_sel:DWORD
	v_lshlrev_b32_e32 v3, 2, v3
	v_cndmask_b32_e32 v2, 3, v2, vcc_lo
	v_and_b32_e32 v3, 0xfc, v3
	v_and_b32_e32 v42, 3, v2
	v_or_b32_e32 v2, v27, v2
	v_or3_b32 v3, v33, v3, v42
	v_cmp_ne_u32_e32 vcc_lo, 0, v2
	v_lshlrev_b32_e32 v3, 8, v3
	v_cndmask_b32_e32 v27, 0, v3, vcc_lo
.LBB6_6141:                             ;   in Loop: Header=BB6_5278 Depth=2
	s_or_b32 exec_lo, exec_lo, s29
.LBB6_6142:                             ;   in Loop: Header=BB6_5278 Depth=2
	s_or_b32 exec_lo, exec_lo, s28
	v_cmp_gt_i16_sdwa s28, v34, v43 src0_sel:BYTE_0 src1_sel:DWORD
	s_andn2_b32 vcc_lo, exec_lo, s27
	s_mov_b32 s12, -1
                                        ; implicit-def: $vgpr88
	s_cbranch_vccnz .LBB6_6156
; %bb.6143:                             ;   in Loop: Header=BB6_5278 Depth=2
	s_mov_b32 s12, 0
	s_and_saveexec_b32 s29, s28
	s_xor_b32 s28, exec_lo, s29
	s_cbranch_execz .LBB6_7772
; %bb.6144:                             ;   in Loop: Header=BB6_5278 Depth=2
	v_cmp_eq_u16_sdwa s40, v34, v44 src0_sel:BYTE_0 src1_sel:DWORD
	s_mov_b32 s12, -1
	s_and_saveexec_b32 s29, s40
; %bb.6145:                             ;   in Loop: Header=BB6_5278 Depth=2
	s_xor_b32 s12, exec_lo, -1
; %bb.6146:                             ;   in Loop: Header=BB6_5278 Depth=2
	s_or_b32 exec_lo, exec_lo, s29
	s_and_b32 s12, s12, exec_lo
	s_or_saveexec_b32 s28, s28
	v_mov_b32_e32 v33, 0x7f800001
	s_xor_b32 exec_lo, exec_lo, s28
	s_cbranch_execnz .LBB6_7773
.LBB6_6147:                             ;   in Loop: Header=BB6_5278 Depth=2
	s_or_b32 exec_lo, exec_lo, s28
	s_and_saveexec_b32 s28, s12
	s_cbranch_execz .LBB6_6149
.LBB6_6148:                             ;   in Loop: Header=BB6_5278 Depth=2
	v_and_b32_e32 v2, 3, v34
	v_bfe_u32 v42, v34, 2, 5
	v_lshlrev_b32_e32 v88, 24, v34
	v_ffbh_u32_e32 v3, v2
	v_cmp_eq_u32_e32 vcc_lo, 0, v42
	v_min_u32_e32 v3, 32, v3
	v_subrev_nc_u32_e32 v33, 29, v3
	v_sub_nc_u32_e32 v3, 30, v3
	v_lshlrev_b32_e32 v33, v33, v34
	v_cndmask_b32_e32 v3, v42, v3, vcc_lo
	v_and_b32_e32 v33, 3, v33
	v_lshl_add_u32 v3, v3, 23, 0x37800000
	v_cndmask_b32_e32 v2, v2, v33, vcc_lo
	v_and_b32_e32 v33, 0x80000000, v88
	v_lshlrev_b32_e32 v2, 21, v2
	v_or3_b32 v33, v33, v3, v2
.LBB6_6149:                             ;   in Loop: Header=BB6_5278 Depth=2
	s_or_b32 exec_lo, exec_lo, s28
	v_cmp_gt_i16_sdwa s28, v28, v43 src0_sel:BYTE_0 src1_sel:DWORD
	s_mov_b32 s12, 0
	s_and_saveexec_b32 s29, s28
	s_xor_b32 s28, exec_lo, s29
	s_cbranch_execz .LBB6_7774
; %bb.6150:                             ;   in Loop: Header=BB6_5278 Depth=2
	v_cmp_eq_u16_sdwa s40, v28, v44 src0_sel:BYTE_0 src1_sel:DWORD
	s_mov_b32 s12, -1
	s_and_saveexec_b32 s29, s40
; %bb.6151:                             ;   in Loop: Header=BB6_5278 Depth=2
	s_xor_b32 s12, exec_lo, -1
; %bb.6152:                             ;   in Loop: Header=BB6_5278 Depth=2
	s_or_b32 exec_lo, exec_lo, s29
	s_and_b32 s12, s12, exec_lo
	s_or_saveexec_b32 s28, s28
	v_mov_b32_e32 v2, 0x7f800001
	s_xor_b32 exec_lo, exec_lo, s28
	s_cbranch_execnz .LBB6_7775
.LBB6_6153:                             ;   in Loop: Header=BB6_5278 Depth=2
	s_or_b32 exec_lo, exec_lo, s28
	s_and_saveexec_b32 s28, s12
	s_cbranch_execz .LBB6_6155
.LBB6_6154:                             ;   in Loop: Header=BB6_5278 Depth=2
	v_and_b32_e32 v2, 3, v28
	v_bfe_u32 v88, v28, 2, 5
	v_lshlrev_b32_e32 v89, 24, v28
	v_ffbh_u32_e32 v3, v2
	v_cmp_eq_u32_e32 vcc_lo, 0, v88
	v_min_u32_e32 v3, 32, v3
	v_subrev_nc_u32_e32 v42, 29, v3
	v_sub_nc_u32_e32 v3, 30, v3
	v_lshlrev_b32_e32 v42, v42, v28
	v_cndmask_b32_e32 v3, v88, v3, vcc_lo
	v_and_b32_e32 v42, 3, v42
	v_lshl_add_u32 v3, v3, 23, 0x37800000
	v_cndmask_b32_e32 v2, v2, v42, vcc_lo
	v_and_b32_e32 v42, 0x80000000, v89
	v_lshlrev_b32_e32 v2, 21, v2
	v_or3_b32 v2, v42, v3, v2
.LBB6_6155:                             ;   in Loop: Header=BB6_5278 Depth=2
	s_or_b32 exec_lo, exec_lo, s28
	v_max_f32_e32 v2, v2, v2
	v_max_f32_e32 v3, v33, v33
	s_mov_b32 s12, 0
	v_max_f32_e32 v88, v3, v2
.LBB6_6156:                             ;   in Loop: Header=BB6_5278 Depth=2
	s_and_b32 vcc_lo, exec_lo, s12
	s_cbranch_vccz .LBB6_6170
; %bb.6157:                             ;   in Loop: Header=BB6_5278 Depth=2
	v_cmp_gt_i16_sdwa s28, v34, v43 src0_sel:BYTE_0 src1_sel:DWORD
	s_mov_b32 s12, 0
	s_and_saveexec_b32 s29, s28
	s_xor_b32 s28, exec_lo, s29
	s_cbranch_execz .LBB6_7776
; %bb.6158:                             ;   in Loop: Header=BB6_5278 Depth=2
	v_cmp_eq_u16_sdwa s40, v34, v44 src0_sel:BYTE_0 src1_sel:DWORD
	s_mov_b32 s12, -1
	s_and_saveexec_b32 s29, s40
; %bb.6159:                             ;   in Loop: Header=BB6_5278 Depth=2
	s_xor_b32 s12, exec_lo, -1
; %bb.6160:                             ;   in Loop: Header=BB6_5278 Depth=2
	s_or_b32 exec_lo, exec_lo, s29
	s_and_b32 s12, s12, exec_lo
	s_or_saveexec_b32 s28, s28
	v_mov_b32_e32 v33, 0x7f800001
	s_xor_b32 exec_lo, exec_lo, s28
	s_cbranch_execnz .LBB6_7777
.LBB6_6161:                             ;   in Loop: Header=BB6_5278 Depth=2
	s_or_b32 exec_lo, exec_lo, s28
	s_and_saveexec_b32 s28, s12
	s_cbranch_execz .LBB6_6163
.LBB6_6162:                             ;   in Loop: Header=BB6_5278 Depth=2
	v_and_b32_e32 v2, 3, v34
	v_bfe_u32 v42, v34, 2, 5
	v_lshlrev_b32_e32 v88, 24, v34
	v_ffbh_u32_e32 v3, v2
	v_cmp_eq_u32_e32 vcc_lo, 0, v42
	v_min_u32_e32 v3, 32, v3
	v_subrev_nc_u32_e32 v33, 29, v3
	v_sub_nc_u32_e32 v3, 30, v3
	v_lshlrev_b32_e32 v33, v33, v34
	v_cndmask_b32_e32 v3, v42, v3, vcc_lo
	v_and_b32_e32 v33, 3, v33
	v_lshl_add_u32 v3, v3, 23, 0x37800000
	v_cndmask_b32_e32 v2, v2, v33, vcc_lo
	v_and_b32_e32 v33, 0x80000000, v88
	v_lshlrev_b32_e32 v2, 21, v2
	v_or3_b32 v33, v33, v3, v2
.LBB6_6163:                             ;   in Loop: Header=BB6_5278 Depth=2
	s_or_b32 exec_lo, exec_lo, s28
	v_cmp_gt_i16_sdwa s28, v28, v43 src0_sel:BYTE_0 src1_sel:DWORD
	s_mov_b32 s12, 0
	s_and_saveexec_b32 s29, s28
	s_xor_b32 s28, exec_lo, s29
	s_cbranch_execz .LBB6_7778
; %bb.6164:                             ;   in Loop: Header=BB6_5278 Depth=2
	v_cmp_eq_u16_sdwa s40, v28, v44 src0_sel:BYTE_0 src1_sel:DWORD
	s_mov_b32 s12, -1
	s_and_saveexec_b32 s29, s40
; %bb.6165:                             ;   in Loop: Header=BB6_5278 Depth=2
	s_xor_b32 s12, exec_lo, -1
; %bb.6166:                             ;   in Loop: Header=BB6_5278 Depth=2
	s_or_b32 exec_lo, exec_lo, s29
	s_and_b32 s12, s12, exec_lo
	s_or_saveexec_b32 s28, s28
	v_mov_b32_e32 v2, 0x7f800001
	s_xor_b32 exec_lo, exec_lo, s28
	s_cbranch_execnz .LBB6_7779
.LBB6_6167:                             ;   in Loop: Header=BB6_5278 Depth=2
	s_or_b32 exec_lo, exec_lo, s28
	s_and_saveexec_b32 s28, s12
	s_cbranch_execz .LBB6_6169
.LBB6_6168:                             ;   in Loop: Header=BB6_5278 Depth=2
	v_and_b32_e32 v2, 3, v28
	v_bfe_u32 v88, v28, 2, 5
	v_lshlrev_b32_e32 v89, 24, v28
	v_ffbh_u32_e32 v3, v2
	v_cmp_eq_u32_e32 vcc_lo, 0, v88
	v_min_u32_e32 v3, 32, v3
	v_subrev_nc_u32_e32 v42, 29, v3
	v_sub_nc_u32_e32 v3, 30, v3
	v_lshlrev_b32_e32 v42, v42, v28
	v_cndmask_b32_e32 v3, v88, v3, vcc_lo
	v_and_b32_e32 v42, 3, v42
	v_lshl_add_u32 v3, v3, 23, 0x37800000
	v_cndmask_b32_e32 v2, v2, v42, vcc_lo
	v_and_b32_e32 v42, 0x80000000, v89
	v_lshlrev_b32_e32 v2, 21, v2
	v_or3_b32 v2, v42, v3, v2
.LBB6_6169:                             ;   in Loop: Header=BB6_5278 Depth=2
	s_or_b32 exec_lo, exec_lo, s28
	v_max_f32_e32 v2, v2, v2
	v_max_f32_e32 v3, v33, v33
	v_min_f32_e32 v88, v3, v2
.LBB6_6170:                             ;   in Loop: Header=BB6_5278 Depth=2
	v_and_b32_e32 v2, 0x7f800000, v88
	v_mov_b32_e32 v33, 0x80
	s_mov_b32 s28, exec_lo
	v_cmpx_ne_u32_e32 0x7f800000, v2
	s_cbranch_execz .LBB6_6178
; %bb.6171:                             ;   in Loop: Header=BB6_5278 Depth=2
	v_mov_b32_e32 v33, 0
	s_mov_b32 s29, exec_lo
	v_cmpx_ne_u32_e32 0, v88
	s_cbranch_execz .LBB6_6177
; %bb.6172:                             ;   in Loop: Header=BB6_5278 Depth=2
	v_bfe_u32 v2, v88, 23, 8
	v_and_b32_e32 v3, 0x7fffff, v88
	v_sub_nc_u32_e32 v33, 0x70, v2
	v_cmp_gt_u32_e32 vcc_lo, 0x71, v2
	v_or_b32_e32 v42, 0x800000, v3
	v_cndmask_b32_e32 v33, 0, v33, vcc_lo
	v_cmp_eq_u32_e32 vcc_lo, 0, v2
	v_add_nc_u32_e32 v2, 0xffffff91, v2
	v_cndmask_b32_e64 v33, v33, 0x6f, vcc_lo
	v_cndmask_b32_e32 v3, v42, v3, vcc_lo
	v_cndmask_b32_e64 v2, v2, 0xffffff92, vcc_lo
	v_lshl_add_u32 v42, 0x200000, v33, -1
	v_lshrrev_b32_e32 v89, v33, v3
	v_lshlrev_b32_e64 v91, v33, 0x100000
	v_and_b32_e32 v3, v42, v3
	v_bfe_u32 v90, v89, 21, 1
	v_cmp_eq_u32_e64 s12, v3, v91
	v_add_nc_u32_e32 v42, -1, v90
	v_lshrrev_b32_e32 v90, 23, v89
	v_cndmask_b32_e64 v3, 0, v42, s12
	s_mov_b32 s12, exec_lo
	v_add_nc_u32_e32 v42, v3, v89
	v_add_nc_u32_e32 v3, v33, v2
                                        ; implicit-def: $vgpr33
	v_and_b32_e32 v2, 0x1fffff, v42
	v_xor_b32_e32 v42, 1, v90
	v_add_nc_u32_e32 v2, v2, v89
	v_cmpx_ne_u32_e64 v3, v42
	s_xor_b32 s12, exec_lo, s12
; %bb.6173:                             ;   in Loop: Header=BB6_5278 Depth=2
	v_cmp_lt_u32_e32 vcc_lo, 0xffffff, v2
	v_sub_nc_u32_e32 v3, v3, v42
	v_cndmask_b32_e64 v42, 0, 1, vcc_lo
	v_add_co_ci_u32_e64 v33, null, 0, v3, vcc_lo
	v_lshrrev_b32_e32 v2, v42, v2
; %bb.6174:                             ;   in Loop: Header=BB6_5278 Depth=2
	s_andn2_saveexec_b32 s12, s12
; %bb.6175:                             ;   in Loop: Header=BB6_5278 Depth=2
	v_bfe_u32 v33, v2, 23, 1
; %bb.6176:                             ;   in Loop: Header=BB6_5278 Depth=2
	s_or_b32 exec_lo, exec_lo, s12
	v_lshrrev_b32_e32 v2, 21, v2
	v_min_i32_e32 v3, 31, v33
	v_cmp_gt_i32_e32 vcc_lo, 32, v33
	v_and_b32_sdwa v42, v88, v44 dst_sel:DWORD dst_unused:UNUSED_PAD src0_sel:BYTE_3 src1_sel:DWORD
	v_lshlrev_b32_e32 v3, 2, v3
	v_cndmask_b32_e32 v2, 3, v2, vcc_lo
	v_and_b32_e32 v3, 0xfc, v3
	v_and_b32_e32 v88, 3, v2
	v_or_b32_e32 v2, v33, v2
	v_or3_b32 v3, v3, v42, v88
	v_cmp_ne_u32_e32 vcc_lo, 0, v2
	v_cndmask_b32_e32 v33, 0, v3, vcc_lo
.LBB6_6177:                             ;   in Loop: Header=BB6_5278 Depth=2
	s_or_b32 exec_lo, exec_lo, s29
.LBB6_6178:                             ;   in Loop: Header=BB6_5278 Depth=2
	s_or_b32 exec_lo, exec_lo, s28
	v_cmp_gt_i16_sdwa s28, v34, v43 src0_sel:BYTE_1 src1_sel:DWORD
	s_andn2_b32 vcc_lo, exec_lo, s27
	s_mov_b32 s12, -1
                                        ; implicit-def: $vgpr89
	s_cbranch_vccnz .LBB6_6192
; %bb.6179:                             ;   in Loop: Header=BB6_5278 Depth=2
	s_mov_b32 s12, 0
	s_and_saveexec_b32 s29, s28
	s_xor_b32 s28, exec_lo, s29
	s_cbranch_execz .LBB6_7780
; %bb.6180:                             ;   in Loop: Header=BB6_5278 Depth=2
	v_cmp_eq_u16_sdwa s40, v34, v44 src0_sel:BYTE_1 src1_sel:DWORD
	s_mov_b32 s12, -1
	s_and_saveexec_b32 s29, s40
; %bb.6181:                             ;   in Loop: Header=BB6_5278 Depth=2
	s_xor_b32 s12, exec_lo, -1
; %bb.6182:                             ;   in Loop: Header=BB6_5278 Depth=2
	s_or_b32 exec_lo, exec_lo, s29
	s_and_b32 s12, s12, exec_lo
	s_or_saveexec_b32 s28, s28
	v_mov_b32_e32 v88, 0x7f800001
	s_xor_b32 exec_lo, exec_lo, s28
	s_cbranch_execnz .LBB6_7781
.LBB6_6183:                             ;   in Loop: Header=BB6_5278 Depth=2
	s_or_b32 exec_lo, exec_lo, s28
	s_and_saveexec_b32 s28, s12
	s_cbranch_execz .LBB6_6185
.LBB6_6184:                             ;   in Loop: Header=BB6_5278 Depth=2
	v_and_b32_sdwa v2, v45, v34 dst_sel:DWORD dst_unused:UNUSED_PAD src0_sel:DWORD src1_sel:BYTE_1
	v_and_b32_e32 v3, 3, v2
	v_bfe_u32 v89, v2, 2, 5
	v_ffbh_u32_e32 v42, v3
	v_cmp_eq_u32_e32 vcc_lo, 0, v89
	v_min_u32_e32 v42, 32, v42
	v_subrev_nc_u32_e32 v88, 29, v42
	v_sub_nc_u32_e32 v42, 30, v42
	v_lshlrev_b32_e32 v2, v88, v2
	v_lshlrev_b32_e32 v88, 16, v34
	v_cndmask_b32_e32 v42, v89, v42, vcc_lo
	v_and_b32_e32 v2, 3, v2
	v_lshl_add_u32 v42, v42, 23, 0x37800000
	v_cndmask_b32_e32 v2, v3, v2, vcc_lo
	v_and_b32_e32 v3, 0x80000000, v88
	v_lshlrev_b32_e32 v2, 21, v2
	v_or3_b32 v88, v3, v42, v2
.LBB6_6185:                             ;   in Loop: Header=BB6_5278 Depth=2
	s_or_b32 exec_lo, exec_lo, s28
	v_cmp_gt_i16_sdwa s28, v28, v43 src0_sel:BYTE_1 src1_sel:DWORD
	s_mov_b32 s12, 0
	s_and_saveexec_b32 s29, s28
	s_xor_b32 s28, exec_lo, s29
	s_cbranch_execz .LBB6_7782
; %bb.6186:                             ;   in Loop: Header=BB6_5278 Depth=2
	v_cmp_eq_u16_sdwa s40, v28, v44 src0_sel:BYTE_1 src1_sel:DWORD
	s_mov_b32 s12, -1
	s_and_saveexec_b32 s29, s40
; %bb.6187:                             ;   in Loop: Header=BB6_5278 Depth=2
	s_xor_b32 s12, exec_lo, -1
; %bb.6188:                             ;   in Loop: Header=BB6_5278 Depth=2
	s_or_b32 exec_lo, exec_lo, s29
	s_and_b32 s12, s12, exec_lo
	s_or_saveexec_b32 s28, s28
	v_mov_b32_e32 v2, 0x7f800001
	s_xor_b32 exec_lo, exec_lo, s28
	s_cbranch_execnz .LBB6_7783
.LBB6_6189:                             ;   in Loop: Header=BB6_5278 Depth=2
	s_or_b32 exec_lo, exec_lo, s28
	s_and_saveexec_b32 s28, s12
	s_cbranch_execz .LBB6_6191
.LBB6_6190:                             ;   in Loop: Header=BB6_5278 Depth=2
	v_and_b32_sdwa v2, v45, v28 dst_sel:DWORD dst_unused:UNUSED_PAD src0_sel:DWORD src1_sel:BYTE_1
	v_and_b32_e32 v3, 3, v2
	v_bfe_u32 v90, v2, 2, 5
	v_ffbh_u32_e32 v42, v3
	v_cmp_eq_u32_e32 vcc_lo, 0, v90
	v_min_u32_e32 v42, 32, v42
	v_subrev_nc_u32_e32 v89, 29, v42
	v_sub_nc_u32_e32 v42, 30, v42
	v_lshlrev_b32_e32 v2, v89, v2
	v_lshlrev_b32_e32 v89, 16, v28
	v_cndmask_b32_e32 v42, v90, v42, vcc_lo
	v_and_b32_e32 v2, 3, v2
	v_lshl_add_u32 v42, v42, 23, 0x37800000
	v_cndmask_b32_e32 v2, v3, v2, vcc_lo
	v_and_b32_e32 v3, 0x80000000, v89
	v_lshlrev_b32_e32 v2, 21, v2
	v_or3_b32 v2, v3, v42, v2
.LBB6_6191:                             ;   in Loop: Header=BB6_5278 Depth=2
	s_or_b32 exec_lo, exec_lo, s28
	v_max_f32_e32 v2, v2, v2
	v_max_f32_e32 v3, v88, v88
	s_mov_b32 s12, 0
	v_max_f32_e32 v89, v3, v2
.LBB6_6192:                             ;   in Loop: Header=BB6_5278 Depth=2
	s_and_b32 vcc_lo, exec_lo, s12
	s_cbranch_vccz .LBB6_6206
; %bb.6193:                             ;   in Loop: Header=BB6_5278 Depth=2
	v_cmp_gt_i16_sdwa s28, v34, v43 src0_sel:BYTE_1 src1_sel:DWORD
	s_mov_b32 s12, 0
	s_and_saveexec_b32 s29, s28
	s_xor_b32 s28, exec_lo, s29
	s_cbranch_execz .LBB6_7784
; %bb.6194:                             ;   in Loop: Header=BB6_5278 Depth=2
	v_cmp_eq_u16_sdwa s40, v34, v44 src0_sel:BYTE_1 src1_sel:DWORD
	s_mov_b32 s12, -1
	s_and_saveexec_b32 s29, s40
; %bb.6195:                             ;   in Loop: Header=BB6_5278 Depth=2
	s_xor_b32 s12, exec_lo, -1
; %bb.6196:                             ;   in Loop: Header=BB6_5278 Depth=2
	s_or_b32 exec_lo, exec_lo, s29
	s_and_b32 s12, s12, exec_lo
	s_or_saveexec_b32 s28, s28
	v_mov_b32_e32 v88, 0x7f800001
	s_xor_b32 exec_lo, exec_lo, s28
	s_cbranch_execnz .LBB6_7785
.LBB6_6197:                             ;   in Loop: Header=BB6_5278 Depth=2
	s_or_b32 exec_lo, exec_lo, s28
	s_and_saveexec_b32 s28, s12
	s_cbranch_execz .LBB6_6199
.LBB6_6198:                             ;   in Loop: Header=BB6_5278 Depth=2
	v_and_b32_sdwa v2, v45, v34 dst_sel:DWORD dst_unused:UNUSED_PAD src0_sel:DWORD src1_sel:BYTE_1
	v_and_b32_e32 v3, 3, v2
	v_bfe_u32 v89, v2, 2, 5
	v_ffbh_u32_e32 v42, v3
	v_cmp_eq_u32_e32 vcc_lo, 0, v89
	v_min_u32_e32 v42, 32, v42
	v_subrev_nc_u32_e32 v88, 29, v42
	v_sub_nc_u32_e32 v42, 30, v42
	v_lshlrev_b32_e32 v2, v88, v2
	v_lshlrev_b32_e32 v88, 16, v34
	v_cndmask_b32_e32 v42, v89, v42, vcc_lo
	v_and_b32_e32 v2, 3, v2
	v_lshl_add_u32 v42, v42, 23, 0x37800000
	v_cndmask_b32_e32 v2, v3, v2, vcc_lo
	v_and_b32_e32 v3, 0x80000000, v88
	v_lshlrev_b32_e32 v2, 21, v2
	v_or3_b32 v88, v3, v42, v2
.LBB6_6199:                             ;   in Loop: Header=BB6_5278 Depth=2
	s_or_b32 exec_lo, exec_lo, s28
	v_cmp_gt_i16_sdwa s28, v28, v43 src0_sel:BYTE_1 src1_sel:DWORD
	s_mov_b32 s12, 0
	s_and_saveexec_b32 s29, s28
	s_xor_b32 s28, exec_lo, s29
	s_cbranch_execz .LBB6_7786
; %bb.6200:                             ;   in Loop: Header=BB6_5278 Depth=2
	v_cmp_eq_u16_sdwa s40, v28, v44 src0_sel:BYTE_1 src1_sel:DWORD
	s_mov_b32 s12, -1
	s_and_saveexec_b32 s29, s40
; %bb.6201:                             ;   in Loop: Header=BB6_5278 Depth=2
	s_xor_b32 s12, exec_lo, -1
; %bb.6202:                             ;   in Loop: Header=BB6_5278 Depth=2
	s_or_b32 exec_lo, exec_lo, s29
	s_and_b32 s12, s12, exec_lo
	s_or_saveexec_b32 s28, s28
	v_mov_b32_e32 v2, 0x7f800001
	s_xor_b32 exec_lo, exec_lo, s28
	s_cbranch_execnz .LBB6_7787
.LBB6_6203:                             ;   in Loop: Header=BB6_5278 Depth=2
	s_or_b32 exec_lo, exec_lo, s28
	s_and_saveexec_b32 s28, s12
	s_cbranch_execz .LBB6_6205
.LBB6_6204:                             ;   in Loop: Header=BB6_5278 Depth=2
	v_and_b32_sdwa v2, v45, v28 dst_sel:DWORD dst_unused:UNUSED_PAD src0_sel:DWORD src1_sel:BYTE_1
	v_and_b32_e32 v3, 3, v2
	v_bfe_u32 v90, v2, 2, 5
	v_ffbh_u32_e32 v42, v3
	v_cmp_eq_u32_e32 vcc_lo, 0, v90
	v_min_u32_e32 v42, 32, v42
	v_subrev_nc_u32_e32 v89, 29, v42
	v_sub_nc_u32_e32 v42, 30, v42
	v_lshlrev_b32_e32 v2, v89, v2
	v_lshlrev_b32_e32 v89, 16, v28
	v_cndmask_b32_e32 v42, v90, v42, vcc_lo
	v_and_b32_e32 v2, 3, v2
	v_lshl_add_u32 v42, v42, 23, 0x37800000
	v_cndmask_b32_e32 v2, v3, v2, vcc_lo
	v_and_b32_e32 v3, 0x80000000, v89
	v_lshlrev_b32_e32 v2, 21, v2
	v_or3_b32 v2, v3, v42, v2
.LBB6_6205:                             ;   in Loop: Header=BB6_5278 Depth=2
	s_or_b32 exec_lo, exec_lo, s28
	v_max_f32_e32 v2, v2, v2
	v_max_f32_e32 v3, v88, v88
	v_min_f32_e32 v89, v3, v2
.LBB6_6206:                             ;   in Loop: Header=BB6_5278 Depth=2
	v_and_b32_e32 v2, 0x7f800000, v89
	v_mov_b32_e32 v88, 0x8000
	s_mov_b32 s28, exec_lo
	v_cmpx_ne_u32_e32 0x7f800000, v2
	s_cbranch_execz .LBB6_6214
; %bb.6207:                             ;   in Loop: Header=BB6_5278 Depth=2
	v_mov_b32_e32 v88, 0
	s_mov_b32 s29, exec_lo
	v_cmpx_ne_u32_e32 0, v89
	s_cbranch_execz .LBB6_6213
; %bb.6208:                             ;   in Loop: Header=BB6_5278 Depth=2
	v_bfe_u32 v2, v89, 23, 8
	v_and_b32_e32 v3, 0x7fffff, v89
	v_sub_nc_u32_e32 v42, 0x70, v2
	v_cmp_gt_u32_e32 vcc_lo, 0x71, v2
	v_or_b32_e32 v88, 0x800000, v3
	v_cndmask_b32_e32 v42, 0, v42, vcc_lo
	v_cmp_eq_u32_e32 vcc_lo, 0, v2
	v_add_nc_u32_e32 v2, 0xffffff91, v2
	v_cndmask_b32_e64 v42, v42, 0x6f, vcc_lo
	v_cndmask_b32_e32 v3, v88, v3, vcc_lo
	v_cndmask_b32_e64 v2, v2, 0xffffff92, vcc_lo
	v_lshl_add_u32 v90, 0x200000, v42, -1
	v_lshrrev_b32_e32 v88, v42, v3
	v_lshlrev_b32_e64 v92, v42, 0x100000
	v_and_b32_e32 v3, v90, v3
	v_bfe_u32 v91, v88, 21, 1
	v_cmp_eq_u32_e64 s12, v3, v92
	v_add_nc_u32_e32 v90, -1, v91
	v_lshrrev_b32_e32 v91, 23, v88
	v_cndmask_b32_e64 v3, 0, v90, s12
	s_mov_b32 s12, exec_lo
	v_add_nc_u32_e32 v90, v3, v88
	v_add_nc_u32_e32 v3, v42, v2
	v_xor_b32_e32 v42, 1, v91
	v_and_b32_e32 v2, 0x1fffff, v90
	v_add_nc_u32_e32 v2, v2, v88
                                        ; implicit-def: $vgpr88
	v_cmpx_ne_u32_e64 v3, v42
	s_xor_b32 s12, exec_lo, s12
; %bb.6209:                             ;   in Loop: Header=BB6_5278 Depth=2
	v_cmp_lt_u32_e32 vcc_lo, 0xffffff, v2
	v_sub_nc_u32_e32 v3, v3, v42
	v_cndmask_b32_e64 v42, 0, 1, vcc_lo
	v_add_co_ci_u32_e64 v88, null, 0, v3, vcc_lo
	v_lshrrev_b32_e32 v2, v42, v2
; %bb.6210:                             ;   in Loop: Header=BB6_5278 Depth=2
	s_andn2_saveexec_b32 s12, s12
; %bb.6211:                             ;   in Loop: Header=BB6_5278 Depth=2
	v_bfe_u32 v88, v2, 23, 1
; %bb.6212:                             ;   in Loop: Header=BB6_5278 Depth=2
	s_or_b32 exec_lo, exec_lo, s12
	v_lshrrev_b32_e32 v2, 21, v2
	v_min_i32_e32 v3, 31, v88
	v_cmp_gt_i32_e32 vcc_lo, 32, v88
	v_and_b32_sdwa v42, v89, v44 dst_sel:DWORD dst_unused:UNUSED_PAD src0_sel:BYTE_3 src1_sel:DWORD
	v_lshlrev_b32_e32 v3, 2, v3
	v_cndmask_b32_e32 v2, 3, v2, vcc_lo
	v_and_b32_e32 v3, 0xfc, v3
	v_and_b32_e32 v89, 3, v2
	v_or_b32_e32 v2, v88, v2
	v_or3_b32 v3, v42, v3, v89
	v_cmp_ne_u32_e32 vcc_lo, 0, v2
	v_lshlrev_b32_e32 v3, 8, v3
	v_cndmask_b32_e32 v88, 0, v3, vcc_lo
.LBB6_6213:                             ;   in Loop: Header=BB6_5278 Depth=2
	s_or_b32 exec_lo, exec_lo, s29
.LBB6_6214:                             ;   in Loop: Header=BB6_5278 Depth=2
	s_or_b32 exec_lo, exec_lo, s28
	v_and_b32_sdwa v89, v34, v46 dst_sel:DWORD dst_unused:UNUSED_PAD src0_sel:WORD_1 src1_sel:DWORD
	s_andn2_b32 vcc_lo, exec_lo, s27
	s_mov_b32 s28, -1
                                        ; implicit-def: $vgpr90
	v_cmp_lt_i16_e64 s12, 0x7f, v89
	s_cbranch_vccnz .LBB6_6228
; %bb.6215:                             ;   in Loop: Header=BB6_5278 Depth=2
	s_mov_b32 s28, 0
	s_and_saveexec_b32 s29, s12
	s_xor_b32 s12, exec_lo, s29
	s_cbranch_execz .LBB6_7788
; %bb.6216:                             ;   in Loop: Header=BB6_5278 Depth=2
	s_mov_b32 s28, -1
	s_mov_b32 s29, exec_lo
	v_cmpx_eq_u16_e32 0x80, v89
; %bb.6217:                             ;   in Loop: Header=BB6_5278 Depth=2
	s_xor_b32 s28, exec_lo, -1
; %bb.6218:                             ;   in Loop: Header=BB6_5278 Depth=2
	s_or_b32 exec_lo, exec_lo, s29
	s_and_b32 s28, s28, exec_lo
	s_or_saveexec_b32 s12, s12
	v_mov_b32_e32 v90, 0x7f800001
	s_xor_b32 exec_lo, exec_lo, s12
	s_cbranch_execnz .LBB6_7789
.LBB6_6219:                             ;   in Loop: Header=BB6_5278 Depth=2
	s_or_b32 exec_lo, exec_lo, s12
	s_and_saveexec_b32 s12, s28
	s_cbranch_execz .LBB6_6221
.LBB6_6220:                             ;   in Loop: Header=BB6_5278 Depth=2
	v_bfe_u32 v2, v34, 16, 2
	v_bfe_u32 v90, v34, 18, 5
	v_lshlrev_b32_sdwa v91, v47, v34 dst_sel:DWORD dst_unused:UNUSED_PAD src0_sel:DWORD src1_sel:WORD_1
	v_ffbh_u32_e32 v3, v2
	v_cmp_eq_u32_e32 vcc_lo, 0, v90
	v_min_u32_e32 v3, 32, v3
	v_subrev_nc_u32_e32 v42, 29, v3
	v_sub_nc_u32_e32 v3, 30, v3
	v_lshlrev_b32_sdwa v42, v42, v34 dst_sel:DWORD dst_unused:UNUSED_PAD src0_sel:DWORD src1_sel:WORD_1
	v_cndmask_b32_e32 v3, v90, v3, vcc_lo
	v_and_b32_e32 v42, 3, v42
	v_lshl_add_u32 v3, v3, 23, 0x37800000
	v_cndmask_b32_e32 v2, v2, v42, vcc_lo
	v_and_b32_e32 v42, 0x80000000, v91
	v_lshlrev_b32_e32 v2, 21, v2
	v_or3_b32 v90, v42, v3, v2
.LBB6_6221:                             ;   in Loop: Header=BB6_5278 Depth=2
	s_or_b32 exec_lo, exec_lo, s12
	v_and_b32_sdwa v3, v28, v46 dst_sel:DWORD dst_unused:UNUSED_PAD src0_sel:WORD_1 src1_sel:DWORD
	s_mov_b32 s12, 0
	s_mov_b32 s28, exec_lo
	v_cmpx_lt_i16_e32 0x7f, v3
	s_xor_b32 s28, exec_lo, s28
	s_cbranch_execz .LBB6_7790
; %bb.6222:                             ;   in Loop: Header=BB6_5278 Depth=2
	s_mov_b32 s12, -1
	s_mov_b32 s29, exec_lo
	v_cmpx_eq_u16_e32 0x80, v3
; %bb.6223:                             ;   in Loop: Header=BB6_5278 Depth=2
	s_xor_b32 s12, exec_lo, -1
; %bb.6224:                             ;   in Loop: Header=BB6_5278 Depth=2
	s_or_b32 exec_lo, exec_lo, s29
	s_and_b32 s12, s12, exec_lo
                                        ; implicit-def: $vgpr3
	s_or_saveexec_b32 s28, s28
	v_mov_b32_e32 v2, 0x7f800001
	s_xor_b32 exec_lo, exec_lo, s28
	s_cbranch_execnz .LBB6_7791
.LBB6_6225:                             ;   in Loop: Header=BB6_5278 Depth=2
	s_or_b32 exec_lo, exec_lo, s28
	s_and_saveexec_b32 s28, s12
	s_cbranch_execz .LBB6_6227
.LBB6_6226:                             ;   in Loop: Header=BB6_5278 Depth=2
	v_bfe_u32 v2, v28, 16, 2
	v_bfe_u32 v91, v28, 18, 5
	v_lshlrev_b32_sdwa v92, v47, v28 dst_sel:DWORD dst_unused:UNUSED_PAD src0_sel:DWORD src1_sel:WORD_1
	v_ffbh_u32_e32 v3, v2
	v_cmp_eq_u32_e32 vcc_lo, 0, v91
	v_min_u32_e32 v3, 32, v3
	v_subrev_nc_u32_e32 v42, 29, v3
	v_sub_nc_u32_e32 v3, 30, v3
	v_lshlrev_b32_sdwa v42, v42, v28 dst_sel:DWORD dst_unused:UNUSED_PAD src0_sel:DWORD src1_sel:WORD_1
	v_cndmask_b32_e32 v3, v91, v3, vcc_lo
	v_and_b32_e32 v42, 3, v42
	v_lshl_add_u32 v3, v3, 23, 0x37800000
	v_cndmask_b32_e32 v2, v2, v42, vcc_lo
	v_and_b32_e32 v42, 0x80000000, v92
	v_lshlrev_b32_e32 v2, 21, v2
	v_or3_b32 v2, v42, v3, v2
.LBB6_6227:                             ;   in Loop: Header=BB6_5278 Depth=2
	s_or_b32 exec_lo, exec_lo, s28
	v_max_f32_e32 v2, v2, v2
	v_max_f32_e32 v3, v90, v90
	s_mov_b32 s28, 0
	v_max_f32_e32 v90, v3, v2
.LBB6_6228:                             ;   in Loop: Header=BB6_5278 Depth=2
	s_and_b32 vcc_lo, exec_lo, s28
	s_cbranch_vccz .LBB6_6242
; %bb.6229:                             ;   in Loop: Header=BB6_5278 Depth=2
	s_mov_b32 s12, 0
	s_mov_b32 s28, exec_lo
	v_cmpx_lt_i16_e32 0x7f, v89
	s_xor_b32 s28, exec_lo, s28
	s_cbranch_execz .LBB6_7792
; %bb.6230:                             ;   in Loop: Header=BB6_5278 Depth=2
	s_mov_b32 s12, -1
	s_mov_b32 s29, exec_lo
	v_cmpx_eq_u16_e32 0x80, v89
; %bb.6231:                             ;   in Loop: Header=BB6_5278 Depth=2
	s_xor_b32 s12, exec_lo, -1
; %bb.6232:                             ;   in Loop: Header=BB6_5278 Depth=2
	s_or_b32 exec_lo, exec_lo, s29
	s_and_b32 s12, s12, exec_lo
                                        ; implicit-def: $vgpr89
	s_or_saveexec_b32 s28, s28
	v_mov_b32_e32 v90, 0x7f800001
	s_xor_b32 exec_lo, exec_lo, s28
	s_cbranch_execnz .LBB6_7793
.LBB6_6233:                             ;   in Loop: Header=BB6_5278 Depth=2
	s_or_b32 exec_lo, exec_lo, s28
	s_and_saveexec_b32 s28, s12
	s_cbranch_execz .LBB6_6235
.LBB6_6234:                             ;   in Loop: Header=BB6_5278 Depth=2
	v_bfe_u32 v2, v34, 16, 2
	v_bfe_u32 v89, v34, 18, 5
	v_lshlrev_b32_sdwa v90, v47, v34 dst_sel:DWORD dst_unused:UNUSED_PAD src0_sel:DWORD src1_sel:WORD_1
	v_ffbh_u32_e32 v3, v2
	v_cmp_eq_u32_e32 vcc_lo, 0, v89
	v_min_u32_e32 v3, 32, v3
	v_subrev_nc_u32_e32 v42, 29, v3
	v_sub_nc_u32_e32 v3, 30, v3
	v_lshlrev_b32_sdwa v42, v42, v34 dst_sel:DWORD dst_unused:UNUSED_PAD src0_sel:DWORD src1_sel:WORD_1
	v_cndmask_b32_e32 v3, v89, v3, vcc_lo
	v_and_b32_e32 v42, 3, v42
	v_lshl_add_u32 v3, v3, 23, 0x37800000
	v_cndmask_b32_e32 v2, v2, v42, vcc_lo
	v_and_b32_e32 v42, 0x80000000, v90
	v_lshlrev_b32_e32 v2, 21, v2
	v_or3_b32 v90, v42, v3, v2
.LBB6_6235:                             ;   in Loop: Header=BB6_5278 Depth=2
	s_or_b32 exec_lo, exec_lo, s28
	v_and_b32_sdwa v3, v28, v46 dst_sel:DWORD dst_unused:UNUSED_PAD src0_sel:WORD_1 src1_sel:DWORD
	s_mov_b32 s12, 0
	s_mov_b32 s28, exec_lo
	v_cmpx_lt_i16_e32 0x7f, v3
	s_xor_b32 s28, exec_lo, s28
	s_cbranch_execz .LBB6_7794
; %bb.6236:                             ;   in Loop: Header=BB6_5278 Depth=2
	s_mov_b32 s12, -1
	s_mov_b32 s29, exec_lo
	v_cmpx_eq_u16_e32 0x80, v3
; %bb.6237:                             ;   in Loop: Header=BB6_5278 Depth=2
	s_xor_b32 s12, exec_lo, -1
; %bb.6238:                             ;   in Loop: Header=BB6_5278 Depth=2
	s_or_b32 exec_lo, exec_lo, s29
	s_and_b32 s12, s12, exec_lo
                                        ; implicit-def: $vgpr3
	s_or_saveexec_b32 s28, s28
	v_mov_b32_e32 v2, 0x7f800001
	s_xor_b32 exec_lo, exec_lo, s28
	s_cbranch_execnz .LBB6_7795
.LBB6_6239:                             ;   in Loop: Header=BB6_5278 Depth=2
	s_or_b32 exec_lo, exec_lo, s28
	s_and_saveexec_b32 s28, s12
	s_cbranch_execz .LBB6_6241
.LBB6_6240:                             ;   in Loop: Header=BB6_5278 Depth=2
	v_bfe_u32 v2, v28, 16, 2
	v_bfe_u32 v89, v28, 18, 5
	v_lshlrev_b32_sdwa v91, v47, v28 dst_sel:DWORD dst_unused:UNUSED_PAD src0_sel:DWORD src1_sel:WORD_1
	v_ffbh_u32_e32 v3, v2
	v_cmp_eq_u32_e32 vcc_lo, 0, v89
	v_min_u32_e32 v3, 32, v3
	v_subrev_nc_u32_e32 v42, 29, v3
	v_sub_nc_u32_e32 v3, 30, v3
	v_lshlrev_b32_sdwa v42, v42, v28 dst_sel:DWORD dst_unused:UNUSED_PAD src0_sel:DWORD src1_sel:WORD_1
	v_cndmask_b32_e32 v3, v89, v3, vcc_lo
	v_and_b32_e32 v42, 3, v42
	v_lshl_add_u32 v3, v3, 23, 0x37800000
	v_cndmask_b32_e32 v2, v2, v42, vcc_lo
	v_and_b32_e32 v42, 0x80000000, v91
	v_lshlrev_b32_e32 v2, 21, v2
	v_or3_b32 v2, v42, v3, v2
.LBB6_6241:                             ;   in Loop: Header=BB6_5278 Depth=2
	s_or_b32 exec_lo, exec_lo, s28
	v_max_f32_e32 v2, v2, v2
	v_max_f32_e32 v3, v90, v90
	v_min_f32_e32 v90, v3, v2
.LBB6_6242:                             ;   in Loop: Header=BB6_5278 Depth=2
	v_and_b32_e32 v2, 0x7f800000, v90
	v_mov_b32_e32 v89, 0x80
	s_mov_b32 s28, exec_lo
	v_cmpx_ne_u32_e32 0x7f800000, v2
	s_cbranch_execz .LBB6_6250
; %bb.6243:                             ;   in Loop: Header=BB6_5278 Depth=2
	v_mov_b32_e32 v89, 0
	s_mov_b32 s29, exec_lo
	v_cmpx_ne_u32_e32 0, v90
	s_cbranch_execz .LBB6_6249
; %bb.6244:                             ;   in Loop: Header=BB6_5278 Depth=2
	v_bfe_u32 v2, v90, 23, 8
	v_and_b32_e32 v3, 0x7fffff, v90
	v_sub_nc_u32_e32 v42, 0x70, v2
	v_cmp_gt_u32_e32 vcc_lo, 0x71, v2
	v_or_b32_e32 v89, 0x800000, v3
	v_cndmask_b32_e32 v42, 0, v42, vcc_lo
	v_cmp_eq_u32_e32 vcc_lo, 0, v2
	v_add_nc_u32_e32 v2, 0xffffff91, v2
	v_cndmask_b32_e64 v42, v42, 0x6f, vcc_lo
	v_cndmask_b32_e32 v3, v89, v3, vcc_lo
	v_cndmask_b32_e64 v2, v2, 0xffffff92, vcc_lo
	v_lshl_add_u32 v91, 0x200000, v42, -1
	v_lshrrev_b32_e32 v89, v42, v3
	v_lshlrev_b32_e64 v93, v42, 0x100000
	v_and_b32_e32 v3, v91, v3
	v_bfe_u32 v92, v89, 21, 1
	v_cmp_eq_u32_e64 s12, v3, v93
	v_add_nc_u32_e32 v91, -1, v92
	v_lshrrev_b32_e32 v92, 23, v89
	v_cndmask_b32_e64 v3, 0, v91, s12
	s_mov_b32 s12, exec_lo
	v_add_nc_u32_e32 v91, v3, v89
	v_add_nc_u32_e32 v3, v42, v2
	v_xor_b32_e32 v42, 1, v92
	v_and_b32_e32 v2, 0x1fffff, v91
	v_add_nc_u32_e32 v2, v2, v89
                                        ; implicit-def: $vgpr89
	v_cmpx_ne_u32_e64 v3, v42
	s_xor_b32 s12, exec_lo, s12
; %bb.6245:                             ;   in Loop: Header=BB6_5278 Depth=2
	v_cmp_lt_u32_e32 vcc_lo, 0xffffff, v2
	v_sub_nc_u32_e32 v3, v3, v42
	v_cndmask_b32_e64 v42, 0, 1, vcc_lo
	v_add_co_ci_u32_e64 v89, null, 0, v3, vcc_lo
	v_lshrrev_b32_e32 v2, v42, v2
; %bb.6246:                             ;   in Loop: Header=BB6_5278 Depth=2
	s_andn2_saveexec_b32 s12, s12
; %bb.6247:                             ;   in Loop: Header=BB6_5278 Depth=2
	v_bfe_u32 v89, v2, 23, 1
; %bb.6248:                             ;   in Loop: Header=BB6_5278 Depth=2
	s_or_b32 exec_lo, exec_lo, s12
	v_lshrrev_b32_e32 v2, 21, v2
	v_min_i32_e32 v3, 31, v89
	v_cmp_gt_i32_e32 vcc_lo, 32, v89
	v_and_b32_sdwa v42, v90, v44 dst_sel:DWORD dst_unused:UNUSED_PAD src0_sel:BYTE_3 src1_sel:DWORD
	v_lshlrev_b32_e32 v3, 2, v3
	v_cndmask_b32_e32 v2, 3, v2, vcc_lo
	v_and_b32_e32 v3, 0xfc, v3
	v_and_b32_e32 v90, 3, v2
	v_or_b32_e32 v2, v89, v2
	v_or3_b32 v3, v3, v42, v90
	v_cmp_ne_u32_e32 vcc_lo, 0, v2
	v_cndmask_b32_e32 v89, 0, v3, vcc_lo
.LBB6_6249:                             ;   in Loop: Header=BB6_5278 Depth=2
	s_or_b32 exec_lo, exec_lo, s29
.LBB6_6250:                             ;   in Loop: Header=BB6_5278 Depth=2
	s_or_b32 exec_lo, exec_lo, s28
	v_cmp_gt_i16_sdwa s28, v34, v43 src0_sel:BYTE_3 src1_sel:DWORD
	s_andn2_b32 vcc_lo, exec_lo, s27
	s_mov_b32 s12, -1
                                        ; implicit-def: $vgpr90
	s_cbranch_vccnz .LBB6_6264
; %bb.6251:                             ;   in Loop: Header=BB6_5278 Depth=2
	s_mov_b32 s12, 0
	s_and_saveexec_b32 s29, s28
	s_xor_b32 s28, exec_lo, s29
	s_cbranch_execz .LBB6_7796
; %bb.6252:                             ;   in Loop: Header=BB6_5278 Depth=2
	v_cmp_eq_u16_sdwa s40, v34, v44 src0_sel:BYTE_3 src1_sel:DWORD
	s_mov_b32 s12, -1
	s_and_saveexec_b32 s29, s40
; %bb.6253:                             ;   in Loop: Header=BB6_5278 Depth=2
	s_xor_b32 s12, exec_lo, -1
; %bb.6254:                             ;   in Loop: Header=BB6_5278 Depth=2
	s_or_b32 exec_lo, exec_lo, s29
	s_and_b32 s12, s12, exec_lo
	s_or_saveexec_b32 s28, s28
	v_mov_b32_e32 v90, 0x7f800001
	s_xor_b32 exec_lo, exec_lo, s28
	s_cbranch_execnz .LBB6_7797
.LBB6_6255:                             ;   in Loop: Header=BB6_5278 Depth=2
	s_or_b32 exec_lo, exec_lo, s28
	s_and_saveexec_b32 s28, s12
	s_cbranch_execz .LBB6_6257
.LBB6_6256:                             ;   in Loop: Header=BB6_5278 Depth=2
	v_bfe_u32 v2, v34, 24, 2
	v_bfe_u32 v90, v34, 26, 5
	v_ffbh_u32_e32 v3, v2
	v_cmp_eq_u32_e32 vcc_lo, 0, v90
	v_min_u32_e32 v3, 32, v3
	v_subrev_nc_u32_e32 v42, 29, v3
	v_sub_nc_u32_e32 v3, 30, v3
	v_lshlrev_b32_sdwa v42, v42, v34 dst_sel:DWORD dst_unused:UNUSED_PAD src0_sel:DWORD src1_sel:BYTE_3
	v_cndmask_b32_e32 v3, v90, v3, vcc_lo
	v_and_b32_e32 v42, 3, v42
	v_lshl_add_u32 v3, v3, 23, 0x37800000
	v_cndmask_b32_e32 v2, v2, v42, vcc_lo
	v_and_b32_e32 v42, 0x80000000, v34
	v_lshlrev_b32_e32 v2, 21, v2
	v_or3_b32 v90, v42, v3, v2
.LBB6_6257:                             ;   in Loop: Header=BB6_5278 Depth=2
	s_or_b32 exec_lo, exec_lo, s28
	v_cmp_gt_i16_sdwa s28, v28, v43 src0_sel:BYTE_3 src1_sel:DWORD
	s_mov_b32 s12, 0
	s_and_saveexec_b32 s29, s28
	s_xor_b32 s28, exec_lo, s29
	s_cbranch_execz .LBB6_7798
; %bb.6258:                             ;   in Loop: Header=BB6_5278 Depth=2
	v_cmp_eq_u16_sdwa s40, v28, v44 src0_sel:BYTE_3 src1_sel:DWORD
	s_mov_b32 s12, -1
	s_and_saveexec_b32 s29, s40
; %bb.6259:                             ;   in Loop: Header=BB6_5278 Depth=2
	s_xor_b32 s12, exec_lo, -1
; %bb.6260:                             ;   in Loop: Header=BB6_5278 Depth=2
	s_or_b32 exec_lo, exec_lo, s29
	s_and_b32 s12, s12, exec_lo
	s_or_saveexec_b32 s28, s28
	v_mov_b32_e32 v2, 0x7f800001
	s_xor_b32 exec_lo, exec_lo, s28
	s_cbranch_execnz .LBB6_7799
.LBB6_6261:                             ;   in Loop: Header=BB6_5278 Depth=2
	s_or_b32 exec_lo, exec_lo, s28
	s_and_saveexec_b32 s28, s12
	s_cbranch_execz .LBB6_6263
.LBB6_6262:                             ;   in Loop: Header=BB6_5278 Depth=2
	v_bfe_u32 v2, v28, 24, 2
	v_bfe_u32 v91, v28, 26, 5
	v_ffbh_u32_e32 v3, v2
	v_cmp_eq_u32_e32 vcc_lo, 0, v91
	v_min_u32_e32 v3, 32, v3
	v_subrev_nc_u32_e32 v42, 29, v3
	v_sub_nc_u32_e32 v3, 30, v3
	v_lshlrev_b32_sdwa v42, v42, v28 dst_sel:DWORD dst_unused:UNUSED_PAD src0_sel:DWORD src1_sel:BYTE_3
	v_cndmask_b32_e32 v3, v91, v3, vcc_lo
	v_and_b32_e32 v42, 3, v42
	v_lshl_add_u32 v3, v3, 23, 0x37800000
	v_cndmask_b32_e32 v2, v2, v42, vcc_lo
	v_and_b32_e32 v42, 0x80000000, v28
	v_lshlrev_b32_e32 v2, 21, v2
	v_or3_b32 v2, v42, v3, v2
.LBB6_6263:                             ;   in Loop: Header=BB6_5278 Depth=2
	s_or_b32 exec_lo, exec_lo, s28
	v_max_f32_e32 v2, v2, v2
	v_max_f32_e32 v3, v90, v90
	s_mov_b32 s12, 0
	v_max_f32_e32 v90, v3, v2
.LBB6_6264:                             ;   in Loop: Header=BB6_5278 Depth=2
	s_and_b32 vcc_lo, exec_lo, s12
	s_cbranch_vccz .LBB6_6278
; %bb.6265:                             ;   in Loop: Header=BB6_5278 Depth=2
	v_cmp_gt_i16_sdwa s28, v34, v43 src0_sel:BYTE_3 src1_sel:DWORD
	s_mov_b32 s12, 0
	s_and_saveexec_b32 s29, s28
	s_xor_b32 s28, exec_lo, s29
	s_cbranch_execz .LBB6_7800
; %bb.6266:                             ;   in Loop: Header=BB6_5278 Depth=2
	v_cmp_eq_u16_sdwa s40, v34, v44 src0_sel:BYTE_3 src1_sel:DWORD
	s_mov_b32 s12, -1
	s_and_saveexec_b32 s29, s40
; %bb.6267:                             ;   in Loop: Header=BB6_5278 Depth=2
	s_xor_b32 s12, exec_lo, -1
; %bb.6268:                             ;   in Loop: Header=BB6_5278 Depth=2
	s_or_b32 exec_lo, exec_lo, s29
	s_and_b32 s12, s12, exec_lo
	s_or_saveexec_b32 s28, s28
	v_mov_b32_e32 v90, 0x7f800001
	s_xor_b32 exec_lo, exec_lo, s28
	s_cbranch_execnz .LBB6_7801
.LBB6_6269:                             ;   in Loop: Header=BB6_5278 Depth=2
	s_or_b32 exec_lo, exec_lo, s28
	s_and_saveexec_b32 s28, s12
	s_cbranch_execz .LBB6_6271
.LBB6_6270:                             ;   in Loop: Header=BB6_5278 Depth=2
	v_bfe_u32 v2, v34, 24, 2
	v_bfe_u32 v90, v34, 26, 5
	v_ffbh_u32_e32 v3, v2
	v_cmp_eq_u32_e32 vcc_lo, 0, v90
	v_min_u32_e32 v3, 32, v3
	v_subrev_nc_u32_e32 v42, 29, v3
	v_sub_nc_u32_e32 v3, 30, v3
	v_lshlrev_b32_sdwa v42, v42, v34 dst_sel:DWORD dst_unused:UNUSED_PAD src0_sel:DWORD src1_sel:BYTE_3
	v_cndmask_b32_e32 v3, v90, v3, vcc_lo
	v_and_b32_e32 v34, 0x80000000, v34
	v_and_b32_e32 v42, 3, v42
	v_lshl_add_u32 v3, v3, 23, 0x37800000
	v_cndmask_b32_e32 v2, v2, v42, vcc_lo
	v_lshlrev_b32_e32 v2, 21, v2
	v_or3_b32 v90, v34, v3, v2
.LBB6_6271:                             ;   in Loop: Header=BB6_5278 Depth=2
	s_or_b32 exec_lo, exec_lo, s28
	v_cmp_gt_i16_sdwa s28, v28, v43 src0_sel:BYTE_3 src1_sel:DWORD
	s_mov_b32 s12, 0
	s_and_saveexec_b32 s29, s28
	s_xor_b32 s28, exec_lo, s29
	s_cbranch_execz .LBB6_7802
; %bb.6272:                             ;   in Loop: Header=BB6_5278 Depth=2
	v_cmp_eq_u16_sdwa s40, v28, v44 src0_sel:BYTE_3 src1_sel:DWORD
	s_mov_b32 s12, -1
	s_and_saveexec_b32 s29, s40
; %bb.6273:                             ;   in Loop: Header=BB6_5278 Depth=2
	s_xor_b32 s12, exec_lo, -1
; %bb.6274:                             ;   in Loop: Header=BB6_5278 Depth=2
	s_or_b32 exec_lo, exec_lo, s29
	s_and_b32 s12, s12, exec_lo
	s_or_saveexec_b32 s28, s28
	v_mov_b32_e32 v2, 0x7f800001
	s_xor_b32 exec_lo, exec_lo, s28
	s_cbranch_execnz .LBB6_7803
.LBB6_6275:                             ;   in Loop: Header=BB6_5278 Depth=2
	s_or_b32 exec_lo, exec_lo, s28
	s_and_saveexec_b32 s28, s12
	s_cbranch_execz .LBB6_6277
.LBB6_6276:                             ;   in Loop: Header=BB6_5278 Depth=2
	v_bfe_u32 v2, v28, 24, 2
	v_bfe_u32 v42, v28, 26, 5
	v_ffbh_u32_e32 v3, v2
	v_cmp_eq_u32_e32 vcc_lo, 0, v42
	v_min_u32_e32 v3, 32, v3
	v_subrev_nc_u32_e32 v34, 29, v3
	v_sub_nc_u32_e32 v3, 30, v3
	v_lshlrev_b32_sdwa v34, v34, v28 dst_sel:DWORD dst_unused:UNUSED_PAD src0_sel:DWORD src1_sel:BYTE_3
	v_cndmask_b32_e32 v3, v42, v3, vcc_lo
	v_and_b32_e32 v28, 0x80000000, v28
	v_and_b32_e32 v34, 3, v34
	v_lshl_add_u32 v3, v3, 23, 0x37800000
	v_cndmask_b32_e32 v2, v2, v34, vcc_lo
	v_lshlrev_b32_e32 v2, 21, v2
	v_or3_b32 v2, v28, v3, v2
.LBB6_6277:                             ;   in Loop: Header=BB6_5278 Depth=2
	s_or_b32 exec_lo, exec_lo, s28
	v_max_f32_e32 v2, v2, v2
	v_max_f32_e32 v3, v90, v90
	v_min_f32_e32 v90, v3, v2
.LBB6_6278:                             ;   in Loop: Header=BB6_5278 Depth=2
	v_and_b32_e32 v2, 0x7f800000, v90
	v_mov_b32_e32 v28, 0x8000
	s_mov_b32 s28, exec_lo
	v_cmpx_ne_u32_e32 0x7f800000, v2
	s_cbranch_execz .LBB6_6286
; %bb.6279:                             ;   in Loop: Header=BB6_5278 Depth=2
	v_mov_b32_e32 v28, 0
	s_mov_b32 s29, exec_lo
	v_cmpx_ne_u32_e32 0, v90
	s_cbranch_execz .LBB6_6285
; %bb.6280:                             ;   in Loop: Header=BB6_5278 Depth=2
	v_bfe_u32 v2, v90, 23, 8
	v_and_b32_e32 v3, 0x7fffff, v90
	v_sub_nc_u32_e32 v28, 0x70, v2
	v_cmp_gt_u32_e32 vcc_lo, 0x71, v2
	v_or_b32_e32 v34, 0x800000, v3
	v_cndmask_b32_e32 v28, 0, v28, vcc_lo
	v_cmp_eq_u32_e32 vcc_lo, 0, v2
	v_add_nc_u32_e32 v2, 0xffffff91, v2
	v_cndmask_b32_e64 v28, v28, 0x6f, vcc_lo
	v_cndmask_b32_e32 v3, v34, v3, vcc_lo
	v_cndmask_b32_e64 v2, v2, 0xffffff92, vcc_lo
	v_lshl_add_u32 v34, 0x200000, v28, -1
	v_lshrrev_b32_e32 v42, v28, v3
	v_lshlrev_b32_e64 v92, v28, 0x100000
	v_and_b32_e32 v3, v34, v3
	v_bfe_u32 v91, v42, 21, 1
	v_cmp_eq_u32_e64 s12, v3, v92
	v_add_nc_u32_e32 v34, -1, v91
	v_lshrrev_b32_e32 v91, 23, v42
	v_cndmask_b32_e64 v3, 0, v34, s12
	s_mov_b32 s12, exec_lo
	v_add_nc_u32_e32 v34, v3, v42
	v_add_nc_u32_e32 v3, v28, v2
                                        ; implicit-def: $vgpr28
	v_and_b32_e32 v2, 0x1fffff, v34
	v_xor_b32_e32 v34, 1, v91
	v_add_nc_u32_e32 v2, v2, v42
	v_cmpx_ne_u32_e64 v3, v34
	s_xor_b32 s12, exec_lo, s12
; %bb.6281:                             ;   in Loop: Header=BB6_5278 Depth=2
	v_cmp_lt_u32_e32 vcc_lo, 0xffffff, v2
	v_sub_nc_u32_e32 v3, v3, v34
	v_cndmask_b32_e64 v34, 0, 1, vcc_lo
	v_add_co_ci_u32_e64 v28, null, 0, v3, vcc_lo
	v_lshrrev_b32_e32 v2, v34, v2
; %bb.6282:                             ;   in Loop: Header=BB6_5278 Depth=2
	s_andn2_saveexec_b32 s12, s12
; %bb.6283:                             ;   in Loop: Header=BB6_5278 Depth=2
	v_bfe_u32 v28, v2, 23, 1
; %bb.6284:                             ;   in Loop: Header=BB6_5278 Depth=2
	s_or_b32 exec_lo, exec_lo, s12
	v_lshrrev_b32_e32 v2, 21, v2
	v_min_i32_e32 v3, 31, v28
	v_cmp_gt_i32_e32 vcc_lo, 32, v28
	v_and_b32_sdwa v34, v90, v44 dst_sel:DWORD dst_unused:UNUSED_PAD src0_sel:BYTE_3 src1_sel:DWORD
	v_lshlrev_b32_e32 v3, 2, v3
	v_cndmask_b32_e32 v2, 3, v2, vcc_lo
	v_and_b32_e32 v3, 0xfc, v3
	v_and_b32_e32 v42, 3, v2
	v_or_b32_e32 v2, v28, v2
	v_or3_b32 v3, v34, v3, v42
	v_cmp_ne_u32_e32 vcc_lo, 0, v2
	v_lshlrev_b32_e32 v3, 8, v3
	v_cndmask_b32_e32 v28, 0, v3, vcc_lo
.LBB6_6285:                             ;   in Loop: Header=BB6_5278 Depth=2
	s_or_b32 exec_lo, exec_lo, s29
.LBB6_6286:                             ;   in Loop: Header=BB6_5278 Depth=2
	s_or_b32 exec_lo, exec_lo, s28
	v_cmp_gt_i16_sdwa s28, v35, v43 src0_sel:BYTE_0 src1_sel:DWORD
	s_andn2_b32 vcc_lo, exec_lo, s27
	s_mov_b32 s12, -1
                                        ; implicit-def: $vgpr90
	s_cbranch_vccnz .LBB6_6300
; %bb.6287:                             ;   in Loop: Header=BB6_5278 Depth=2
	s_mov_b32 s12, 0
	s_and_saveexec_b32 s29, s28
	s_xor_b32 s28, exec_lo, s29
	s_cbranch_execz .LBB6_7804
; %bb.6288:                             ;   in Loop: Header=BB6_5278 Depth=2
	v_cmp_eq_u16_sdwa s40, v35, v44 src0_sel:BYTE_0 src1_sel:DWORD
	s_mov_b32 s12, -1
	s_and_saveexec_b32 s29, s40
; %bb.6289:                             ;   in Loop: Header=BB6_5278 Depth=2
	s_xor_b32 s12, exec_lo, -1
; %bb.6290:                             ;   in Loop: Header=BB6_5278 Depth=2
	s_or_b32 exec_lo, exec_lo, s29
	s_and_b32 s12, s12, exec_lo
	s_or_saveexec_b32 s28, s28
	v_mov_b32_e32 v34, 0x7f800001
	s_xor_b32 exec_lo, exec_lo, s28
	s_cbranch_execnz .LBB6_7805
.LBB6_6291:                             ;   in Loop: Header=BB6_5278 Depth=2
	s_or_b32 exec_lo, exec_lo, s28
	s_and_saveexec_b32 s28, s12
	s_cbranch_execz .LBB6_6293
.LBB6_6292:                             ;   in Loop: Header=BB6_5278 Depth=2
	v_and_b32_e32 v2, 3, v35
	v_bfe_u32 v42, v35, 2, 5
	v_lshlrev_b32_e32 v90, 24, v35
	v_ffbh_u32_e32 v3, v2
	v_cmp_eq_u32_e32 vcc_lo, 0, v42
	v_min_u32_e32 v3, 32, v3
	v_subrev_nc_u32_e32 v34, 29, v3
	v_sub_nc_u32_e32 v3, 30, v3
	v_lshlrev_b32_e32 v34, v34, v35
	v_cndmask_b32_e32 v3, v42, v3, vcc_lo
	v_and_b32_e32 v34, 3, v34
	v_lshl_add_u32 v3, v3, 23, 0x37800000
	v_cndmask_b32_e32 v2, v2, v34, vcc_lo
	v_and_b32_e32 v34, 0x80000000, v90
	v_lshlrev_b32_e32 v2, 21, v2
	v_or3_b32 v34, v34, v3, v2
.LBB6_6293:                             ;   in Loop: Header=BB6_5278 Depth=2
	s_or_b32 exec_lo, exec_lo, s28
	v_cmp_gt_i16_sdwa s28, v29, v43 src0_sel:BYTE_0 src1_sel:DWORD
	s_mov_b32 s12, 0
	s_and_saveexec_b32 s29, s28
	s_xor_b32 s28, exec_lo, s29
	s_cbranch_execz .LBB6_7806
; %bb.6294:                             ;   in Loop: Header=BB6_5278 Depth=2
	v_cmp_eq_u16_sdwa s40, v29, v44 src0_sel:BYTE_0 src1_sel:DWORD
	s_mov_b32 s12, -1
	s_and_saveexec_b32 s29, s40
; %bb.6295:                             ;   in Loop: Header=BB6_5278 Depth=2
	s_xor_b32 s12, exec_lo, -1
; %bb.6296:                             ;   in Loop: Header=BB6_5278 Depth=2
	s_or_b32 exec_lo, exec_lo, s29
	s_and_b32 s12, s12, exec_lo
	s_or_saveexec_b32 s28, s28
	v_mov_b32_e32 v2, 0x7f800001
	s_xor_b32 exec_lo, exec_lo, s28
	s_cbranch_execnz .LBB6_7807
.LBB6_6297:                             ;   in Loop: Header=BB6_5278 Depth=2
	s_or_b32 exec_lo, exec_lo, s28
	s_and_saveexec_b32 s28, s12
	s_cbranch_execz .LBB6_6299
.LBB6_6298:                             ;   in Loop: Header=BB6_5278 Depth=2
	v_and_b32_e32 v2, 3, v29
	v_bfe_u32 v90, v29, 2, 5
	v_lshlrev_b32_e32 v91, 24, v29
	v_ffbh_u32_e32 v3, v2
	v_cmp_eq_u32_e32 vcc_lo, 0, v90
	v_min_u32_e32 v3, 32, v3
	v_subrev_nc_u32_e32 v42, 29, v3
	v_sub_nc_u32_e32 v3, 30, v3
	v_lshlrev_b32_e32 v42, v42, v29
	v_cndmask_b32_e32 v3, v90, v3, vcc_lo
	v_and_b32_e32 v42, 3, v42
	v_lshl_add_u32 v3, v3, 23, 0x37800000
	v_cndmask_b32_e32 v2, v2, v42, vcc_lo
	v_and_b32_e32 v42, 0x80000000, v91
	v_lshlrev_b32_e32 v2, 21, v2
	v_or3_b32 v2, v42, v3, v2
.LBB6_6299:                             ;   in Loop: Header=BB6_5278 Depth=2
	s_or_b32 exec_lo, exec_lo, s28
	v_max_f32_e32 v2, v2, v2
	v_max_f32_e32 v3, v34, v34
	s_mov_b32 s12, 0
	v_max_f32_e32 v90, v3, v2
.LBB6_6300:                             ;   in Loop: Header=BB6_5278 Depth=2
	s_and_b32 vcc_lo, exec_lo, s12
	s_cbranch_vccz .LBB6_6314
; %bb.6301:                             ;   in Loop: Header=BB6_5278 Depth=2
	v_cmp_gt_i16_sdwa s28, v35, v43 src0_sel:BYTE_0 src1_sel:DWORD
	s_mov_b32 s12, 0
	s_and_saveexec_b32 s29, s28
	s_xor_b32 s28, exec_lo, s29
	s_cbranch_execz .LBB6_7808
; %bb.6302:                             ;   in Loop: Header=BB6_5278 Depth=2
	v_cmp_eq_u16_sdwa s40, v35, v44 src0_sel:BYTE_0 src1_sel:DWORD
	s_mov_b32 s12, -1
	s_and_saveexec_b32 s29, s40
; %bb.6303:                             ;   in Loop: Header=BB6_5278 Depth=2
	s_xor_b32 s12, exec_lo, -1
; %bb.6304:                             ;   in Loop: Header=BB6_5278 Depth=2
	s_or_b32 exec_lo, exec_lo, s29
	s_and_b32 s12, s12, exec_lo
	s_or_saveexec_b32 s28, s28
	v_mov_b32_e32 v34, 0x7f800001
	s_xor_b32 exec_lo, exec_lo, s28
	s_cbranch_execnz .LBB6_7809
.LBB6_6305:                             ;   in Loop: Header=BB6_5278 Depth=2
	s_or_b32 exec_lo, exec_lo, s28
	s_and_saveexec_b32 s28, s12
	s_cbranch_execz .LBB6_6307
.LBB6_6306:                             ;   in Loop: Header=BB6_5278 Depth=2
	v_and_b32_e32 v2, 3, v35
	v_bfe_u32 v42, v35, 2, 5
	v_lshlrev_b32_e32 v90, 24, v35
	v_ffbh_u32_e32 v3, v2
	v_cmp_eq_u32_e32 vcc_lo, 0, v42
	v_min_u32_e32 v3, 32, v3
	v_subrev_nc_u32_e32 v34, 29, v3
	v_sub_nc_u32_e32 v3, 30, v3
	v_lshlrev_b32_e32 v34, v34, v35
	v_cndmask_b32_e32 v3, v42, v3, vcc_lo
	v_and_b32_e32 v34, 3, v34
	v_lshl_add_u32 v3, v3, 23, 0x37800000
	v_cndmask_b32_e32 v2, v2, v34, vcc_lo
	v_and_b32_e32 v34, 0x80000000, v90
	v_lshlrev_b32_e32 v2, 21, v2
	v_or3_b32 v34, v34, v3, v2
.LBB6_6307:                             ;   in Loop: Header=BB6_5278 Depth=2
	s_or_b32 exec_lo, exec_lo, s28
	v_cmp_gt_i16_sdwa s28, v29, v43 src0_sel:BYTE_0 src1_sel:DWORD
	s_mov_b32 s12, 0
	s_and_saveexec_b32 s29, s28
	s_xor_b32 s28, exec_lo, s29
	s_cbranch_execz .LBB6_7810
; %bb.6308:                             ;   in Loop: Header=BB6_5278 Depth=2
	v_cmp_eq_u16_sdwa s40, v29, v44 src0_sel:BYTE_0 src1_sel:DWORD
	s_mov_b32 s12, -1
	s_and_saveexec_b32 s29, s40
; %bb.6309:                             ;   in Loop: Header=BB6_5278 Depth=2
	s_xor_b32 s12, exec_lo, -1
; %bb.6310:                             ;   in Loop: Header=BB6_5278 Depth=2
	s_or_b32 exec_lo, exec_lo, s29
	s_and_b32 s12, s12, exec_lo
	s_or_saveexec_b32 s28, s28
	v_mov_b32_e32 v2, 0x7f800001
	s_xor_b32 exec_lo, exec_lo, s28
	s_cbranch_execnz .LBB6_7811
.LBB6_6311:                             ;   in Loop: Header=BB6_5278 Depth=2
	s_or_b32 exec_lo, exec_lo, s28
	s_and_saveexec_b32 s28, s12
	s_cbranch_execz .LBB6_6313
.LBB6_6312:                             ;   in Loop: Header=BB6_5278 Depth=2
	v_and_b32_e32 v2, 3, v29
	v_bfe_u32 v90, v29, 2, 5
	v_lshlrev_b32_e32 v91, 24, v29
	v_ffbh_u32_e32 v3, v2
	v_cmp_eq_u32_e32 vcc_lo, 0, v90
	v_min_u32_e32 v3, 32, v3
	v_subrev_nc_u32_e32 v42, 29, v3
	v_sub_nc_u32_e32 v3, 30, v3
	v_lshlrev_b32_e32 v42, v42, v29
	v_cndmask_b32_e32 v3, v90, v3, vcc_lo
	v_and_b32_e32 v42, 3, v42
	v_lshl_add_u32 v3, v3, 23, 0x37800000
	v_cndmask_b32_e32 v2, v2, v42, vcc_lo
	v_and_b32_e32 v42, 0x80000000, v91
	v_lshlrev_b32_e32 v2, 21, v2
	v_or3_b32 v2, v42, v3, v2
.LBB6_6313:                             ;   in Loop: Header=BB6_5278 Depth=2
	s_or_b32 exec_lo, exec_lo, s28
	v_max_f32_e32 v2, v2, v2
	v_max_f32_e32 v3, v34, v34
	v_min_f32_e32 v90, v3, v2
.LBB6_6314:                             ;   in Loop: Header=BB6_5278 Depth=2
	v_and_b32_e32 v2, 0x7f800000, v90
	v_mov_b32_e32 v34, 0x80
	s_mov_b32 s28, exec_lo
	v_cmpx_ne_u32_e32 0x7f800000, v2
	s_cbranch_execz .LBB6_6322
; %bb.6315:                             ;   in Loop: Header=BB6_5278 Depth=2
	v_mov_b32_e32 v34, 0
	s_mov_b32 s29, exec_lo
	v_cmpx_ne_u32_e32 0, v90
	s_cbranch_execz .LBB6_6321
; %bb.6316:                             ;   in Loop: Header=BB6_5278 Depth=2
	v_bfe_u32 v2, v90, 23, 8
	v_and_b32_e32 v3, 0x7fffff, v90
	v_sub_nc_u32_e32 v34, 0x70, v2
	v_cmp_gt_u32_e32 vcc_lo, 0x71, v2
	v_or_b32_e32 v42, 0x800000, v3
	v_cndmask_b32_e32 v34, 0, v34, vcc_lo
	v_cmp_eq_u32_e32 vcc_lo, 0, v2
	v_add_nc_u32_e32 v2, 0xffffff91, v2
	v_cndmask_b32_e64 v34, v34, 0x6f, vcc_lo
	v_cndmask_b32_e32 v3, v42, v3, vcc_lo
	v_cndmask_b32_e64 v2, v2, 0xffffff92, vcc_lo
	v_lshl_add_u32 v42, 0x200000, v34, -1
	v_lshrrev_b32_e32 v91, v34, v3
	v_lshlrev_b32_e64 v93, v34, 0x100000
	v_and_b32_e32 v3, v42, v3
	v_bfe_u32 v92, v91, 21, 1
	v_cmp_eq_u32_e64 s12, v3, v93
	v_add_nc_u32_e32 v42, -1, v92
	v_lshrrev_b32_e32 v92, 23, v91
	v_cndmask_b32_e64 v3, 0, v42, s12
	s_mov_b32 s12, exec_lo
	v_add_nc_u32_e32 v42, v3, v91
	v_add_nc_u32_e32 v3, v34, v2
                                        ; implicit-def: $vgpr34
	v_and_b32_e32 v2, 0x1fffff, v42
	v_xor_b32_e32 v42, 1, v92
	v_add_nc_u32_e32 v2, v2, v91
	v_cmpx_ne_u32_e64 v3, v42
	s_xor_b32 s12, exec_lo, s12
; %bb.6317:                             ;   in Loop: Header=BB6_5278 Depth=2
	v_cmp_lt_u32_e32 vcc_lo, 0xffffff, v2
	v_sub_nc_u32_e32 v3, v3, v42
	v_cndmask_b32_e64 v42, 0, 1, vcc_lo
	v_add_co_ci_u32_e64 v34, null, 0, v3, vcc_lo
	v_lshrrev_b32_e32 v2, v42, v2
; %bb.6318:                             ;   in Loop: Header=BB6_5278 Depth=2
	s_andn2_saveexec_b32 s12, s12
; %bb.6319:                             ;   in Loop: Header=BB6_5278 Depth=2
	v_bfe_u32 v34, v2, 23, 1
; %bb.6320:                             ;   in Loop: Header=BB6_5278 Depth=2
	s_or_b32 exec_lo, exec_lo, s12
	v_lshrrev_b32_e32 v2, 21, v2
	v_min_i32_e32 v3, 31, v34
	v_cmp_gt_i32_e32 vcc_lo, 32, v34
	v_and_b32_sdwa v42, v90, v44 dst_sel:DWORD dst_unused:UNUSED_PAD src0_sel:BYTE_3 src1_sel:DWORD
	v_lshlrev_b32_e32 v3, 2, v3
	v_cndmask_b32_e32 v2, 3, v2, vcc_lo
	v_and_b32_e32 v3, 0xfc, v3
	v_and_b32_e32 v90, 3, v2
	v_or_b32_e32 v2, v34, v2
	v_or3_b32 v3, v3, v42, v90
	v_cmp_ne_u32_e32 vcc_lo, 0, v2
	v_cndmask_b32_e32 v34, 0, v3, vcc_lo
.LBB6_6321:                             ;   in Loop: Header=BB6_5278 Depth=2
	s_or_b32 exec_lo, exec_lo, s29
.LBB6_6322:                             ;   in Loop: Header=BB6_5278 Depth=2
	s_or_b32 exec_lo, exec_lo, s28
	v_cmp_gt_i16_sdwa s28, v35, v43 src0_sel:BYTE_1 src1_sel:DWORD
	s_andn2_b32 vcc_lo, exec_lo, s27
	s_mov_b32 s12, -1
                                        ; implicit-def: $vgpr91
	s_cbranch_vccnz .LBB6_6336
; %bb.6323:                             ;   in Loop: Header=BB6_5278 Depth=2
	s_mov_b32 s12, 0
	s_and_saveexec_b32 s29, s28
	s_xor_b32 s28, exec_lo, s29
	s_cbranch_execz .LBB6_7812
; %bb.6324:                             ;   in Loop: Header=BB6_5278 Depth=2
	v_cmp_eq_u16_sdwa s40, v35, v44 src0_sel:BYTE_1 src1_sel:DWORD
	s_mov_b32 s12, -1
	s_and_saveexec_b32 s29, s40
; %bb.6325:                             ;   in Loop: Header=BB6_5278 Depth=2
	s_xor_b32 s12, exec_lo, -1
; %bb.6326:                             ;   in Loop: Header=BB6_5278 Depth=2
	s_or_b32 exec_lo, exec_lo, s29
	s_and_b32 s12, s12, exec_lo
	s_or_saveexec_b32 s28, s28
	v_mov_b32_e32 v90, 0x7f800001
	s_xor_b32 exec_lo, exec_lo, s28
	s_cbranch_execnz .LBB6_7813
.LBB6_6327:                             ;   in Loop: Header=BB6_5278 Depth=2
	s_or_b32 exec_lo, exec_lo, s28
	s_and_saveexec_b32 s28, s12
	s_cbranch_execz .LBB6_6329
.LBB6_6328:                             ;   in Loop: Header=BB6_5278 Depth=2
	v_and_b32_sdwa v2, v45, v35 dst_sel:DWORD dst_unused:UNUSED_PAD src0_sel:DWORD src1_sel:BYTE_1
	v_and_b32_e32 v3, 3, v2
	v_bfe_u32 v91, v2, 2, 5
	v_ffbh_u32_e32 v42, v3
	v_cmp_eq_u32_e32 vcc_lo, 0, v91
	v_min_u32_e32 v42, 32, v42
	v_subrev_nc_u32_e32 v90, 29, v42
	v_sub_nc_u32_e32 v42, 30, v42
	v_lshlrev_b32_e32 v2, v90, v2
	v_lshlrev_b32_e32 v90, 16, v35
	v_cndmask_b32_e32 v42, v91, v42, vcc_lo
	v_and_b32_e32 v2, 3, v2
	v_lshl_add_u32 v42, v42, 23, 0x37800000
	v_cndmask_b32_e32 v2, v3, v2, vcc_lo
	v_and_b32_e32 v3, 0x80000000, v90
	v_lshlrev_b32_e32 v2, 21, v2
	v_or3_b32 v90, v3, v42, v2
.LBB6_6329:                             ;   in Loop: Header=BB6_5278 Depth=2
	s_or_b32 exec_lo, exec_lo, s28
	v_cmp_gt_i16_sdwa s28, v29, v43 src0_sel:BYTE_1 src1_sel:DWORD
	s_mov_b32 s12, 0
	s_and_saveexec_b32 s29, s28
	s_xor_b32 s28, exec_lo, s29
	s_cbranch_execz .LBB6_7814
; %bb.6330:                             ;   in Loop: Header=BB6_5278 Depth=2
	v_cmp_eq_u16_sdwa s40, v29, v44 src0_sel:BYTE_1 src1_sel:DWORD
	s_mov_b32 s12, -1
	s_and_saveexec_b32 s29, s40
; %bb.6331:                             ;   in Loop: Header=BB6_5278 Depth=2
	s_xor_b32 s12, exec_lo, -1
; %bb.6332:                             ;   in Loop: Header=BB6_5278 Depth=2
	s_or_b32 exec_lo, exec_lo, s29
	s_and_b32 s12, s12, exec_lo
	s_or_saveexec_b32 s28, s28
	v_mov_b32_e32 v2, 0x7f800001
	s_xor_b32 exec_lo, exec_lo, s28
	s_cbranch_execnz .LBB6_7815
.LBB6_6333:                             ;   in Loop: Header=BB6_5278 Depth=2
	s_or_b32 exec_lo, exec_lo, s28
	s_and_saveexec_b32 s28, s12
	s_cbranch_execz .LBB6_6335
.LBB6_6334:                             ;   in Loop: Header=BB6_5278 Depth=2
	v_and_b32_sdwa v2, v45, v29 dst_sel:DWORD dst_unused:UNUSED_PAD src0_sel:DWORD src1_sel:BYTE_1
	v_and_b32_e32 v3, 3, v2
	v_bfe_u32 v92, v2, 2, 5
	v_ffbh_u32_e32 v42, v3
	v_cmp_eq_u32_e32 vcc_lo, 0, v92
	v_min_u32_e32 v42, 32, v42
	v_subrev_nc_u32_e32 v91, 29, v42
	v_sub_nc_u32_e32 v42, 30, v42
	v_lshlrev_b32_e32 v2, v91, v2
	v_lshlrev_b32_e32 v91, 16, v29
	v_cndmask_b32_e32 v42, v92, v42, vcc_lo
	v_and_b32_e32 v2, 3, v2
	v_lshl_add_u32 v42, v42, 23, 0x37800000
	v_cndmask_b32_e32 v2, v3, v2, vcc_lo
	v_and_b32_e32 v3, 0x80000000, v91
	v_lshlrev_b32_e32 v2, 21, v2
	v_or3_b32 v2, v3, v42, v2
.LBB6_6335:                             ;   in Loop: Header=BB6_5278 Depth=2
	s_or_b32 exec_lo, exec_lo, s28
	v_max_f32_e32 v2, v2, v2
	v_max_f32_e32 v3, v90, v90
	s_mov_b32 s12, 0
	v_max_f32_e32 v91, v3, v2
.LBB6_6336:                             ;   in Loop: Header=BB6_5278 Depth=2
	s_and_b32 vcc_lo, exec_lo, s12
	s_cbranch_vccz .LBB6_6350
; %bb.6337:                             ;   in Loop: Header=BB6_5278 Depth=2
	v_cmp_gt_i16_sdwa s28, v35, v43 src0_sel:BYTE_1 src1_sel:DWORD
	s_mov_b32 s12, 0
	s_and_saveexec_b32 s29, s28
	s_xor_b32 s28, exec_lo, s29
	s_cbranch_execz .LBB6_7816
; %bb.6338:                             ;   in Loop: Header=BB6_5278 Depth=2
	v_cmp_eq_u16_sdwa s40, v35, v44 src0_sel:BYTE_1 src1_sel:DWORD
	s_mov_b32 s12, -1
	s_and_saveexec_b32 s29, s40
; %bb.6339:                             ;   in Loop: Header=BB6_5278 Depth=2
	s_xor_b32 s12, exec_lo, -1
; %bb.6340:                             ;   in Loop: Header=BB6_5278 Depth=2
	s_or_b32 exec_lo, exec_lo, s29
	s_and_b32 s12, s12, exec_lo
	s_or_saveexec_b32 s28, s28
	v_mov_b32_e32 v90, 0x7f800001
	s_xor_b32 exec_lo, exec_lo, s28
	s_cbranch_execnz .LBB6_7817
.LBB6_6341:                             ;   in Loop: Header=BB6_5278 Depth=2
	s_or_b32 exec_lo, exec_lo, s28
	s_and_saveexec_b32 s28, s12
	s_cbranch_execz .LBB6_6343
.LBB6_6342:                             ;   in Loop: Header=BB6_5278 Depth=2
	v_and_b32_sdwa v2, v45, v35 dst_sel:DWORD dst_unused:UNUSED_PAD src0_sel:DWORD src1_sel:BYTE_1
	v_and_b32_e32 v3, 3, v2
	v_bfe_u32 v91, v2, 2, 5
	v_ffbh_u32_e32 v42, v3
	v_cmp_eq_u32_e32 vcc_lo, 0, v91
	v_min_u32_e32 v42, 32, v42
	v_subrev_nc_u32_e32 v90, 29, v42
	v_sub_nc_u32_e32 v42, 30, v42
	v_lshlrev_b32_e32 v2, v90, v2
	v_lshlrev_b32_e32 v90, 16, v35
	v_cndmask_b32_e32 v42, v91, v42, vcc_lo
	v_and_b32_e32 v2, 3, v2
	v_lshl_add_u32 v42, v42, 23, 0x37800000
	v_cndmask_b32_e32 v2, v3, v2, vcc_lo
	v_and_b32_e32 v3, 0x80000000, v90
	v_lshlrev_b32_e32 v2, 21, v2
	v_or3_b32 v90, v3, v42, v2
.LBB6_6343:                             ;   in Loop: Header=BB6_5278 Depth=2
	s_or_b32 exec_lo, exec_lo, s28
	v_cmp_gt_i16_sdwa s28, v29, v43 src0_sel:BYTE_1 src1_sel:DWORD
	s_mov_b32 s12, 0
	s_and_saveexec_b32 s29, s28
	s_xor_b32 s28, exec_lo, s29
	s_cbranch_execz .LBB6_7818
; %bb.6344:                             ;   in Loop: Header=BB6_5278 Depth=2
	v_cmp_eq_u16_sdwa s40, v29, v44 src0_sel:BYTE_1 src1_sel:DWORD
	s_mov_b32 s12, -1
	s_and_saveexec_b32 s29, s40
; %bb.6345:                             ;   in Loop: Header=BB6_5278 Depth=2
	s_xor_b32 s12, exec_lo, -1
; %bb.6346:                             ;   in Loop: Header=BB6_5278 Depth=2
	s_or_b32 exec_lo, exec_lo, s29
	s_and_b32 s12, s12, exec_lo
	s_or_saveexec_b32 s28, s28
	v_mov_b32_e32 v2, 0x7f800001
	s_xor_b32 exec_lo, exec_lo, s28
	s_cbranch_execnz .LBB6_7819
.LBB6_6347:                             ;   in Loop: Header=BB6_5278 Depth=2
	s_or_b32 exec_lo, exec_lo, s28
	s_and_saveexec_b32 s28, s12
	s_cbranch_execz .LBB6_6349
.LBB6_6348:                             ;   in Loop: Header=BB6_5278 Depth=2
	v_and_b32_sdwa v2, v45, v29 dst_sel:DWORD dst_unused:UNUSED_PAD src0_sel:DWORD src1_sel:BYTE_1
	v_and_b32_e32 v3, 3, v2
	v_bfe_u32 v92, v2, 2, 5
	v_ffbh_u32_e32 v42, v3
	v_cmp_eq_u32_e32 vcc_lo, 0, v92
	v_min_u32_e32 v42, 32, v42
	v_subrev_nc_u32_e32 v91, 29, v42
	v_sub_nc_u32_e32 v42, 30, v42
	v_lshlrev_b32_e32 v2, v91, v2
	v_lshlrev_b32_e32 v91, 16, v29
	v_cndmask_b32_e32 v42, v92, v42, vcc_lo
	v_and_b32_e32 v2, 3, v2
	v_lshl_add_u32 v42, v42, 23, 0x37800000
	v_cndmask_b32_e32 v2, v3, v2, vcc_lo
	v_and_b32_e32 v3, 0x80000000, v91
	v_lshlrev_b32_e32 v2, 21, v2
	v_or3_b32 v2, v3, v42, v2
.LBB6_6349:                             ;   in Loop: Header=BB6_5278 Depth=2
	s_or_b32 exec_lo, exec_lo, s28
	v_max_f32_e32 v2, v2, v2
	v_max_f32_e32 v3, v90, v90
	v_min_f32_e32 v91, v3, v2
.LBB6_6350:                             ;   in Loop: Header=BB6_5278 Depth=2
	v_and_b32_e32 v2, 0x7f800000, v91
	v_mov_b32_e32 v90, 0x8000
	s_mov_b32 s28, exec_lo
	v_cmpx_ne_u32_e32 0x7f800000, v2
	s_cbranch_execz .LBB6_6358
; %bb.6351:                             ;   in Loop: Header=BB6_5278 Depth=2
	v_mov_b32_e32 v90, 0
	s_mov_b32 s29, exec_lo
	v_cmpx_ne_u32_e32 0, v91
	s_cbranch_execz .LBB6_6357
; %bb.6352:                             ;   in Loop: Header=BB6_5278 Depth=2
	v_bfe_u32 v2, v91, 23, 8
	v_and_b32_e32 v3, 0x7fffff, v91
	v_sub_nc_u32_e32 v42, 0x70, v2
	v_cmp_gt_u32_e32 vcc_lo, 0x71, v2
	v_or_b32_e32 v90, 0x800000, v3
	v_cndmask_b32_e32 v42, 0, v42, vcc_lo
	v_cmp_eq_u32_e32 vcc_lo, 0, v2
	v_add_nc_u32_e32 v2, 0xffffff91, v2
	v_cndmask_b32_e64 v42, v42, 0x6f, vcc_lo
	v_cndmask_b32_e32 v3, v90, v3, vcc_lo
	v_cndmask_b32_e64 v2, v2, 0xffffff92, vcc_lo
	v_lshl_add_u32 v92, 0x200000, v42, -1
	v_lshrrev_b32_e32 v90, v42, v3
	v_lshlrev_b32_e64 v94, v42, 0x100000
	v_and_b32_e32 v3, v92, v3
	v_bfe_u32 v93, v90, 21, 1
	v_cmp_eq_u32_e64 s12, v3, v94
	v_add_nc_u32_e32 v92, -1, v93
	v_lshrrev_b32_e32 v93, 23, v90
	v_cndmask_b32_e64 v3, 0, v92, s12
	s_mov_b32 s12, exec_lo
	v_add_nc_u32_e32 v92, v3, v90
	v_add_nc_u32_e32 v3, v42, v2
	v_xor_b32_e32 v42, 1, v93
	v_and_b32_e32 v2, 0x1fffff, v92
	v_add_nc_u32_e32 v2, v2, v90
                                        ; implicit-def: $vgpr90
	v_cmpx_ne_u32_e64 v3, v42
	s_xor_b32 s12, exec_lo, s12
; %bb.6353:                             ;   in Loop: Header=BB6_5278 Depth=2
	v_cmp_lt_u32_e32 vcc_lo, 0xffffff, v2
	v_sub_nc_u32_e32 v3, v3, v42
	v_cndmask_b32_e64 v42, 0, 1, vcc_lo
	v_add_co_ci_u32_e64 v90, null, 0, v3, vcc_lo
	v_lshrrev_b32_e32 v2, v42, v2
; %bb.6354:                             ;   in Loop: Header=BB6_5278 Depth=2
	s_andn2_saveexec_b32 s12, s12
; %bb.6355:                             ;   in Loop: Header=BB6_5278 Depth=2
	v_bfe_u32 v90, v2, 23, 1
; %bb.6356:                             ;   in Loop: Header=BB6_5278 Depth=2
	s_or_b32 exec_lo, exec_lo, s12
	v_lshrrev_b32_e32 v2, 21, v2
	v_min_i32_e32 v3, 31, v90
	v_cmp_gt_i32_e32 vcc_lo, 32, v90
	v_and_b32_sdwa v42, v91, v44 dst_sel:DWORD dst_unused:UNUSED_PAD src0_sel:BYTE_3 src1_sel:DWORD
	v_lshlrev_b32_e32 v3, 2, v3
	v_cndmask_b32_e32 v2, 3, v2, vcc_lo
	v_and_b32_e32 v3, 0xfc, v3
	v_and_b32_e32 v91, 3, v2
	v_or_b32_e32 v2, v90, v2
	v_or3_b32 v3, v42, v3, v91
	v_cmp_ne_u32_e32 vcc_lo, 0, v2
	v_lshlrev_b32_e32 v3, 8, v3
	v_cndmask_b32_e32 v90, 0, v3, vcc_lo
.LBB6_6357:                             ;   in Loop: Header=BB6_5278 Depth=2
	s_or_b32 exec_lo, exec_lo, s29
.LBB6_6358:                             ;   in Loop: Header=BB6_5278 Depth=2
	s_or_b32 exec_lo, exec_lo, s28
	v_and_b32_sdwa v91, v35, v46 dst_sel:DWORD dst_unused:UNUSED_PAD src0_sel:WORD_1 src1_sel:DWORD
	s_andn2_b32 vcc_lo, exec_lo, s27
	s_mov_b32 s28, -1
                                        ; implicit-def: $vgpr92
	v_cmp_lt_i16_e64 s12, 0x7f, v91
	s_cbranch_vccnz .LBB6_6372
; %bb.6359:                             ;   in Loop: Header=BB6_5278 Depth=2
	s_mov_b32 s28, 0
	s_and_saveexec_b32 s29, s12
	s_xor_b32 s12, exec_lo, s29
	s_cbranch_execz .LBB6_7820
; %bb.6360:                             ;   in Loop: Header=BB6_5278 Depth=2
	s_mov_b32 s28, -1
	s_mov_b32 s29, exec_lo
	v_cmpx_eq_u16_e32 0x80, v91
; %bb.6361:                             ;   in Loop: Header=BB6_5278 Depth=2
	s_xor_b32 s28, exec_lo, -1
; %bb.6362:                             ;   in Loop: Header=BB6_5278 Depth=2
	s_or_b32 exec_lo, exec_lo, s29
	s_and_b32 s28, s28, exec_lo
	s_or_saveexec_b32 s12, s12
	v_mov_b32_e32 v92, 0x7f800001
	s_xor_b32 exec_lo, exec_lo, s12
	s_cbranch_execnz .LBB6_7821
.LBB6_6363:                             ;   in Loop: Header=BB6_5278 Depth=2
	s_or_b32 exec_lo, exec_lo, s12
	s_and_saveexec_b32 s12, s28
	s_cbranch_execz .LBB6_6365
.LBB6_6364:                             ;   in Loop: Header=BB6_5278 Depth=2
	v_bfe_u32 v2, v35, 16, 2
	v_bfe_u32 v92, v35, 18, 5
	v_lshlrev_b32_sdwa v93, v47, v35 dst_sel:DWORD dst_unused:UNUSED_PAD src0_sel:DWORD src1_sel:WORD_1
	v_ffbh_u32_e32 v3, v2
	v_cmp_eq_u32_e32 vcc_lo, 0, v92
	v_min_u32_e32 v3, 32, v3
	v_subrev_nc_u32_e32 v42, 29, v3
	v_sub_nc_u32_e32 v3, 30, v3
	v_lshlrev_b32_sdwa v42, v42, v35 dst_sel:DWORD dst_unused:UNUSED_PAD src0_sel:DWORD src1_sel:WORD_1
	v_cndmask_b32_e32 v3, v92, v3, vcc_lo
	v_and_b32_e32 v42, 3, v42
	v_lshl_add_u32 v3, v3, 23, 0x37800000
	v_cndmask_b32_e32 v2, v2, v42, vcc_lo
	v_and_b32_e32 v42, 0x80000000, v93
	v_lshlrev_b32_e32 v2, 21, v2
	v_or3_b32 v92, v42, v3, v2
.LBB6_6365:                             ;   in Loop: Header=BB6_5278 Depth=2
	s_or_b32 exec_lo, exec_lo, s12
	v_and_b32_sdwa v3, v29, v46 dst_sel:DWORD dst_unused:UNUSED_PAD src0_sel:WORD_1 src1_sel:DWORD
	s_mov_b32 s12, 0
	s_mov_b32 s28, exec_lo
	v_cmpx_lt_i16_e32 0x7f, v3
	s_xor_b32 s28, exec_lo, s28
	s_cbranch_execz .LBB6_7822
; %bb.6366:                             ;   in Loop: Header=BB6_5278 Depth=2
	s_mov_b32 s12, -1
	s_mov_b32 s29, exec_lo
	v_cmpx_eq_u16_e32 0x80, v3
; %bb.6367:                             ;   in Loop: Header=BB6_5278 Depth=2
	s_xor_b32 s12, exec_lo, -1
; %bb.6368:                             ;   in Loop: Header=BB6_5278 Depth=2
	s_or_b32 exec_lo, exec_lo, s29
	s_and_b32 s12, s12, exec_lo
                                        ; implicit-def: $vgpr3
	s_or_saveexec_b32 s28, s28
	v_mov_b32_e32 v2, 0x7f800001
	s_xor_b32 exec_lo, exec_lo, s28
	s_cbranch_execnz .LBB6_7823
.LBB6_6369:                             ;   in Loop: Header=BB6_5278 Depth=2
	s_or_b32 exec_lo, exec_lo, s28
	s_and_saveexec_b32 s28, s12
	s_cbranch_execz .LBB6_6371
.LBB6_6370:                             ;   in Loop: Header=BB6_5278 Depth=2
	v_bfe_u32 v2, v29, 16, 2
	v_bfe_u32 v93, v29, 18, 5
	v_lshlrev_b32_sdwa v94, v47, v29 dst_sel:DWORD dst_unused:UNUSED_PAD src0_sel:DWORD src1_sel:WORD_1
	v_ffbh_u32_e32 v3, v2
	v_cmp_eq_u32_e32 vcc_lo, 0, v93
	v_min_u32_e32 v3, 32, v3
	v_subrev_nc_u32_e32 v42, 29, v3
	v_sub_nc_u32_e32 v3, 30, v3
	v_lshlrev_b32_sdwa v42, v42, v29 dst_sel:DWORD dst_unused:UNUSED_PAD src0_sel:DWORD src1_sel:WORD_1
	v_cndmask_b32_e32 v3, v93, v3, vcc_lo
	v_and_b32_e32 v42, 3, v42
	v_lshl_add_u32 v3, v3, 23, 0x37800000
	v_cndmask_b32_e32 v2, v2, v42, vcc_lo
	v_and_b32_e32 v42, 0x80000000, v94
	v_lshlrev_b32_e32 v2, 21, v2
	v_or3_b32 v2, v42, v3, v2
.LBB6_6371:                             ;   in Loop: Header=BB6_5278 Depth=2
	s_or_b32 exec_lo, exec_lo, s28
	v_max_f32_e32 v2, v2, v2
	v_max_f32_e32 v3, v92, v92
	s_mov_b32 s28, 0
	v_max_f32_e32 v92, v3, v2
.LBB6_6372:                             ;   in Loop: Header=BB6_5278 Depth=2
	s_and_b32 vcc_lo, exec_lo, s28
	s_cbranch_vccz .LBB6_6386
; %bb.6373:                             ;   in Loop: Header=BB6_5278 Depth=2
	s_mov_b32 s12, 0
	s_mov_b32 s28, exec_lo
	v_cmpx_lt_i16_e32 0x7f, v91
	s_xor_b32 s28, exec_lo, s28
	s_cbranch_execz .LBB6_7824
; %bb.6374:                             ;   in Loop: Header=BB6_5278 Depth=2
	s_mov_b32 s12, -1
	s_mov_b32 s29, exec_lo
	v_cmpx_eq_u16_e32 0x80, v91
; %bb.6375:                             ;   in Loop: Header=BB6_5278 Depth=2
	s_xor_b32 s12, exec_lo, -1
; %bb.6376:                             ;   in Loop: Header=BB6_5278 Depth=2
	s_or_b32 exec_lo, exec_lo, s29
	s_and_b32 s12, s12, exec_lo
                                        ; implicit-def: $vgpr91
	s_or_saveexec_b32 s28, s28
	v_mov_b32_e32 v92, 0x7f800001
	s_xor_b32 exec_lo, exec_lo, s28
	s_cbranch_execnz .LBB6_7825
.LBB6_6377:                             ;   in Loop: Header=BB6_5278 Depth=2
	s_or_b32 exec_lo, exec_lo, s28
	s_and_saveexec_b32 s28, s12
	s_cbranch_execz .LBB6_6379
.LBB6_6378:                             ;   in Loop: Header=BB6_5278 Depth=2
	v_bfe_u32 v2, v35, 16, 2
	v_bfe_u32 v91, v35, 18, 5
	v_lshlrev_b32_sdwa v92, v47, v35 dst_sel:DWORD dst_unused:UNUSED_PAD src0_sel:DWORD src1_sel:WORD_1
	v_ffbh_u32_e32 v3, v2
	v_cmp_eq_u32_e32 vcc_lo, 0, v91
	v_min_u32_e32 v3, 32, v3
	v_subrev_nc_u32_e32 v42, 29, v3
	v_sub_nc_u32_e32 v3, 30, v3
	v_lshlrev_b32_sdwa v42, v42, v35 dst_sel:DWORD dst_unused:UNUSED_PAD src0_sel:DWORD src1_sel:WORD_1
	v_cndmask_b32_e32 v3, v91, v3, vcc_lo
	v_and_b32_e32 v42, 3, v42
	v_lshl_add_u32 v3, v3, 23, 0x37800000
	v_cndmask_b32_e32 v2, v2, v42, vcc_lo
	v_and_b32_e32 v42, 0x80000000, v92
	v_lshlrev_b32_e32 v2, 21, v2
	v_or3_b32 v92, v42, v3, v2
.LBB6_6379:                             ;   in Loop: Header=BB6_5278 Depth=2
	s_or_b32 exec_lo, exec_lo, s28
	v_and_b32_sdwa v3, v29, v46 dst_sel:DWORD dst_unused:UNUSED_PAD src0_sel:WORD_1 src1_sel:DWORD
	s_mov_b32 s12, 0
	s_mov_b32 s28, exec_lo
	v_cmpx_lt_i16_e32 0x7f, v3
	s_xor_b32 s28, exec_lo, s28
	s_cbranch_execz .LBB6_7826
; %bb.6380:                             ;   in Loop: Header=BB6_5278 Depth=2
	s_mov_b32 s12, -1
	s_mov_b32 s29, exec_lo
	v_cmpx_eq_u16_e32 0x80, v3
; %bb.6381:                             ;   in Loop: Header=BB6_5278 Depth=2
	s_xor_b32 s12, exec_lo, -1
; %bb.6382:                             ;   in Loop: Header=BB6_5278 Depth=2
	s_or_b32 exec_lo, exec_lo, s29
	s_and_b32 s12, s12, exec_lo
                                        ; implicit-def: $vgpr3
	s_or_saveexec_b32 s28, s28
	v_mov_b32_e32 v2, 0x7f800001
	s_xor_b32 exec_lo, exec_lo, s28
	s_cbranch_execnz .LBB6_7827
.LBB6_6383:                             ;   in Loop: Header=BB6_5278 Depth=2
	s_or_b32 exec_lo, exec_lo, s28
	s_and_saveexec_b32 s28, s12
	s_cbranch_execz .LBB6_6385
.LBB6_6384:                             ;   in Loop: Header=BB6_5278 Depth=2
	v_bfe_u32 v2, v29, 16, 2
	v_bfe_u32 v91, v29, 18, 5
	v_lshlrev_b32_sdwa v93, v47, v29 dst_sel:DWORD dst_unused:UNUSED_PAD src0_sel:DWORD src1_sel:WORD_1
	v_ffbh_u32_e32 v3, v2
	v_cmp_eq_u32_e32 vcc_lo, 0, v91
	v_min_u32_e32 v3, 32, v3
	v_subrev_nc_u32_e32 v42, 29, v3
	v_sub_nc_u32_e32 v3, 30, v3
	v_lshlrev_b32_sdwa v42, v42, v29 dst_sel:DWORD dst_unused:UNUSED_PAD src0_sel:DWORD src1_sel:WORD_1
	v_cndmask_b32_e32 v3, v91, v3, vcc_lo
	v_and_b32_e32 v42, 3, v42
	v_lshl_add_u32 v3, v3, 23, 0x37800000
	v_cndmask_b32_e32 v2, v2, v42, vcc_lo
	v_and_b32_e32 v42, 0x80000000, v93
	v_lshlrev_b32_e32 v2, 21, v2
	v_or3_b32 v2, v42, v3, v2
.LBB6_6385:                             ;   in Loop: Header=BB6_5278 Depth=2
	s_or_b32 exec_lo, exec_lo, s28
	v_max_f32_e32 v2, v2, v2
	v_max_f32_e32 v3, v92, v92
	v_min_f32_e32 v92, v3, v2
.LBB6_6386:                             ;   in Loop: Header=BB6_5278 Depth=2
	v_and_b32_e32 v2, 0x7f800000, v92
	v_mov_b32_e32 v91, 0x80
	s_mov_b32 s28, exec_lo
	v_cmpx_ne_u32_e32 0x7f800000, v2
	s_cbranch_execz .LBB6_6394
; %bb.6387:                             ;   in Loop: Header=BB6_5278 Depth=2
	v_mov_b32_e32 v91, 0
	s_mov_b32 s29, exec_lo
	v_cmpx_ne_u32_e32 0, v92
	s_cbranch_execz .LBB6_6393
; %bb.6388:                             ;   in Loop: Header=BB6_5278 Depth=2
	v_bfe_u32 v2, v92, 23, 8
	v_and_b32_e32 v3, 0x7fffff, v92
	v_sub_nc_u32_e32 v42, 0x70, v2
	v_cmp_gt_u32_e32 vcc_lo, 0x71, v2
	v_or_b32_e32 v91, 0x800000, v3
	v_cndmask_b32_e32 v42, 0, v42, vcc_lo
	v_cmp_eq_u32_e32 vcc_lo, 0, v2
	v_add_nc_u32_e32 v2, 0xffffff91, v2
	v_cndmask_b32_e64 v42, v42, 0x6f, vcc_lo
	v_cndmask_b32_e32 v3, v91, v3, vcc_lo
	v_cndmask_b32_e64 v2, v2, 0xffffff92, vcc_lo
	v_lshl_add_u32 v93, 0x200000, v42, -1
	v_lshrrev_b32_e32 v91, v42, v3
	v_lshlrev_b32_e64 v95, v42, 0x100000
	v_and_b32_e32 v3, v93, v3
	v_bfe_u32 v94, v91, 21, 1
	v_cmp_eq_u32_e64 s12, v3, v95
	v_add_nc_u32_e32 v93, -1, v94
	v_lshrrev_b32_e32 v94, 23, v91
	v_cndmask_b32_e64 v3, 0, v93, s12
	s_mov_b32 s12, exec_lo
	v_add_nc_u32_e32 v93, v3, v91
	v_add_nc_u32_e32 v3, v42, v2
	v_xor_b32_e32 v42, 1, v94
	v_and_b32_e32 v2, 0x1fffff, v93
	v_add_nc_u32_e32 v2, v2, v91
                                        ; implicit-def: $vgpr91
	v_cmpx_ne_u32_e64 v3, v42
	s_xor_b32 s12, exec_lo, s12
; %bb.6389:                             ;   in Loop: Header=BB6_5278 Depth=2
	v_cmp_lt_u32_e32 vcc_lo, 0xffffff, v2
	v_sub_nc_u32_e32 v3, v3, v42
	v_cndmask_b32_e64 v42, 0, 1, vcc_lo
	v_add_co_ci_u32_e64 v91, null, 0, v3, vcc_lo
	v_lshrrev_b32_e32 v2, v42, v2
; %bb.6390:                             ;   in Loop: Header=BB6_5278 Depth=2
	s_andn2_saveexec_b32 s12, s12
; %bb.6391:                             ;   in Loop: Header=BB6_5278 Depth=2
	v_bfe_u32 v91, v2, 23, 1
; %bb.6392:                             ;   in Loop: Header=BB6_5278 Depth=2
	s_or_b32 exec_lo, exec_lo, s12
	v_lshrrev_b32_e32 v2, 21, v2
	v_min_i32_e32 v3, 31, v91
	v_cmp_gt_i32_e32 vcc_lo, 32, v91
	v_and_b32_sdwa v42, v92, v44 dst_sel:DWORD dst_unused:UNUSED_PAD src0_sel:BYTE_3 src1_sel:DWORD
	v_lshlrev_b32_e32 v3, 2, v3
	v_cndmask_b32_e32 v2, 3, v2, vcc_lo
	v_and_b32_e32 v3, 0xfc, v3
	v_and_b32_e32 v92, 3, v2
	v_or_b32_e32 v2, v91, v2
	v_or3_b32 v3, v3, v42, v92
	v_cmp_ne_u32_e32 vcc_lo, 0, v2
	v_cndmask_b32_e32 v91, 0, v3, vcc_lo
.LBB6_6393:                             ;   in Loop: Header=BB6_5278 Depth=2
	s_or_b32 exec_lo, exec_lo, s29
.LBB6_6394:                             ;   in Loop: Header=BB6_5278 Depth=2
	s_or_b32 exec_lo, exec_lo, s28
	v_cmp_gt_i16_sdwa s28, v35, v43 src0_sel:BYTE_3 src1_sel:DWORD
	s_andn2_b32 vcc_lo, exec_lo, s27
	s_mov_b32 s12, -1
                                        ; implicit-def: $vgpr92
	s_cbranch_vccnz .LBB6_6408
; %bb.6395:                             ;   in Loop: Header=BB6_5278 Depth=2
	s_mov_b32 s12, 0
	s_and_saveexec_b32 s29, s28
	s_xor_b32 s28, exec_lo, s29
	s_cbranch_execz .LBB6_7828
; %bb.6396:                             ;   in Loop: Header=BB6_5278 Depth=2
	v_cmp_eq_u16_sdwa s40, v35, v44 src0_sel:BYTE_3 src1_sel:DWORD
	s_mov_b32 s12, -1
	s_and_saveexec_b32 s29, s40
; %bb.6397:                             ;   in Loop: Header=BB6_5278 Depth=2
	s_xor_b32 s12, exec_lo, -1
; %bb.6398:                             ;   in Loop: Header=BB6_5278 Depth=2
	s_or_b32 exec_lo, exec_lo, s29
	s_and_b32 s12, s12, exec_lo
	s_or_saveexec_b32 s28, s28
	v_mov_b32_e32 v92, 0x7f800001
	s_xor_b32 exec_lo, exec_lo, s28
	s_cbranch_execnz .LBB6_7829
.LBB6_6399:                             ;   in Loop: Header=BB6_5278 Depth=2
	s_or_b32 exec_lo, exec_lo, s28
	s_and_saveexec_b32 s28, s12
	s_cbranch_execz .LBB6_6401
.LBB6_6400:                             ;   in Loop: Header=BB6_5278 Depth=2
	v_bfe_u32 v2, v35, 24, 2
	v_bfe_u32 v92, v35, 26, 5
	v_ffbh_u32_e32 v3, v2
	v_cmp_eq_u32_e32 vcc_lo, 0, v92
	v_min_u32_e32 v3, 32, v3
	v_subrev_nc_u32_e32 v42, 29, v3
	v_sub_nc_u32_e32 v3, 30, v3
	v_lshlrev_b32_sdwa v42, v42, v35 dst_sel:DWORD dst_unused:UNUSED_PAD src0_sel:DWORD src1_sel:BYTE_3
	v_cndmask_b32_e32 v3, v92, v3, vcc_lo
	v_and_b32_e32 v42, 3, v42
	v_lshl_add_u32 v3, v3, 23, 0x37800000
	v_cndmask_b32_e32 v2, v2, v42, vcc_lo
	v_and_b32_e32 v42, 0x80000000, v35
	v_lshlrev_b32_e32 v2, 21, v2
	v_or3_b32 v92, v42, v3, v2
.LBB6_6401:                             ;   in Loop: Header=BB6_5278 Depth=2
	s_or_b32 exec_lo, exec_lo, s28
	v_cmp_gt_i16_sdwa s28, v29, v43 src0_sel:BYTE_3 src1_sel:DWORD
	s_mov_b32 s12, 0
	s_and_saveexec_b32 s29, s28
	s_xor_b32 s28, exec_lo, s29
	s_cbranch_execz .LBB6_7830
; %bb.6402:                             ;   in Loop: Header=BB6_5278 Depth=2
	v_cmp_eq_u16_sdwa s40, v29, v44 src0_sel:BYTE_3 src1_sel:DWORD
	s_mov_b32 s12, -1
	s_and_saveexec_b32 s29, s40
; %bb.6403:                             ;   in Loop: Header=BB6_5278 Depth=2
	s_xor_b32 s12, exec_lo, -1
; %bb.6404:                             ;   in Loop: Header=BB6_5278 Depth=2
	s_or_b32 exec_lo, exec_lo, s29
	s_and_b32 s12, s12, exec_lo
	s_or_saveexec_b32 s28, s28
	v_mov_b32_e32 v2, 0x7f800001
	s_xor_b32 exec_lo, exec_lo, s28
	s_cbranch_execnz .LBB6_7831
.LBB6_6405:                             ;   in Loop: Header=BB6_5278 Depth=2
	s_or_b32 exec_lo, exec_lo, s28
	s_and_saveexec_b32 s28, s12
	s_cbranch_execz .LBB6_6407
.LBB6_6406:                             ;   in Loop: Header=BB6_5278 Depth=2
	v_bfe_u32 v2, v29, 24, 2
	v_bfe_u32 v93, v29, 26, 5
	v_ffbh_u32_e32 v3, v2
	v_cmp_eq_u32_e32 vcc_lo, 0, v93
	v_min_u32_e32 v3, 32, v3
	v_subrev_nc_u32_e32 v42, 29, v3
	v_sub_nc_u32_e32 v3, 30, v3
	v_lshlrev_b32_sdwa v42, v42, v29 dst_sel:DWORD dst_unused:UNUSED_PAD src0_sel:DWORD src1_sel:BYTE_3
	v_cndmask_b32_e32 v3, v93, v3, vcc_lo
	v_and_b32_e32 v42, 3, v42
	v_lshl_add_u32 v3, v3, 23, 0x37800000
	v_cndmask_b32_e32 v2, v2, v42, vcc_lo
	v_and_b32_e32 v42, 0x80000000, v29
	v_lshlrev_b32_e32 v2, 21, v2
	v_or3_b32 v2, v42, v3, v2
.LBB6_6407:                             ;   in Loop: Header=BB6_5278 Depth=2
	s_or_b32 exec_lo, exec_lo, s28
	v_max_f32_e32 v2, v2, v2
	v_max_f32_e32 v3, v92, v92
	s_mov_b32 s12, 0
	v_max_f32_e32 v92, v3, v2
.LBB6_6408:                             ;   in Loop: Header=BB6_5278 Depth=2
	s_and_b32 vcc_lo, exec_lo, s12
	s_cbranch_vccz .LBB6_6422
; %bb.6409:                             ;   in Loop: Header=BB6_5278 Depth=2
	v_cmp_gt_i16_sdwa s28, v35, v43 src0_sel:BYTE_3 src1_sel:DWORD
	s_mov_b32 s12, 0
	s_and_saveexec_b32 s29, s28
	s_xor_b32 s28, exec_lo, s29
	s_cbranch_execz .LBB6_7832
; %bb.6410:                             ;   in Loop: Header=BB6_5278 Depth=2
	v_cmp_eq_u16_sdwa s40, v35, v44 src0_sel:BYTE_3 src1_sel:DWORD
	s_mov_b32 s12, -1
	s_and_saveexec_b32 s29, s40
; %bb.6411:                             ;   in Loop: Header=BB6_5278 Depth=2
	s_xor_b32 s12, exec_lo, -1
; %bb.6412:                             ;   in Loop: Header=BB6_5278 Depth=2
	s_or_b32 exec_lo, exec_lo, s29
	s_and_b32 s12, s12, exec_lo
	s_or_saveexec_b32 s28, s28
	v_mov_b32_e32 v92, 0x7f800001
	s_xor_b32 exec_lo, exec_lo, s28
	s_cbranch_execnz .LBB6_7833
.LBB6_6413:                             ;   in Loop: Header=BB6_5278 Depth=2
	s_or_b32 exec_lo, exec_lo, s28
	s_and_saveexec_b32 s28, s12
	s_cbranch_execz .LBB6_6415
.LBB6_6414:                             ;   in Loop: Header=BB6_5278 Depth=2
	v_bfe_u32 v2, v35, 24, 2
	v_bfe_u32 v92, v35, 26, 5
	v_ffbh_u32_e32 v3, v2
	v_cmp_eq_u32_e32 vcc_lo, 0, v92
	v_min_u32_e32 v3, 32, v3
	v_subrev_nc_u32_e32 v42, 29, v3
	v_sub_nc_u32_e32 v3, 30, v3
	v_lshlrev_b32_sdwa v42, v42, v35 dst_sel:DWORD dst_unused:UNUSED_PAD src0_sel:DWORD src1_sel:BYTE_3
	v_cndmask_b32_e32 v3, v92, v3, vcc_lo
	v_and_b32_e32 v35, 0x80000000, v35
	v_and_b32_e32 v42, 3, v42
	v_lshl_add_u32 v3, v3, 23, 0x37800000
	v_cndmask_b32_e32 v2, v2, v42, vcc_lo
	v_lshlrev_b32_e32 v2, 21, v2
	v_or3_b32 v92, v35, v3, v2
.LBB6_6415:                             ;   in Loop: Header=BB6_5278 Depth=2
	s_or_b32 exec_lo, exec_lo, s28
	v_cmp_gt_i16_sdwa s28, v29, v43 src0_sel:BYTE_3 src1_sel:DWORD
	s_mov_b32 s12, 0
	s_and_saveexec_b32 s29, s28
	s_xor_b32 s28, exec_lo, s29
	s_cbranch_execz .LBB6_7834
; %bb.6416:                             ;   in Loop: Header=BB6_5278 Depth=2
	v_cmp_eq_u16_sdwa s40, v29, v44 src0_sel:BYTE_3 src1_sel:DWORD
	s_mov_b32 s12, -1
	s_and_saveexec_b32 s29, s40
; %bb.6417:                             ;   in Loop: Header=BB6_5278 Depth=2
	s_xor_b32 s12, exec_lo, -1
; %bb.6418:                             ;   in Loop: Header=BB6_5278 Depth=2
	s_or_b32 exec_lo, exec_lo, s29
	s_and_b32 s12, s12, exec_lo
	s_or_saveexec_b32 s28, s28
	v_mov_b32_e32 v2, 0x7f800001
	s_xor_b32 exec_lo, exec_lo, s28
	s_cbranch_execnz .LBB6_7835
.LBB6_6419:                             ;   in Loop: Header=BB6_5278 Depth=2
	s_or_b32 exec_lo, exec_lo, s28
	s_and_saveexec_b32 s28, s12
	s_cbranch_execz .LBB6_6421
.LBB6_6420:                             ;   in Loop: Header=BB6_5278 Depth=2
	v_bfe_u32 v2, v29, 24, 2
	v_bfe_u32 v42, v29, 26, 5
	v_ffbh_u32_e32 v3, v2
	v_cmp_eq_u32_e32 vcc_lo, 0, v42
	v_min_u32_e32 v3, 32, v3
	v_subrev_nc_u32_e32 v35, 29, v3
	v_sub_nc_u32_e32 v3, 30, v3
	v_lshlrev_b32_sdwa v35, v35, v29 dst_sel:DWORD dst_unused:UNUSED_PAD src0_sel:DWORD src1_sel:BYTE_3
	v_cndmask_b32_e32 v3, v42, v3, vcc_lo
	v_and_b32_e32 v29, 0x80000000, v29
	v_and_b32_e32 v35, 3, v35
	v_lshl_add_u32 v3, v3, 23, 0x37800000
	v_cndmask_b32_e32 v2, v2, v35, vcc_lo
	v_lshlrev_b32_e32 v2, 21, v2
	v_or3_b32 v2, v29, v3, v2
.LBB6_6421:                             ;   in Loop: Header=BB6_5278 Depth=2
	s_or_b32 exec_lo, exec_lo, s28
	v_max_f32_e32 v2, v2, v2
	v_max_f32_e32 v3, v92, v92
	v_min_f32_e32 v92, v3, v2
.LBB6_6422:                             ;   in Loop: Header=BB6_5278 Depth=2
	v_and_b32_e32 v2, 0x7f800000, v92
	v_mov_b32_e32 v29, 0x8000
	s_mov_b32 s28, exec_lo
	v_cmpx_ne_u32_e32 0x7f800000, v2
	s_cbranch_execz .LBB6_6430
; %bb.6423:                             ;   in Loop: Header=BB6_5278 Depth=2
	v_mov_b32_e32 v29, 0
	s_mov_b32 s29, exec_lo
	v_cmpx_ne_u32_e32 0, v92
	s_cbranch_execz .LBB6_6429
; %bb.6424:                             ;   in Loop: Header=BB6_5278 Depth=2
	v_bfe_u32 v2, v92, 23, 8
	v_and_b32_e32 v3, 0x7fffff, v92
	v_sub_nc_u32_e32 v29, 0x70, v2
	v_cmp_gt_u32_e32 vcc_lo, 0x71, v2
	v_or_b32_e32 v35, 0x800000, v3
	v_cndmask_b32_e32 v29, 0, v29, vcc_lo
	v_cmp_eq_u32_e32 vcc_lo, 0, v2
	v_add_nc_u32_e32 v2, 0xffffff91, v2
	v_cndmask_b32_e64 v29, v29, 0x6f, vcc_lo
	v_cndmask_b32_e32 v3, v35, v3, vcc_lo
	v_cndmask_b32_e64 v2, v2, 0xffffff92, vcc_lo
	v_lshl_add_u32 v35, 0x200000, v29, -1
	v_lshrrev_b32_e32 v42, v29, v3
	v_lshlrev_b32_e64 v94, v29, 0x100000
	v_and_b32_e32 v3, v35, v3
	v_bfe_u32 v93, v42, 21, 1
	v_cmp_eq_u32_e64 s12, v3, v94
	v_add_nc_u32_e32 v35, -1, v93
	v_lshrrev_b32_e32 v93, 23, v42
	v_cndmask_b32_e64 v3, 0, v35, s12
	s_mov_b32 s12, exec_lo
	v_add_nc_u32_e32 v35, v3, v42
	v_add_nc_u32_e32 v3, v29, v2
                                        ; implicit-def: $vgpr29
	v_and_b32_e32 v2, 0x1fffff, v35
	v_xor_b32_e32 v35, 1, v93
	v_add_nc_u32_e32 v2, v2, v42
	v_cmpx_ne_u32_e64 v3, v35
	s_xor_b32 s12, exec_lo, s12
; %bb.6425:                             ;   in Loop: Header=BB6_5278 Depth=2
	v_cmp_lt_u32_e32 vcc_lo, 0xffffff, v2
	v_sub_nc_u32_e32 v3, v3, v35
	v_cndmask_b32_e64 v35, 0, 1, vcc_lo
	v_add_co_ci_u32_e64 v29, null, 0, v3, vcc_lo
	v_lshrrev_b32_e32 v2, v35, v2
; %bb.6426:                             ;   in Loop: Header=BB6_5278 Depth=2
	s_andn2_saveexec_b32 s12, s12
; %bb.6427:                             ;   in Loop: Header=BB6_5278 Depth=2
	v_bfe_u32 v29, v2, 23, 1
; %bb.6428:                             ;   in Loop: Header=BB6_5278 Depth=2
	s_or_b32 exec_lo, exec_lo, s12
	v_lshrrev_b32_e32 v2, 21, v2
	v_min_i32_e32 v3, 31, v29
	v_cmp_gt_i32_e32 vcc_lo, 32, v29
	v_and_b32_sdwa v35, v92, v44 dst_sel:DWORD dst_unused:UNUSED_PAD src0_sel:BYTE_3 src1_sel:DWORD
	v_lshlrev_b32_e32 v3, 2, v3
	v_cndmask_b32_e32 v2, 3, v2, vcc_lo
	v_and_b32_e32 v3, 0xfc, v3
	v_and_b32_e32 v42, 3, v2
	v_or_b32_e32 v2, v29, v2
	v_or3_b32 v3, v35, v3, v42
	v_cmp_ne_u32_e32 vcc_lo, 0, v2
	v_lshlrev_b32_e32 v3, 8, v3
	v_cndmask_b32_e32 v29, 0, v3, vcc_lo
.LBB6_6429:                             ;   in Loop: Header=BB6_5278 Depth=2
	s_or_b32 exec_lo, exec_lo, s29
.LBB6_6430:                             ;   in Loop: Header=BB6_5278 Depth=2
	s_or_b32 exec_lo, exec_lo, s28
	v_cmp_gt_i16_sdwa s28, v22, v43 src0_sel:BYTE_0 src1_sel:DWORD
	s_andn2_b32 vcc_lo, exec_lo, s27
	s_mov_b32 s12, -1
                                        ; implicit-def: $vgpr92
	s_cbranch_vccnz .LBB6_6444
; %bb.6431:                             ;   in Loop: Header=BB6_5278 Depth=2
	s_mov_b32 s12, 0
	s_and_saveexec_b32 s29, s28
	s_xor_b32 s28, exec_lo, s29
	s_cbranch_execz .LBB6_7836
; %bb.6432:                             ;   in Loop: Header=BB6_5278 Depth=2
	v_cmp_eq_u16_sdwa s40, v22, v44 src0_sel:BYTE_0 src1_sel:DWORD
	s_mov_b32 s12, -1
	s_and_saveexec_b32 s29, s40
; %bb.6433:                             ;   in Loop: Header=BB6_5278 Depth=2
	s_xor_b32 s12, exec_lo, -1
; %bb.6434:                             ;   in Loop: Header=BB6_5278 Depth=2
	s_or_b32 exec_lo, exec_lo, s29
	s_and_b32 s12, s12, exec_lo
	s_or_saveexec_b32 s28, s28
	v_mov_b32_e32 v35, 0x7f800001
	s_xor_b32 exec_lo, exec_lo, s28
	s_cbranch_execnz .LBB6_7837
.LBB6_6435:                             ;   in Loop: Header=BB6_5278 Depth=2
	s_or_b32 exec_lo, exec_lo, s28
	s_and_saveexec_b32 s28, s12
	s_cbranch_execz .LBB6_6437
.LBB6_6436:                             ;   in Loop: Header=BB6_5278 Depth=2
	v_and_b32_e32 v2, 3, v22
	v_bfe_u32 v42, v22, 2, 5
	v_lshlrev_b32_e32 v92, 24, v22
	v_ffbh_u32_e32 v3, v2
	v_cmp_eq_u32_e32 vcc_lo, 0, v42
	v_min_u32_e32 v3, 32, v3
	v_subrev_nc_u32_e32 v35, 29, v3
	v_sub_nc_u32_e32 v3, 30, v3
	v_lshlrev_b32_e32 v35, v35, v22
	v_cndmask_b32_e32 v3, v42, v3, vcc_lo
	v_and_b32_e32 v35, 3, v35
	v_lshl_add_u32 v3, v3, 23, 0x37800000
	v_cndmask_b32_e32 v2, v2, v35, vcc_lo
	v_and_b32_e32 v35, 0x80000000, v92
	v_lshlrev_b32_e32 v2, 21, v2
	v_or3_b32 v35, v35, v3, v2
.LBB6_6437:                             ;   in Loop: Header=BB6_5278 Depth=2
	s_or_b32 exec_lo, exec_lo, s28
	s_waitcnt vmcnt(1)
	v_cmp_gt_i16_sdwa s28, v18, v43 src0_sel:BYTE_0 src1_sel:DWORD
	s_mov_b32 s12, 0
	s_and_saveexec_b32 s29, s28
	s_xor_b32 s28, exec_lo, s29
	s_cbranch_execz .LBB6_7838
; %bb.6438:                             ;   in Loop: Header=BB6_5278 Depth=2
	v_cmp_eq_u16_sdwa s40, v18, v44 src0_sel:BYTE_0 src1_sel:DWORD
	s_mov_b32 s12, -1
	s_and_saveexec_b32 s29, s40
; %bb.6439:                             ;   in Loop: Header=BB6_5278 Depth=2
	s_xor_b32 s12, exec_lo, -1
; %bb.6440:                             ;   in Loop: Header=BB6_5278 Depth=2
	s_or_b32 exec_lo, exec_lo, s29
	s_and_b32 s12, s12, exec_lo
	s_or_saveexec_b32 s28, s28
	v_mov_b32_e32 v2, 0x7f800001
	s_xor_b32 exec_lo, exec_lo, s28
	s_cbranch_execnz .LBB6_7839
.LBB6_6441:                             ;   in Loop: Header=BB6_5278 Depth=2
	s_or_b32 exec_lo, exec_lo, s28
	s_and_saveexec_b32 s28, s12
	s_cbranch_execz .LBB6_6443
.LBB6_6442:                             ;   in Loop: Header=BB6_5278 Depth=2
	v_and_b32_e32 v2, 3, v18
	v_bfe_u32 v92, v18, 2, 5
	v_lshlrev_b32_e32 v93, 24, v18
	v_ffbh_u32_e32 v3, v2
	v_cmp_eq_u32_e32 vcc_lo, 0, v92
	v_min_u32_e32 v3, 32, v3
	v_subrev_nc_u32_e32 v42, 29, v3
	v_sub_nc_u32_e32 v3, 30, v3
	v_lshlrev_b32_e32 v42, v42, v18
	v_cndmask_b32_e32 v3, v92, v3, vcc_lo
	v_and_b32_e32 v42, 3, v42
	v_lshl_add_u32 v3, v3, 23, 0x37800000
	v_cndmask_b32_e32 v2, v2, v42, vcc_lo
	v_and_b32_e32 v42, 0x80000000, v93
	v_lshlrev_b32_e32 v2, 21, v2
	v_or3_b32 v2, v42, v3, v2
.LBB6_6443:                             ;   in Loop: Header=BB6_5278 Depth=2
	s_or_b32 exec_lo, exec_lo, s28
	v_max_f32_e32 v2, v2, v2
	v_max_f32_e32 v3, v35, v35
	s_mov_b32 s12, 0
	v_max_f32_e32 v92, v3, v2
.LBB6_6444:                             ;   in Loop: Header=BB6_5278 Depth=2
	s_and_b32 vcc_lo, exec_lo, s12
	s_cbranch_vccz .LBB6_6458
; %bb.6445:                             ;   in Loop: Header=BB6_5278 Depth=2
	v_cmp_gt_i16_sdwa s28, v22, v43 src0_sel:BYTE_0 src1_sel:DWORD
	s_mov_b32 s12, 0
	s_and_saveexec_b32 s29, s28
	s_xor_b32 s28, exec_lo, s29
	s_cbranch_execz .LBB6_7840
; %bb.6446:                             ;   in Loop: Header=BB6_5278 Depth=2
	v_cmp_eq_u16_sdwa s40, v22, v44 src0_sel:BYTE_0 src1_sel:DWORD
	s_mov_b32 s12, -1
	s_and_saveexec_b32 s29, s40
; %bb.6447:                             ;   in Loop: Header=BB6_5278 Depth=2
	s_xor_b32 s12, exec_lo, -1
; %bb.6448:                             ;   in Loop: Header=BB6_5278 Depth=2
	s_or_b32 exec_lo, exec_lo, s29
	s_and_b32 s12, s12, exec_lo
	s_or_saveexec_b32 s28, s28
	v_mov_b32_e32 v35, 0x7f800001
	s_xor_b32 exec_lo, exec_lo, s28
	s_cbranch_execnz .LBB6_7841
.LBB6_6449:                             ;   in Loop: Header=BB6_5278 Depth=2
	s_or_b32 exec_lo, exec_lo, s28
	s_and_saveexec_b32 s28, s12
	s_cbranch_execz .LBB6_6451
.LBB6_6450:                             ;   in Loop: Header=BB6_5278 Depth=2
	v_and_b32_e32 v2, 3, v22
	v_bfe_u32 v42, v22, 2, 5
	v_lshlrev_b32_e32 v92, 24, v22
	v_ffbh_u32_e32 v3, v2
	v_cmp_eq_u32_e32 vcc_lo, 0, v42
	v_min_u32_e32 v3, 32, v3
	v_subrev_nc_u32_e32 v35, 29, v3
	v_sub_nc_u32_e32 v3, 30, v3
	v_lshlrev_b32_e32 v35, v35, v22
	v_cndmask_b32_e32 v3, v42, v3, vcc_lo
	v_and_b32_e32 v35, 3, v35
	v_lshl_add_u32 v3, v3, 23, 0x37800000
	v_cndmask_b32_e32 v2, v2, v35, vcc_lo
	v_and_b32_e32 v35, 0x80000000, v92
	v_lshlrev_b32_e32 v2, 21, v2
	v_or3_b32 v35, v35, v3, v2
.LBB6_6451:                             ;   in Loop: Header=BB6_5278 Depth=2
	s_or_b32 exec_lo, exec_lo, s28
	s_waitcnt vmcnt(1)
	v_cmp_gt_i16_sdwa s28, v18, v43 src0_sel:BYTE_0 src1_sel:DWORD
	s_mov_b32 s12, 0
	s_and_saveexec_b32 s29, s28
	s_xor_b32 s28, exec_lo, s29
	s_cbranch_execz .LBB6_7842
; %bb.6452:                             ;   in Loop: Header=BB6_5278 Depth=2
	v_cmp_eq_u16_sdwa s40, v18, v44 src0_sel:BYTE_0 src1_sel:DWORD
	s_mov_b32 s12, -1
	s_and_saveexec_b32 s29, s40
; %bb.6453:                             ;   in Loop: Header=BB6_5278 Depth=2
	s_xor_b32 s12, exec_lo, -1
; %bb.6454:                             ;   in Loop: Header=BB6_5278 Depth=2
	s_or_b32 exec_lo, exec_lo, s29
	s_and_b32 s12, s12, exec_lo
	s_or_saveexec_b32 s28, s28
	v_mov_b32_e32 v2, 0x7f800001
	s_xor_b32 exec_lo, exec_lo, s28
	s_cbranch_execnz .LBB6_7843
.LBB6_6455:                             ;   in Loop: Header=BB6_5278 Depth=2
	s_or_b32 exec_lo, exec_lo, s28
	s_and_saveexec_b32 s28, s12
	s_cbranch_execz .LBB6_6457
.LBB6_6456:                             ;   in Loop: Header=BB6_5278 Depth=2
	v_and_b32_e32 v2, 3, v18
	v_bfe_u32 v92, v18, 2, 5
	v_lshlrev_b32_e32 v93, 24, v18
	v_ffbh_u32_e32 v3, v2
	v_cmp_eq_u32_e32 vcc_lo, 0, v92
	v_min_u32_e32 v3, 32, v3
	v_subrev_nc_u32_e32 v42, 29, v3
	v_sub_nc_u32_e32 v3, 30, v3
	v_lshlrev_b32_e32 v42, v42, v18
	v_cndmask_b32_e32 v3, v92, v3, vcc_lo
	v_and_b32_e32 v42, 3, v42
	v_lshl_add_u32 v3, v3, 23, 0x37800000
	v_cndmask_b32_e32 v2, v2, v42, vcc_lo
	v_and_b32_e32 v42, 0x80000000, v93
	v_lshlrev_b32_e32 v2, 21, v2
	v_or3_b32 v2, v42, v3, v2
.LBB6_6457:                             ;   in Loop: Header=BB6_5278 Depth=2
	s_or_b32 exec_lo, exec_lo, s28
	v_max_f32_e32 v2, v2, v2
	v_max_f32_e32 v3, v35, v35
	v_min_f32_e32 v92, v3, v2
.LBB6_6458:                             ;   in Loop: Header=BB6_5278 Depth=2
	v_and_b32_e32 v2, 0x7f800000, v92
	v_mov_b32_e32 v35, 0x80
	s_mov_b32 s28, exec_lo
	v_cmpx_ne_u32_e32 0x7f800000, v2
	s_cbranch_execz .LBB6_6466
; %bb.6459:                             ;   in Loop: Header=BB6_5278 Depth=2
	v_mov_b32_e32 v35, 0
	s_mov_b32 s29, exec_lo
	v_cmpx_ne_u32_e32 0, v92
	s_cbranch_execz .LBB6_6465
; %bb.6460:                             ;   in Loop: Header=BB6_5278 Depth=2
	v_bfe_u32 v2, v92, 23, 8
	v_and_b32_e32 v3, 0x7fffff, v92
	v_sub_nc_u32_e32 v35, 0x70, v2
	v_cmp_gt_u32_e32 vcc_lo, 0x71, v2
	v_or_b32_e32 v42, 0x800000, v3
	v_cndmask_b32_e32 v35, 0, v35, vcc_lo
	v_cmp_eq_u32_e32 vcc_lo, 0, v2
	v_add_nc_u32_e32 v2, 0xffffff91, v2
	v_cndmask_b32_e64 v35, v35, 0x6f, vcc_lo
	v_cndmask_b32_e32 v3, v42, v3, vcc_lo
	v_cndmask_b32_e64 v2, v2, 0xffffff92, vcc_lo
	v_lshl_add_u32 v42, 0x200000, v35, -1
	v_lshrrev_b32_e32 v93, v35, v3
	v_lshlrev_b32_e64 v95, v35, 0x100000
	v_and_b32_e32 v3, v42, v3
	v_bfe_u32 v94, v93, 21, 1
	v_cmp_eq_u32_e64 s12, v3, v95
	v_add_nc_u32_e32 v42, -1, v94
	v_lshrrev_b32_e32 v94, 23, v93
	v_cndmask_b32_e64 v3, 0, v42, s12
	s_mov_b32 s12, exec_lo
	v_add_nc_u32_e32 v42, v3, v93
	v_add_nc_u32_e32 v3, v35, v2
                                        ; implicit-def: $vgpr35
	v_and_b32_e32 v2, 0x1fffff, v42
	v_xor_b32_e32 v42, 1, v94
	v_add_nc_u32_e32 v2, v2, v93
	v_cmpx_ne_u32_e64 v3, v42
	s_xor_b32 s12, exec_lo, s12
; %bb.6461:                             ;   in Loop: Header=BB6_5278 Depth=2
	v_cmp_lt_u32_e32 vcc_lo, 0xffffff, v2
	v_sub_nc_u32_e32 v3, v3, v42
	v_cndmask_b32_e64 v42, 0, 1, vcc_lo
	v_add_co_ci_u32_e64 v35, null, 0, v3, vcc_lo
	v_lshrrev_b32_e32 v2, v42, v2
; %bb.6462:                             ;   in Loop: Header=BB6_5278 Depth=2
	s_andn2_saveexec_b32 s12, s12
; %bb.6463:                             ;   in Loop: Header=BB6_5278 Depth=2
	v_bfe_u32 v35, v2, 23, 1
; %bb.6464:                             ;   in Loop: Header=BB6_5278 Depth=2
	s_or_b32 exec_lo, exec_lo, s12
	v_lshrrev_b32_e32 v2, 21, v2
	v_min_i32_e32 v3, 31, v35
	v_cmp_gt_i32_e32 vcc_lo, 32, v35
	v_and_b32_sdwa v42, v92, v44 dst_sel:DWORD dst_unused:UNUSED_PAD src0_sel:BYTE_3 src1_sel:DWORD
	v_lshlrev_b32_e32 v3, 2, v3
	v_cndmask_b32_e32 v2, 3, v2, vcc_lo
	v_and_b32_e32 v3, 0xfc, v3
	v_and_b32_e32 v92, 3, v2
	v_or_b32_e32 v2, v35, v2
	v_or3_b32 v3, v3, v42, v92
	v_cmp_ne_u32_e32 vcc_lo, 0, v2
	v_cndmask_b32_e32 v35, 0, v3, vcc_lo
.LBB6_6465:                             ;   in Loop: Header=BB6_5278 Depth=2
	s_or_b32 exec_lo, exec_lo, s29
.LBB6_6466:                             ;   in Loop: Header=BB6_5278 Depth=2
	s_or_b32 exec_lo, exec_lo, s28
	v_cmp_gt_i16_sdwa s28, v22, v43 src0_sel:BYTE_1 src1_sel:DWORD
	s_andn2_b32 vcc_lo, exec_lo, s27
	s_mov_b32 s12, -1
                                        ; implicit-def: $vgpr93
	s_cbranch_vccnz .LBB6_6480
; %bb.6467:                             ;   in Loop: Header=BB6_5278 Depth=2
	s_mov_b32 s12, 0
	s_and_saveexec_b32 s29, s28
	s_xor_b32 s28, exec_lo, s29
	s_cbranch_execz .LBB6_7844
; %bb.6468:                             ;   in Loop: Header=BB6_5278 Depth=2
	v_cmp_eq_u16_sdwa s40, v22, v44 src0_sel:BYTE_1 src1_sel:DWORD
	s_mov_b32 s12, -1
	s_and_saveexec_b32 s29, s40
; %bb.6469:                             ;   in Loop: Header=BB6_5278 Depth=2
	s_xor_b32 s12, exec_lo, -1
; %bb.6470:                             ;   in Loop: Header=BB6_5278 Depth=2
	s_or_b32 exec_lo, exec_lo, s29
	s_and_b32 s12, s12, exec_lo
	s_or_saveexec_b32 s28, s28
	v_mov_b32_e32 v92, 0x7f800001
	s_xor_b32 exec_lo, exec_lo, s28
	s_cbranch_execnz .LBB6_7845
.LBB6_6471:                             ;   in Loop: Header=BB6_5278 Depth=2
	s_or_b32 exec_lo, exec_lo, s28
	s_and_saveexec_b32 s28, s12
	s_cbranch_execz .LBB6_6473
.LBB6_6472:                             ;   in Loop: Header=BB6_5278 Depth=2
	v_and_b32_sdwa v2, v45, v22 dst_sel:DWORD dst_unused:UNUSED_PAD src0_sel:DWORD src1_sel:BYTE_1
	v_and_b32_e32 v3, 3, v2
	v_bfe_u32 v93, v2, 2, 5
	v_ffbh_u32_e32 v42, v3
	v_cmp_eq_u32_e32 vcc_lo, 0, v93
	v_min_u32_e32 v42, 32, v42
	v_subrev_nc_u32_e32 v92, 29, v42
	v_sub_nc_u32_e32 v42, 30, v42
	v_lshlrev_b32_e32 v2, v92, v2
	v_lshlrev_b32_e32 v92, 16, v22
	v_cndmask_b32_e32 v42, v93, v42, vcc_lo
	v_and_b32_e32 v2, 3, v2
	v_lshl_add_u32 v42, v42, 23, 0x37800000
	v_cndmask_b32_e32 v2, v3, v2, vcc_lo
	v_and_b32_e32 v3, 0x80000000, v92
	v_lshlrev_b32_e32 v2, 21, v2
	v_or3_b32 v92, v3, v42, v2
.LBB6_6473:                             ;   in Loop: Header=BB6_5278 Depth=2
	s_or_b32 exec_lo, exec_lo, s28
	s_waitcnt vmcnt(1)
	v_cmp_gt_i16_sdwa s28, v18, v43 src0_sel:BYTE_1 src1_sel:DWORD
	s_mov_b32 s12, 0
	s_and_saveexec_b32 s29, s28
	s_xor_b32 s28, exec_lo, s29
	s_cbranch_execz .LBB6_7846
; %bb.6474:                             ;   in Loop: Header=BB6_5278 Depth=2
	v_cmp_eq_u16_sdwa s40, v18, v44 src0_sel:BYTE_1 src1_sel:DWORD
	s_mov_b32 s12, -1
	s_and_saveexec_b32 s29, s40
; %bb.6475:                             ;   in Loop: Header=BB6_5278 Depth=2
	s_xor_b32 s12, exec_lo, -1
; %bb.6476:                             ;   in Loop: Header=BB6_5278 Depth=2
	s_or_b32 exec_lo, exec_lo, s29
	s_and_b32 s12, s12, exec_lo
	s_or_saveexec_b32 s28, s28
	v_mov_b32_e32 v2, 0x7f800001
	s_xor_b32 exec_lo, exec_lo, s28
	s_cbranch_execnz .LBB6_7847
.LBB6_6477:                             ;   in Loop: Header=BB6_5278 Depth=2
	s_or_b32 exec_lo, exec_lo, s28
	s_and_saveexec_b32 s28, s12
	s_cbranch_execz .LBB6_6479
.LBB6_6478:                             ;   in Loop: Header=BB6_5278 Depth=2
	v_and_b32_sdwa v2, v45, v18 dst_sel:DWORD dst_unused:UNUSED_PAD src0_sel:DWORD src1_sel:BYTE_1
	v_and_b32_e32 v3, 3, v2
	v_bfe_u32 v94, v2, 2, 5
	v_ffbh_u32_e32 v42, v3
	v_cmp_eq_u32_e32 vcc_lo, 0, v94
	v_min_u32_e32 v42, 32, v42
	v_subrev_nc_u32_e32 v93, 29, v42
	v_sub_nc_u32_e32 v42, 30, v42
	v_lshlrev_b32_e32 v2, v93, v2
	v_lshlrev_b32_e32 v93, 16, v18
	v_cndmask_b32_e32 v42, v94, v42, vcc_lo
	v_and_b32_e32 v2, 3, v2
	v_lshl_add_u32 v42, v42, 23, 0x37800000
	v_cndmask_b32_e32 v2, v3, v2, vcc_lo
	v_and_b32_e32 v3, 0x80000000, v93
	v_lshlrev_b32_e32 v2, 21, v2
	v_or3_b32 v2, v3, v42, v2
.LBB6_6479:                             ;   in Loop: Header=BB6_5278 Depth=2
	s_or_b32 exec_lo, exec_lo, s28
	v_max_f32_e32 v2, v2, v2
	v_max_f32_e32 v3, v92, v92
	s_mov_b32 s12, 0
	v_max_f32_e32 v93, v3, v2
.LBB6_6480:                             ;   in Loop: Header=BB6_5278 Depth=2
	s_and_b32 vcc_lo, exec_lo, s12
	s_cbranch_vccz .LBB6_6494
; %bb.6481:                             ;   in Loop: Header=BB6_5278 Depth=2
	v_cmp_gt_i16_sdwa s28, v22, v43 src0_sel:BYTE_1 src1_sel:DWORD
	s_mov_b32 s12, 0
	s_and_saveexec_b32 s29, s28
	s_xor_b32 s28, exec_lo, s29
	s_cbranch_execz .LBB6_7848
; %bb.6482:                             ;   in Loop: Header=BB6_5278 Depth=2
	v_cmp_eq_u16_sdwa s40, v22, v44 src0_sel:BYTE_1 src1_sel:DWORD
	s_mov_b32 s12, -1
	s_and_saveexec_b32 s29, s40
; %bb.6483:                             ;   in Loop: Header=BB6_5278 Depth=2
	s_xor_b32 s12, exec_lo, -1
; %bb.6484:                             ;   in Loop: Header=BB6_5278 Depth=2
	s_or_b32 exec_lo, exec_lo, s29
	s_and_b32 s12, s12, exec_lo
	s_or_saveexec_b32 s28, s28
	v_mov_b32_e32 v92, 0x7f800001
	s_xor_b32 exec_lo, exec_lo, s28
	s_cbranch_execnz .LBB6_7849
.LBB6_6485:                             ;   in Loop: Header=BB6_5278 Depth=2
	s_or_b32 exec_lo, exec_lo, s28
	s_and_saveexec_b32 s28, s12
	s_cbranch_execz .LBB6_6487
.LBB6_6486:                             ;   in Loop: Header=BB6_5278 Depth=2
	v_and_b32_sdwa v2, v45, v22 dst_sel:DWORD dst_unused:UNUSED_PAD src0_sel:DWORD src1_sel:BYTE_1
	v_and_b32_e32 v3, 3, v2
	v_bfe_u32 v93, v2, 2, 5
	v_ffbh_u32_e32 v42, v3
	v_cmp_eq_u32_e32 vcc_lo, 0, v93
	v_min_u32_e32 v42, 32, v42
	v_subrev_nc_u32_e32 v92, 29, v42
	v_sub_nc_u32_e32 v42, 30, v42
	v_lshlrev_b32_e32 v2, v92, v2
	v_lshlrev_b32_e32 v92, 16, v22
	v_cndmask_b32_e32 v42, v93, v42, vcc_lo
	v_and_b32_e32 v2, 3, v2
	v_lshl_add_u32 v42, v42, 23, 0x37800000
	v_cndmask_b32_e32 v2, v3, v2, vcc_lo
	v_and_b32_e32 v3, 0x80000000, v92
	v_lshlrev_b32_e32 v2, 21, v2
	v_or3_b32 v92, v3, v42, v2
.LBB6_6487:                             ;   in Loop: Header=BB6_5278 Depth=2
	s_or_b32 exec_lo, exec_lo, s28
	s_waitcnt vmcnt(1)
	v_cmp_gt_i16_sdwa s28, v18, v43 src0_sel:BYTE_1 src1_sel:DWORD
	s_mov_b32 s12, 0
	s_and_saveexec_b32 s29, s28
	s_xor_b32 s28, exec_lo, s29
	s_cbranch_execz .LBB6_7850
; %bb.6488:                             ;   in Loop: Header=BB6_5278 Depth=2
	v_cmp_eq_u16_sdwa s40, v18, v44 src0_sel:BYTE_1 src1_sel:DWORD
	s_mov_b32 s12, -1
	s_and_saveexec_b32 s29, s40
; %bb.6489:                             ;   in Loop: Header=BB6_5278 Depth=2
	s_xor_b32 s12, exec_lo, -1
; %bb.6490:                             ;   in Loop: Header=BB6_5278 Depth=2
	s_or_b32 exec_lo, exec_lo, s29
	s_and_b32 s12, s12, exec_lo
	s_or_saveexec_b32 s28, s28
	v_mov_b32_e32 v2, 0x7f800001
	s_xor_b32 exec_lo, exec_lo, s28
	s_cbranch_execnz .LBB6_7851
.LBB6_6491:                             ;   in Loop: Header=BB6_5278 Depth=2
	s_or_b32 exec_lo, exec_lo, s28
	s_and_saveexec_b32 s28, s12
	s_cbranch_execz .LBB6_6493
.LBB6_6492:                             ;   in Loop: Header=BB6_5278 Depth=2
	v_and_b32_sdwa v2, v45, v18 dst_sel:DWORD dst_unused:UNUSED_PAD src0_sel:DWORD src1_sel:BYTE_1
	v_and_b32_e32 v3, 3, v2
	v_bfe_u32 v94, v2, 2, 5
	v_ffbh_u32_e32 v42, v3
	v_cmp_eq_u32_e32 vcc_lo, 0, v94
	v_min_u32_e32 v42, 32, v42
	v_subrev_nc_u32_e32 v93, 29, v42
	v_sub_nc_u32_e32 v42, 30, v42
	v_lshlrev_b32_e32 v2, v93, v2
	v_lshlrev_b32_e32 v93, 16, v18
	v_cndmask_b32_e32 v42, v94, v42, vcc_lo
	v_and_b32_e32 v2, 3, v2
	v_lshl_add_u32 v42, v42, 23, 0x37800000
	v_cndmask_b32_e32 v2, v3, v2, vcc_lo
	v_and_b32_e32 v3, 0x80000000, v93
	v_lshlrev_b32_e32 v2, 21, v2
	v_or3_b32 v2, v3, v42, v2
.LBB6_6493:                             ;   in Loop: Header=BB6_5278 Depth=2
	s_or_b32 exec_lo, exec_lo, s28
	v_max_f32_e32 v2, v2, v2
	v_max_f32_e32 v3, v92, v92
	v_min_f32_e32 v93, v3, v2
.LBB6_6494:                             ;   in Loop: Header=BB6_5278 Depth=2
	v_and_b32_e32 v2, 0x7f800000, v93
	v_mov_b32_e32 v92, 0x8000
	s_mov_b32 s28, exec_lo
	v_cmpx_ne_u32_e32 0x7f800000, v2
	s_cbranch_execz .LBB6_6502
; %bb.6495:                             ;   in Loop: Header=BB6_5278 Depth=2
	v_mov_b32_e32 v92, 0
	s_mov_b32 s29, exec_lo
	v_cmpx_ne_u32_e32 0, v93
	s_cbranch_execz .LBB6_6501
; %bb.6496:                             ;   in Loop: Header=BB6_5278 Depth=2
	v_bfe_u32 v2, v93, 23, 8
	v_and_b32_e32 v3, 0x7fffff, v93
	v_sub_nc_u32_e32 v42, 0x70, v2
	v_cmp_gt_u32_e32 vcc_lo, 0x71, v2
	v_or_b32_e32 v92, 0x800000, v3
	v_cndmask_b32_e32 v42, 0, v42, vcc_lo
	v_cmp_eq_u32_e32 vcc_lo, 0, v2
	v_add_nc_u32_e32 v2, 0xffffff91, v2
	v_cndmask_b32_e64 v42, v42, 0x6f, vcc_lo
	v_cndmask_b32_e32 v3, v92, v3, vcc_lo
	v_cndmask_b32_e64 v2, v2, 0xffffff92, vcc_lo
	v_lshl_add_u32 v94, 0x200000, v42, -1
	v_lshrrev_b32_e32 v92, v42, v3
	v_lshlrev_b32_e64 v104, v42, 0x100000
	v_and_b32_e32 v3, v94, v3
	v_bfe_u32 v95, v92, 21, 1
	v_cmp_eq_u32_e64 s12, v3, v104
	v_add_nc_u32_e32 v94, -1, v95
	v_lshrrev_b32_e32 v95, 23, v92
	v_cndmask_b32_e64 v3, 0, v94, s12
	s_mov_b32 s12, exec_lo
	v_add_nc_u32_e32 v94, v3, v92
	v_add_nc_u32_e32 v3, v42, v2
	v_xor_b32_e32 v42, 1, v95
	v_and_b32_e32 v2, 0x1fffff, v94
	v_add_nc_u32_e32 v2, v2, v92
                                        ; implicit-def: $vgpr92
	v_cmpx_ne_u32_e64 v3, v42
	s_xor_b32 s12, exec_lo, s12
; %bb.6497:                             ;   in Loop: Header=BB6_5278 Depth=2
	v_cmp_lt_u32_e32 vcc_lo, 0xffffff, v2
	v_sub_nc_u32_e32 v3, v3, v42
	v_cndmask_b32_e64 v42, 0, 1, vcc_lo
	v_add_co_ci_u32_e64 v92, null, 0, v3, vcc_lo
	v_lshrrev_b32_e32 v2, v42, v2
; %bb.6498:                             ;   in Loop: Header=BB6_5278 Depth=2
	s_andn2_saveexec_b32 s12, s12
; %bb.6499:                             ;   in Loop: Header=BB6_5278 Depth=2
	v_bfe_u32 v92, v2, 23, 1
; %bb.6500:                             ;   in Loop: Header=BB6_5278 Depth=2
	s_or_b32 exec_lo, exec_lo, s12
	v_lshrrev_b32_e32 v2, 21, v2
	v_min_i32_e32 v3, 31, v92
	v_cmp_gt_i32_e32 vcc_lo, 32, v92
	v_and_b32_sdwa v42, v93, v44 dst_sel:DWORD dst_unused:UNUSED_PAD src0_sel:BYTE_3 src1_sel:DWORD
	v_lshlrev_b32_e32 v3, 2, v3
	v_cndmask_b32_e32 v2, 3, v2, vcc_lo
	v_and_b32_e32 v3, 0xfc, v3
	v_and_b32_e32 v93, 3, v2
	v_or_b32_e32 v2, v92, v2
	v_or3_b32 v3, v42, v3, v93
	v_cmp_ne_u32_e32 vcc_lo, 0, v2
	v_lshlrev_b32_e32 v3, 8, v3
	v_cndmask_b32_e32 v92, 0, v3, vcc_lo
.LBB6_6501:                             ;   in Loop: Header=BB6_5278 Depth=2
	s_or_b32 exec_lo, exec_lo, s29
.LBB6_6502:                             ;   in Loop: Header=BB6_5278 Depth=2
	s_or_b32 exec_lo, exec_lo, s28
	v_and_b32_sdwa v93, v22, v46 dst_sel:DWORD dst_unused:UNUSED_PAD src0_sel:WORD_1 src1_sel:DWORD
	s_andn2_b32 vcc_lo, exec_lo, s27
	s_mov_b32 s28, -1
                                        ; implicit-def: $vgpr94
	v_cmp_lt_i16_e64 s12, 0x7f, v93
	s_cbranch_vccnz .LBB6_6516
; %bb.6503:                             ;   in Loop: Header=BB6_5278 Depth=2
	s_mov_b32 s28, 0
	s_and_saveexec_b32 s29, s12
	s_xor_b32 s12, exec_lo, s29
	s_cbranch_execz .LBB6_7852
; %bb.6504:                             ;   in Loop: Header=BB6_5278 Depth=2
	s_mov_b32 s28, -1
	s_mov_b32 s29, exec_lo
	v_cmpx_eq_u16_e32 0x80, v93
; %bb.6505:                             ;   in Loop: Header=BB6_5278 Depth=2
	s_xor_b32 s28, exec_lo, -1
; %bb.6506:                             ;   in Loop: Header=BB6_5278 Depth=2
	s_or_b32 exec_lo, exec_lo, s29
	s_and_b32 s28, s28, exec_lo
	s_or_saveexec_b32 s12, s12
	v_mov_b32_e32 v94, 0x7f800001
	s_xor_b32 exec_lo, exec_lo, s12
	s_cbranch_execnz .LBB6_7853
.LBB6_6507:                             ;   in Loop: Header=BB6_5278 Depth=2
	s_or_b32 exec_lo, exec_lo, s12
	s_and_saveexec_b32 s12, s28
	s_cbranch_execz .LBB6_6509
.LBB6_6508:                             ;   in Loop: Header=BB6_5278 Depth=2
	v_bfe_u32 v2, v22, 16, 2
	v_bfe_u32 v94, v22, 18, 5
	v_lshlrev_b32_sdwa v95, v47, v22 dst_sel:DWORD dst_unused:UNUSED_PAD src0_sel:DWORD src1_sel:WORD_1
	v_ffbh_u32_e32 v3, v2
	v_cmp_eq_u32_e32 vcc_lo, 0, v94
	v_min_u32_e32 v3, 32, v3
	v_subrev_nc_u32_e32 v42, 29, v3
	v_sub_nc_u32_e32 v3, 30, v3
	v_lshlrev_b32_sdwa v42, v42, v22 dst_sel:DWORD dst_unused:UNUSED_PAD src0_sel:DWORD src1_sel:WORD_1
	v_cndmask_b32_e32 v3, v94, v3, vcc_lo
	v_and_b32_e32 v42, 3, v42
	v_lshl_add_u32 v3, v3, 23, 0x37800000
	v_cndmask_b32_e32 v2, v2, v42, vcc_lo
	v_and_b32_e32 v42, 0x80000000, v95
	v_lshlrev_b32_e32 v2, 21, v2
	v_or3_b32 v94, v42, v3, v2
.LBB6_6509:                             ;   in Loop: Header=BB6_5278 Depth=2
	s_or_b32 exec_lo, exec_lo, s12
	s_waitcnt vmcnt(1)
	v_and_b32_sdwa v3, v18, v46 dst_sel:DWORD dst_unused:UNUSED_PAD src0_sel:WORD_1 src1_sel:DWORD
	s_mov_b32 s12, 0
	s_mov_b32 s28, exec_lo
	v_cmpx_lt_i16_e32 0x7f, v3
	s_xor_b32 s28, exec_lo, s28
	s_cbranch_execz .LBB6_7854
; %bb.6510:                             ;   in Loop: Header=BB6_5278 Depth=2
	s_mov_b32 s12, -1
	s_mov_b32 s29, exec_lo
	v_cmpx_eq_u16_e32 0x80, v3
; %bb.6511:                             ;   in Loop: Header=BB6_5278 Depth=2
	s_xor_b32 s12, exec_lo, -1
; %bb.6512:                             ;   in Loop: Header=BB6_5278 Depth=2
	s_or_b32 exec_lo, exec_lo, s29
	s_and_b32 s12, s12, exec_lo
                                        ; implicit-def: $vgpr3
	s_or_saveexec_b32 s28, s28
	v_mov_b32_e32 v2, 0x7f800001
	s_xor_b32 exec_lo, exec_lo, s28
	s_cbranch_execnz .LBB6_7855
.LBB6_6513:                             ;   in Loop: Header=BB6_5278 Depth=2
	s_or_b32 exec_lo, exec_lo, s28
	s_and_saveexec_b32 s28, s12
	s_cbranch_execz .LBB6_6515
.LBB6_6514:                             ;   in Loop: Header=BB6_5278 Depth=2
	v_bfe_u32 v2, v18, 16, 2
	v_bfe_u32 v95, v18, 18, 5
	v_lshlrev_b32_sdwa v104, v47, v18 dst_sel:DWORD dst_unused:UNUSED_PAD src0_sel:DWORD src1_sel:WORD_1
	v_ffbh_u32_e32 v3, v2
	v_cmp_eq_u32_e32 vcc_lo, 0, v95
	v_min_u32_e32 v3, 32, v3
	v_subrev_nc_u32_e32 v42, 29, v3
	v_sub_nc_u32_e32 v3, 30, v3
	v_lshlrev_b32_sdwa v42, v42, v18 dst_sel:DWORD dst_unused:UNUSED_PAD src0_sel:DWORD src1_sel:WORD_1
	v_cndmask_b32_e32 v3, v95, v3, vcc_lo
	v_and_b32_e32 v42, 3, v42
	v_lshl_add_u32 v3, v3, 23, 0x37800000
	v_cndmask_b32_e32 v2, v2, v42, vcc_lo
	v_and_b32_e32 v42, 0x80000000, v104
	v_lshlrev_b32_e32 v2, 21, v2
	v_or3_b32 v2, v42, v3, v2
.LBB6_6515:                             ;   in Loop: Header=BB6_5278 Depth=2
	s_or_b32 exec_lo, exec_lo, s28
	v_max_f32_e32 v2, v2, v2
	v_max_f32_e32 v3, v94, v94
	s_mov_b32 s28, 0
	v_max_f32_e32 v94, v3, v2
.LBB6_6516:                             ;   in Loop: Header=BB6_5278 Depth=2
	s_and_b32 vcc_lo, exec_lo, s28
	s_cbranch_vccz .LBB6_6530
; %bb.6517:                             ;   in Loop: Header=BB6_5278 Depth=2
	s_mov_b32 s12, 0
	s_mov_b32 s28, exec_lo
	v_cmpx_lt_i16_e32 0x7f, v93
	s_xor_b32 s28, exec_lo, s28
	s_cbranch_execz .LBB6_7856
; %bb.6518:                             ;   in Loop: Header=BB6_5278 Depth=2
	s_mov_b32 s12, -1
	s_mov_b32 s29, exec_lo
	v_cmpx_eq_u16_e32 0x80, v93
; %bb.6519:                             ;   in Loop: Header=BB6_5278 Depth=2
	s_xor_b32 s12, exec_lo, -1
; %bb.6520:                             ;   in Loop: Header=BB6_5278 Depth=2
	s_or_b32 exec_lo, exec_lo, s29
	s_and_b32 s12, s12, exec_lo
                                        ; implicit-def: $vgpr93
	s_or_saveexec_b32 s28, s28
	v_mov_b32_e32 v94, 0x7f800001
	s_xor_b32 exec_lo, exec_lo, s28
	s_cbranch_execnz .LBB6_7857
.LBB6_6521:                             ;   in Loop: Header=BB6_5278 Depth=2
	s_or_b32 exec_lo, exec_lo, s28
	s_and_saveexec_b32 s28, s12
	s_cbranch_execz .LBB6_6523
.LBB6_6522:                             ;   in Loop: Header=BB6_5278 Depth=2
	v_bfe_u32 v2, v22, 16, 2
	v_bfe_u32 v93, v22, 18, 5
	v_lshlrev_b32_sdwa v94, v47, v22 dst_sel:DWORD dst_unused:UNUSED_PAD src0_sel:DWORD src1_sel:WORD_1
	v_ffbh_u32_e32 v3, v2
	v_cmp_eq_u32_e32 vcc_lo, 0, v93
	v_min_u32_e32 v3, 32, v3
	v_subrev_nc_u32_e32 v42, 29, v3
	v_sub_nc_u32_e32 v3, 30, v3
	v_lshlrev_b32_sdwa v42, v42, v22 dst_sel:DWORD dst_unused:UNUSED_PAD src0_sel:DWORD src1_sel:WORD_1
	v_cndmask_b32_e32 v3, v93, v3, vcc_lo
	v_and_b32_e32 v42, 3, v42
	v_lshl_add_u32 v3, v3, 23, 0x37800000
	v_cndmask_b32_e32 v2, v2, v42, vcc_lo
	v_and_b32_e32 v42, 0x80000000, v94
	v_lshlrev_b32_e32 v2, 21, v2
	v_or3_b32 v94, v42, v3, v2
.LBB6_6523:                             ;   in Loop: Header=BB6_5278 Depth=2
	s_or_b32 exec_lo, exec_lo, s28
	s_waitcnt vmcnt(1)
	v_and_b32_sdwa v3, v18, v46 dst_sel:DWORD dst_unused:UNUSED_PAD src0_sel:WORD_1 src1_sel:DWORD
	s_mov_b32 s12, 0
	s_mov_b32 s28, exec_lo
	v_cmpx_lt_i16_e32 0x7f, v3
	s_xor_b32 s28, exec_lo, s28
	s_cbranch_execz .LBB6_7858
; %bb.6524:                             ;   in Loop: Header=BB6_5278 Depth=2
	s_mov_b32 s12, -1
	s_mov_b32 s29, exec_lo
	v_cmpx_eq_u16_e32 0x80, v3
; %bb.6525:                             ;   in Loop: Header=BB6_5278 Depth=2
	s_xor_b32 s12, exec_lo, -1
; %bb.6526:                             ;   in Loop: Header=BB6_5278 Depth=2
	s_or_b32 exec_lo, exec_lo, s29
	s_and_b32 s12, s12, exec_lo
                                        ; implicit-def: $vgpr3
	s_or_saveexec_b32 s28, s28
	v_mov_b32_e32 v2, 0x7f800001
	s_xor_b32 exec_lo, exec_lo, s28
	s_cbranch_execnz .LBB6_7859
.LBB6_6527:                             ;   in Loop: Header=BB6_5278 Depth=2
	s_or_b32 exec_lo, exec_lo, s28
	s_and_saveexec_b32 s28, s12
	s_cbranch_execz .LBB6_6529
.LBB6_6528:                             ;   in Loop: Header=BB6_5278 Depth=2
	v_bfe_u32 v2, v18, 16, 2
	v_bfe_u32 v93, v18, 18, 5
	v_lshlrev_b32_sdwa v95, v47, v18 dst_sel:DWORD dst_unused:UNUSED_PAD src0_sel:DWORD src1_sel:WORD_1
	v_ffbh_u32_e32 v3, v2
	v_cmp_eq_u32_e32 vcc_lo, 0, v93
	v_min_u32_e32 v3, 32, v3
	v_subrev_nc_u32_e32 v42, 29, v3
	v_sub_nc_u32_e32 v3, 30, v3
	v_lshlrev_b32_sdwa v42, v42, v18 dst_sel:DWORD dst_unused:UNUSED_PAD src0_sel:DWORD src1_sel:WORD_1
	v_cndmask_b32_e32 v3, v93, v3, vcc_lo
	v_and_b32_e32 v42, 3, v42
	v_lshl_add_u32 v3, v3, 23, 0x37800000
	v_cndmask_b32_e32 v2, v2, v42, vcc_lo
	v_and_b32_e32 v42, 0x80000000, v95
	v_lshlrev_b32_e32 v2, 21, v2
	v_or3_b32 v2, v42, v3, v2
.LBB6_6529:                             ;   in Loop: Header=BB6_5278 Depth=2
	s_or_b32 exec_lo, exec_lo, s28
	v_max_f32_e32 v2, v2, v2
	v_max_f32_e32 v3, v94, v94
	v_min_f32_e32 v94, v3, v2
.LBB6_6530:                             ;   in Loop: Header=BB6_5278 Depth=2
	v_and_b32_e32 v2, 0x7f800000, v94
	v_mov_b32_e32 v93, 0x80
	s_mov_b32 s28, exec_lo
	v_cmpx_ne_u32_e32 0x7f800000, v2
	s_cbranch_execz .LBB6_6538
; %bb.6531:                             ;   in Loop: Header=BB6_5278 Depth=2
	v_mov_b32_e32 v93, 0
	s_mov_b32 s29, exec_lo
	v_cmpx_ne_u32_e32 0, v94
	s_cbranch_execz .LBB6_6537
; %bb.6532:                             ;   in Loop: Header=BB6_5278 Depth=2
	v_bfe_u32 v2, v94, 23, 8
	v_and_b32_e32 v3, 0x7fffff, v94
	v_sub_nc_u32_e32 v42, 0x70, v2
	v_cmp_gt_u32_e32 vcc_lo, 0x71, v2
	v_or_b32_e32 v93, 0x800000, v3
	v_cndmask_b32_e32 v42, 0, v42, vcc_lo
	v_cmp_eq_u32_e32 vcc_lo, 0, v2
	v_add_nc_u32_e32 v2, 0xffffff91, v2
	v_cndmask_b32_e64 v42, v42, 0x6f, vcc_lo
	v_cndmask_b32_e32 v3, v93, v3, vcc_lo
	v_cndmask_b32_e64 v2, v2, 0xffffff92, vcc_lo
	v_lshl_add_u32 v95, 0x200000, v42, -1
	v_lshrrev_b32_e32 v93, v42, v3
	v_lshlrev_b32_e64 v105, v42, 0x100000
	v_and_b32_e32 v3, v95, v3
	v_bfe_u32 v104, v93, 21, 1
	v_cmp_eq_u32_e64 s12, v3, v105
	v_add_nc_u32_e32 v95, -1, v104
	v_lshrrev_b32_e32 v104, 23, v93
	v_cndmask_b32_e64 v3, 0, v95, s12
	s_mov_b32 s12, exec_lo
	v_add_nc_u32_e32 v95, v3, v93
	v_add_nc_u32_e32 v3, v42, v2
	v_xor_b32_e32 v42, 1, v104
	v_and_b32_e32 v2, 0x1fffff, v95
	v_add_nc_u32_e32 v2, v2, v93
                                        ; implicit-def: $vgpr93
	v_cmpx_ne_u32_e64 v3, v42
	s_xor_b32 s12, exec_lo, s12
; %bb.6533:                             ;   in Loop: Header=BB6_5278 Depth=2
	v_cmp_lt_u32_e32 vcc_lo, 0xffffff, v2
	v_sub_nc_u32_e32 v3, v3, v42
	v_cndmask_b32_e64 v42, 0, 1, vcc_lo
	v_add_co_ci_u32_e64 v93, null, 0, v3, vcc_lo
	v_lshrrev_b32_e32 v2, v42, v2
; %bb.6534:                             ;   in Loop: Header=BB6_5278 Depth=2
	s_andn2_saveexec_b32 s12, s12
; %bb.6535:                             ;   in Loop: Header=BB6_5278 Depth=2
	v_bfe_u32 v93, v2, 23, 1
; %bb.6536:                             ;   in Loop: Header=BB6_5278 Depth=2
	s_or_b32 exec_lo, exec_lo, s12
	v_lshrrev_b32_e32 v2, 21, v2
	v_min_i32_e32 v3, 31, v93
	v_cmp_gt_i32_e32 vcc_lo, 32, v93
	v_and_b32_sdwa v42, v94, v44 dst_sel:DWORD dst_unused:UNUSED_PAD src0_sel:BYTE_3 src1_sel:DWORD
	v_lshlrev_b32_e32 v3, 2, v3
	v_cndmask_b32_e32 v2, 3, v2, vcc_lo
	v_and_b32_e32 v3, 0xfc, v3
	v_and_b32_e32 v94, 3, v2
	v_or_b32_e32 v2, v93, v2
	v_or3_b32 v3, v3, v42, v94
	v_cmp_ne_u32_e32 vcc_lo, 0, v2
	v_cndmask_b32_e32 v93, 0, v3, vcc_lo
.LBB6_6537:                             ;   in Loop: Header=BB6_5278 Depth=2
	s_or_b32 exec_lo, exec_lo, s29
.LBB6_6538:                             ;   in Loop: Header=BB6_5278 Depth=2
	s_or_b32 exec_lo, exec_lo, s28
	v_cmp_gt_i16_sdwa s28, v22, v43 src0_sel:BYTE_3 src1_sel:DWORD
	s_andn2_b32 vcc_lo, exec_lo, s27
	s_mov_b32 s12, -1
                                        ; implicit-def: $vgpr94
	s_cbranch_vccnz .LBB6_6552
; %bb.6539:                             ;   in Loop: Header=BB6_5278 Depth=2
	s_mov_b32 s12, 0
	s_and_saveexec_b32 s29, s28
	s_xor_b32 s28, exec_lo, s29
	s_cbranch_execz .LBB6_7860
; %bb.6540:                             ;   in Loop: Header=BB6_5278 Depth=2
	v_cmp_eq_u16_sdwa s40, v22, v44 src0_sel:BYTE_3 src1_sel:DWORD
	s_mov_b32 s12, -1
	s_and_saveexec_b32 s29, s40
; %bb.6541:                             ;   in Loop: Header=BB6_5278 Depth=2
	s_xor_b32 s12, exec_lo, -1
; %bb.6542:                             ;   in Loop: Header=BB6_5278 Depth=2
	s_or_b32 exec_lo, exec_lo, s29
	s_and_b32 s12, s12, exec_lo
	s_or_saveexec_b32 s28, s28
	v_mov_b32_e32 v94, 0x7f800001
	s_xor_b32 exec_lo, exec_lo, s28
	s_cbranch_execnz .LBB6_7861
.LBB6_6543:                             ;   in Loop: Header=BB6_5278 Depth=2
	s_or_b32 exec_lo, exec_lo, s28
	s_and_saveexec_b32 s28, s12
	s_cbranch_execz .LBB6_6545
.LBB6_6544:                             ;   in Loop: Header=BB6_5278 Depth=2
	v_bfe_u32 v2, v22, 24, 2
	v_bfe_u32 v94, v22, 26, 5
	v_ffbh_u32_e32 v3, v2
	v_cmp_eq_u32_e32 vcc_lo, 0, v94
	v_min_u32_e32 v3, 32, v3
	v_subrev_nc_u32_e32 v42, 29, v3
	v_sub_nc_u32_e32 v3, 30, v3
	v_lshlrev_b32_sdwa v42, v42, v22 dst_sel:DWORD dst_unused:UNUSED_PAD src0_sel:DWORD src1_sel:BYTE_3
	v_cndmask_b32_e32 v3, v94, v3, vcc_lo
	v_and_b32_e32 v42, 3, v42
	v_lshl_add_u32 v3, v3, 23, 0x37800000
	v_cndmask_b32_e32 v2, v2, v42, vcc_lo
	v_and_b32_e32 v42, 0x80000000, v22
	v_lshlrev_b32_e32 v2, 21, v2
	v_or3_b32 v94, v42, v3, v2
.LBB6_6545:                             ;   in Loop: Header=BB6_5278 Depth=2
	s_or_b32 exec_lo, exec_lo, s28
	s_waitcnt vmcnt(1)
	v_cmp_gt_i16_sdwa s28, v18, v43 src0_sel:BYTE_3 src1_sel:DWORD
	s_mov_b32 s12, 0
	s_and_saveexec_b32 s29, s28
	s_xor_b32 s28, exec_lo, s29
	s_cbranch_execz .LBB6_7862
; %bb.6546:                             ;   in Loop: Header=BB6_5278 Depth=2
	v_cmp_eq_u16_sdwa s40, v18, v44 src0_sel:BYTE_3 src1_sel:DWORD
	s_mov_b32 s12, -1
	s_and_saveexec_b32 s29, s40
; %bb.6547:                             ;   in Loop: Header=BB6_5278 Depth=2
	s_xor_b32 s12, exec_lo, -1
; %bb.6548:                             ;   in Loop: Header=BB6_5278 Depth=2
	s_or_b32 exec_lo, exec_lo, s29
	s_and_b32 s12, s12, exec_lo
	s_or_saveexec_b32 s28, s28
	v_mov_b32_e32 v2, 0x7f800001
	s_xor_b32 exec_lo, exec_lo, s28
	s_cbranch_execnz .LBB6_7863
.LBB6_6549:                             ;   in Loop: Header=BB6_5278 Depth=2
	s_or_b32 exec_lo, exec_lo, s28
	s_and_saveexec_b32 s28, s12
	s_cbranch_execz .LBB6_6551
.LBB6_6550:                             ;   in Loop: Header=BB6_5278 Depth=2
	v_bfe_u32 v2, v18, 24, 2
	v_bfe_u32 v95, v18, 26, 5
	v_ffbh_u32_e32 v3, v2
	v_cmp_eq_u32_e32 vcc_lo, 0, v95
	v_min_u32_e32 v3, 32, v3
	v_subrev_nc_u32_e32 v42, 29, v3
	v_sub_nc_u32_e32 v3, 30, v3
	v_lshlrev_b32_sdwa v42, v42, v18 dst_sel:DWORD dst_unused:UNUSED_PAD src0_sel:DWORD src1_sel:BYTE_3
	v_cndmask_b32_e32 v3, v95, v3, vcc_lo
	v_and_b32_e32 v42, 3, v42
	v_lshl_add_u32 v3, v3, 23, 0x37800000
	v_cndmask_b32_e32 v2, v2, v42, vcc_lo
	v_and_b32_e32 v42, 0x80000000, v18
	v_lshlrev_b32_e32 v2, 21, v2
	v_or3_b32 v2, v42, v3, v2
.LBB6_6551:                             ;   in Loop: Header=BB6_5278 Depth=2
	s_or_b32 exec_lo, exec_lo, s28
	v_max_f32_e32 v2, v2, v2
	v_max_f32_e32 v3, v94, v94
	s_mov_b32 s12, 0
	v_max_f32_e32 v94, v3, v2
.LBB6_6552:                             ;   in Loop: Header=BB6_5278 Depth=2
	s_and_b32 vcc_lo, exec_lo, s12
	s_cbranch_vccz .LBB6_6566
; %bb.6553:                             ;   in Loop: Header=BB6_5278 Depth=2
	v_cmp_gt_i16_sdwa s28, v22, v43 src0_sel:BYTE_3 src1_sel:DWORD
	s_mov_b32 s12, 0
	s_and_saveexec_b32 s29, s28
	s_xor_b32 s28, exec_lo, s29
	s_cbranch_execz .LBB6_7864
; %bb.6554:                             ;   in Loop: Header=BB6_5278 Depth=2
	v_cmp_eq_u16_sdwa s40, v22, v44 src0_sel:BYTE_3 src1_sel:DWORD
	s_mov_b32 s12, -1
	s_and_saveexec_b32 s29, s40
; %bb.6555:                             ;   in Loop: Header=BB6_5278 Depth=2
	s_xor_b32 s12, exec_lo, -1
; %bb.6556:                             ;   in Loop: Header=BB6_5278 Depth=2
	s_or_b32 exec_lo, exec_lo, s29
	s_and_b32 s12, s12, exec_lo
	s_or_saveexec_b32 s28, s28
	v_mov_b32_e32 v94, 0x7f800001
	s_xor_b32 exec_lo, exec_lo, s28
	s_cbranch_execnz .LBB6_7865
.LBB6_6557:                             ;   in Loop: Header=BB6_5278 Depth=2
	s_or_b32 exec_lo, exec_lo, s28
	s_and_saveexec_b32 s28, s12
	s_cbranch_execz .LBB6_6559
.LBB6_6558:                             ;   in Loop: Header=BB6_5278 Depth=2
	v_bfe_u32 v2, v22, 24, 2
	v_bfe_u32 v94, v22, 26, 5
	v_ffbh_u32_e32 v3, v2
	v_cmp_eq_u32_e32 vcc_lo, 0, v94
	v_min_u32_e32 v3, 32, v3
	v_subrev_nc_u32_e32 v42, 29, v3
	v_sub_nc_u32_e32 v3, 30, v3
	v_lshlrev_b32_sdwa v42, v42, v22 dst_sel:DWORD dst_unused:UNUSED_PAD src0_sel:DWORD src1_sel:BYTE_3
	v_cndmask_b32_e32 v3, v94, v3, vcc_lo
	v_and_b32_e32 v22, 0x80000000, v22
	v_and_b32_e32 v42, 3, v42
	v_lshl_add_u32 v3, v3, 23, 0x37800000
	v_cndmask_b32_e32 v2, v2, v42, vcc_lo
	v_lshlrev_b32_e32 v2, 21, v2
	v_or3_b32 v94, v22, v3, v2
.LBB6_6559:                             ;   in Loop: Header=BB6_5278 Depth=2
	s_or_b32 exec_lo, exec_lo, s28
	s_waitcnt vmcnt(1)
	v_cmp_gt_i16_sdwa s28, v18, v43 src0_sel:BYTE_3 src1_sel:DWORD
	s_mov_b32 s12, 0
	s_and_saveexec_b32 s29, s28
	s_xor_b32 s28, exec_lo, s29
	s_cbranch_execz .LBB6_7866
; %bb.6560:                             ;   in Loop: Header=BB6_5278 Depth=2
	v_cmp_eq_u16_sdwa s40, v18, v44 src0_sel:BYTE_3 src1_sel:DWORD
	s_mov_b32 s12, -1
	s_and_saveexec_b32 s29, s40
; %bb.6561:                             ;   in Loop: Header=BB6_5278 Depth=2
	s_xor_b32 s12, exec_lo, -1
; %bb.6562:                             ;   in Loop: Header=BB6_5278 Depth=2
	s_or_b32 exec_lo, exec_lo, s29
	s_and_b32 s12, s12, exec_lo
	s_or_saveexec_b32 s28, s28
	v_mov_b32_e32 v2, 0x7f800001
	s_xor_b32 exec_lo, exec_lo, s28
	s_cbranch_execnz .LBB6_7867
.LBB6_6563:                             ;   in Loop: Header=BB6_5278 Depth=2
	s_or_b32 exec_lo, exec_lo, s28
	s_and_saveexec_b32 s28, s12
	s_cbranch_execz .LBB6_6565
.LBB6_6564:                             ;   in Loop: Header=BB6_5278 Depth=2
	v_bfe_u32 v2, v18, 24, 2
	v_bfe_u32 v42, v18, 26, 5
	v_ffbh_u32_e32 v3, v2
	v_cmp_eq_u32_e32 vcc_lo, 0, v42
	v_min_u32_e32 v3, 32, v3
	v_subrev_nc_u32_e32 v22, 29, v3
	v_sub_nc_u32_e32 v3, 30, v3
	v_lshlrev_b32_sdwa v22, v22, v18 dst_sel:DWORD dst_unused:UNUSED_PAD src0_sel:DWORD src1_sel:BYTE_3
	v_cndmask_b32_e32 v3, v42, v3, vcc_lo
	v_and_b32_e32 v18, 0x80000000, v18
	v_and_b32_e32 v22, 3, v22
	v_lshl_add_u32 v3, v3, 23, 0x37800000
	v_cndmask_b32_e32 v2, v2, v22, vcc_lo
	v_lshlrev_b32_e32 v2, 21, v2
	v_or3_b32 v2, v18, v3, v2
.LBB6_6565:                             ;   in Loop: Header=BB6_5278 Depth=2
	s_or_b32 exec_lo, exec_lo, s28
	v_max_f32_e32 v2, v2, v2
	v_max_f32_e32 v3, v94, v94
	v_min_f32_e32 v94, v3, v2
.LBB6_6566:                             ;   in Loop: Header=BB6_5278 Depth=2
	v_and_b32_e32 v2, 0x7f800000, v94
	s_waitcnt vmcnt(1)
	v_mov_b32_e32 v18, 0x8000
	s_mov_b32 s28, exec_lo
	v_cmpx_ne_u32_e32 0x7f800000, v2
	s_cbranch_execz .LBB6_6574
; %bb.6567:                             ;   in Loop: Header=BB6_5278 Depth=2
	v_mov_b32_e32 v18, 0
	s_mov_b32 s29, exec_lo
	v_cmpx_ne_u32_e32 0, v94
	s_cbranch_execz .LBB6_6573
; %bb.6568:                             ;   in Loop: Header=BB6_5278 Depth=2
	v_bfe_u32 v2, v94, 23, 8
	v_and_b32_e32 v3, 0x7fffff, v94
	v_sub_nc_u32_e32 v18, 0x70, v2
	v_cmp_gt_u32_e32 vcc_lo, 0x71, v2
	v_or_b32_e32 v22, 0x800000, v3
	v_cndmask_b32_e32 v18, 0, v18, vcc_lo
	v_cmp_eq_u32_e32 vcc_lo, 0, v2
	v_add_nc_u32_e32 v2, 0xffffff91, v2
	v_cndmask_b32_e64 v18, v18, 0x6f, vcc_lo
	v_cndmask_b32_e32 v3, v22, v3, vcc_lo
	v_cndmask_b32_e64 v2, v2, 0xffffff92, vcc_lo
	v_lshl_add_u32 v22, 0x200000, v18, -1
	v_lshrrev_b32_e32 v42, v18, v3
	v_lshlrev_b32_e64 v104, v18, 0x100000
	v_and_b32_e32 v3, v22, v3
	v_bfe_u32 v95, v42, 21, 1
	v_cmp_eq_u32_e64 s12, v3, v104
	v_add_nc_u32_e32 v22, -1, v95
	v_lshrrev_b32_e32 v95, 23, v42
	v_cndmask_b32_e64 v3, 0, v22, s12
	s_mov_b32 s12, exec_lo
	v_add_nc_u32_e32 v22, v3, v42
	v_add_nc_u32_e32 v3, v18, v2
                                        ; implicit-def: $vgpr18
	v_and_b32_e32 v2, 0x1fffff, v22
	v_xor_b32_e32 v22, 1, v95
	v_add_nc_u32_e32 v2, v2, v42
	v_cmpx_ne_u32_e64 v3, v22
	s_xor_b32 s12, exec_lo, s12
; %bb.6569:                             ;   in Loop: Header=BB6_5278 Depth=2
	v_cmp_lt_u32_e32 vcc_lo, 0xffffff, v2
	v_sub_nc_u32_e32 v3, v3, v22
	v_cndmask_b32_e64 v22, 0, 1, vcc_lo
	v_add_co_ci_u32_e64 v18, null, 0, v3, vcc_lo
	v_lshrrev_b32_e32 v2, v22, v2
; %bb.6570:                             ;   in Loop: Header=BB6_5278 Depth=2
	s_andn2_saveexec_b32 s12, s12
; %bb.6571:                             ;   in Loop: Header=BB6_5278 Depth=2
	v_bfe_u32 v18, v2, 23, 1
; %bb.6572:                             ;   in Loop: Header=BB6_5278 Depth=2
	s_or_b32 exec_lo, exec_lo, s12
	v_lshrrev_b32_e32 v2, 21, v2
	v_min_i32_e32 v3, 31, v18
	v_cmp_gt_i32_e32 vcc_lo, 32, v18
	v_and_b32_sdwa v22, v94, v44 dst_sel:DWORD dst_unused:UNUSED_PAD src0_sel:BYTE_3 src1_sel:DWORD
	v_lshlrev_b32_e32 v3, 2, v3
	v_cndmask_b32_e32 v2, 3, v2, vcc_lo
	v_and_b32_e32 v3, 0xfc, v3
	v_and_b32_e32 v42, 3, v2
	v_or_b32_e32 v2, v18, v2
	v_or3_b32 v3, v22, v3, v42
	v_cmp_ne_u32_e32 vcc_lo, 0, v2
	v_lshlrev_b32_e32 v3, 8, v3
	v_cndmask_b32_e32 v18, 0, v3, vcc_lo
.LBB6_6573:                             ;   in Loop: Header=BB6_5278 Depth=2
	s_or_b32 exec_lo, exec_lo, s29
.LBB6_6574:                             ;   in Loop: Header=BB6_5278 Depth=2
	s_or_b32 exec_lo, exec_lo, s28
	v_cmp_gt_i16_sdwa s28, v23, v43 src0_sel:BYTE_0 src1_sel:DWORD
	s_andn2_b32 vcc_lo, exec_lo, s27
	s_mov_b32 s12, -1
                                        ; implicit-def: $vgpr94
	s_cbranch_vccnz .LBB6_6588
; %bb.6575:                             ;   in Loop: Header=BB6_5278 Depth=2
	s_mov_b32 s12, 0
	s_and_saveexec_b32 s29, s28
	s_xor_b32 s28, exec_lo, s29
	s_cbranch_execz .LBB6_7868
; %bb.6576:                             ;   in Loop: Header=BB6_5278 Depth=2
	v_cmp_eq_u16_sdwa s40, v23, v44 src0_sel:BYTE_0 src1_sel:DWORD
	s_mov_b32 s12, -1
	s_and_saveexec_b32 s29, s40
; %bb.6577:                             ;   in Loop: Header=BB6_5278 Depth=2
	s_xor_b32 s12, exec_lo, -1
; %bb.6578:                             ;   in Loop: Header=BB6_5278 Depth=2
	s_or_b32 exec_lo, exec_lo, s29
	s_and_b32 s12, s12, exec_lo
	s_or_saveexec_b32 s28, s28
	v_mov_b32_e32 v22, 0x7f800001
	s_xor_b32 exec_lo, exec_lo, s28
	s_cbranch_execnz .LBB6_7869
.LBB6_6579:                             ;   in Loop: Header=BB6_5278 Depth=2
	s_or_b32 exec_lo, exec_lo, s28
	s_and_saveexec_b32 s28, s12
	s_cbranch_execz .LBB6_6581
.LBB6_6580:                             ;   in Loop: Header=BB6_5278 Depth=2
	v_and_b32_e32 v2, 3, v23
	v_bfe_u32 v42, v23, 2, 5
	v_lshlrev_b32_e32 v94, 24, v23
	v_ffbh_u32_e32 v3, v2
	v_cmp_eq_u32_e32 vcc_lo, 0, v42
	v_min_u32_e32 v3, 32, v3
	v_subrev_nc_u32_e32 v22, 29, v3
	v_sub_nc_u32_e32 v3, 30, v3
	v_lshlrev_b32_e32 v22, v22, v23
	v_cndmask_b32_e32 v3, v42, v3, vcc_lo
	v_and_b32_e32 v22, 3, v22
	v_lshl_add_u32 v3, v3, 23, 0x37800000
	v_cndmask_b32_e32 v2, v2, v22, vcc_lo
	v_and_b32_e32 v22, 0x80000000, v94
	v_lshlrev_b32_e32 v2, 21, v2
	v_or3_b32 v22, v22, v3, v2
.LBB6_6581:                             ;   in Loop: Header=BB6_5278 Depth=2
	s_or_b32 exec_lo, exec_lo, s28
	v_cmp_gt_i16_sdwa s28, v19, v43 src0_sel:BYTE_0 src1_sel:DWORD
	s_mov_b32 s12, 0
	s_and_saveexec_b32 s29, s28
	s_xor_b32 s28, exec_lo, s29
	s_cbranch_execz .LBB6_7870
; %bb.6582:                             ;   in Loop: Header=BB6_5278 Depth=2
	v_cmp_eq_u16_sdwa s40, v19, v44 src0_sel:BYTE_0 src1_sel:DWORD
	s_mov_b32 s12, -1
	s_and_saveexec_b32 s29, s40
; %bb.6583:                             ;   in Loop: Header=BB6_5278 Depth=2
	s_xor_b32 s12, exec_lo, -1
; %bb.6584:                             ;   in Loop: Header=BB6_5278 Depth=2
	s_or_b32 exec_lo, exec_lo, s29
	s_and_b32 s12, s12, exec_lo
	s_or_saveexec_b32 s28, s28
	v_mov_b32_e32 v2, 0x7f800001
	s_xor_b32 exec_lo, exec_lo, s28
	s_cbranch_execnz .LBB6_7871
.LBB6_6585:                             ;   in Loop: Header=BB6_5278 Depth=2
	s_or_b32 exec_lo, exec_lo, s28
	s_and_saveexec_b32 s28, s12
	s_cbranch_execz .LBB6_6587
.LBB6_6586:                             ;   in Loop: Header=BB6_5278 Depth=2
	v_and_b32_e32 v2, 3, v19
	v_bfe_u32 v94, v19, 2, 5
	v_lshlrev_b32_e32 v95, 24, v19
	v_ffbh_u32_e32 v3, v2
	v_cmp_eq_u32_e32 vcc_lo, 0, v94
	v_min_u32_e32 v3, 32, v3
	v_subrev_nc_u32_e32 v42, 29, v3
	v_sub_nc_u32_e32 v3, 30, v3
	v_lshlrev_b32_e32 v42, v42, v19
	v_cndmask_b32_e32 v3, v94, v3, vcc_lo
	v_and_b32_e32 v42, 3, v42
	v_lshl_add_u32 v3, v3, 23, 0x37800000
	v_cndmask_b32_e32 v2, v2, v42, vcc_lo
	v_and_b32_e32 v42, 0x80000000, v95
	v_lshlrev_b32_e32 v2, 21, v2
	v_or3_b32 v2, v42, v3, v2
.LBB6_6587:                             ;   in Loop: Header=BB6_5278 Depth=2
	s_or_b32 exec_lo, exec_lo, s28
	v_max_f32_e32 v2, v2, v2
	v_max_f32_e32 v3, v22, v22
	s_mov_b32 s12, 0
	v_max_f32_e32 v94, v3, v2
.LBB6_6588:                             ;   in Loop: Header=BB6_5278 Depth=2
	s_and_b32 vcc_lo, exec_lo, s12
	s_cbranch_vccz .LBB6_6602
; %bb.6589:                             ;   in Loop: Header=BB6_5278 Depth=2
	v_cmp_gt_i16_sdwa s28, v23, v43 src0_sel:BYTE_0 src1_sel:DWORD
	s_mov_b32 s12, 0
	s_and_saveexec_b32 s29, s28
	s_xor_b32 s28, exec_lo, s29
	s_cbranch_execz .LBB6_7872
; %bb.6590:                             ;   in Loop: Header=BB6_5278 Depth=2
	v_cmp_eq_u16_sdwa s40, v23, v44 src0_sel:BYTE_0 src1_sel:DWORD
	s_mov_b32 s12, -1
	s_and_saveexec_b32 s29, s40
; %bb.6591:                             ;   in Loop: Header=BB6_5278 Depth=2
	s_xor_b32 s12, exec_lo, -1
; %bb.6592:                             ;   in Loop: Header=BB6_5278 Depth=2
	s_or_b32 exec_lo, exec_lo, s29
	s_and_b32 s12, s12, exec_lo
	s_or_saveexec_b32 s28, s28
	v_mov_b32_e32 v22, 0x7f800001
	s_xor_b32 exec_lo, exec_lo, s28
	s_cbranch_execnz .LBB6_7873
.LBB6_6593:                             ;   in Loop: Header=BB6_5278 Depth=2
	s_or_b32 exec_lo, exec_lo, s28
	s_and_saveexec_b32 s28, s12
	s_cbranch_execz .LBB6_6595
.LBB6_6594:                             ;   in Loop: Header=BB6_5278 Depth=2
	v_and_b32_e32 v2, 3, v23
	v_bfe_u32 v42, v23, 2, 5
	v_lshlrev_b32_e32 v94, 24, v23
	v_ffbh_u32_e32 v3, v2
	v_cmp_eq_u32_e32 vcc_lo, 0, v42
	v_min_u32_e32 v3, 32, v3
	v_subrev_nc_u32_e32 v22, 29, v3
	v_sub_nc_u32_e32 v3, 30, v3
	v_lshlrev_b32_e32 v22, v22, v23
	v_cndmask_b32_e32 v3, v42, v3, vcc_lo
	v_and_b32_e32 v22, 3, v22
	v_lshl_add_u32 v3, v3, 23, 0x37800000
	v_cndmask_b32_e32 v2, v2, v22, vcc_lo
	v_and_b32_e32 v22, 0x80000000, v94
	v_lshlrev_b32_e32 v2, 21, v2
	v_or3_b32 v22, v22, v3, v2
.LBB6_6595:                             ;   in Loop: Header=BB6_5278 Depth=2
	s_or_b32 exec_lo, exec_lo, s28
	v_cmp_gt_i16_sdwa s28, v19, v43 src0_sel:BYTE_0 src1_sel:DWORD
	s_mov_b32 s12, 0
	s_and_saveexec_b32 s29, s28
	s_xor_b32 s28, exec_lo, s29
	s_cbranch_execz .LBB6_7874
; %bb.6596:                             ;   in Loop: Header=BB6_5278 Depth=2
	v_cmp_eq_u16_sdwa s40, v19, v44 src0_sel:BYTE_0 src1_sel:DWORD
	s_mov_b32 s12, -1
	s_and_saveexec_b32 s29, s40
; %bb.6597:                             ;   in Loop: Header=BB6_5278 Depth=2
	s_xor_b32 s12, exec_lo, -1
; %bb.6598:                             ;   in Loop: Header=BB6_5278 Depth=2
	s_or_b32 exec_lo, exec_lo, s29
	s_and_b32 s12, s12, exec_lo
	s_or_saveexec_b32 s28, s28
	v_mov_b32_e32 v2, 0x7f800001
	s_xor_b32 exec_lo, exec_lo, s28
	s_cbranch_execnz .LBB6_7875
.LBB6_6599:                             ;   in Loop: Header=BB6_5278 Depth=2
	s_or_b32 exec_lo, exec_lo, s28
	s_and_saveexec_b32 s28, s12
	s_cbranch_execz .LBB6_6601
.LBB6_6600:                             ;   in Loop: Header=BB6_5278 Depth=2
	v_and_b32_e32 v2, 3, v19
	v_bfe_u32 v94, v19, 2, 5
	v_lshlrev_b32_e32 v95, 24, v19
	v_ffbh_u32_e32 v3, v2
	v_cmp_eq_u32_e32 vcc_lo, 0, v94
	v_min_u32_e32 v3, 32, v3
	v_subrev_nc_u32_e32 v42, 29, v3
	v_sub_nc_u32_e32 v3, 30, v3
	v_lshlrev_b32_e32 v42, v42, v19
	v_cndmask_b32_e32 v3, v94, v3, vcc_lo
	v_and_b32_e32 v42, 3, v42
	v_lshl_add_u32 v3, v3, 23, 0x37800000
	v_cndmask_b32_e32 v2, v2, v42, vcc_lo
	v_and_b32_e32 v42, 0x80000000, v95
	v_lshlrev_b32_e32 v2, 21, v2
	v_or3_b32 v2, v42, v3, v2
.LBB6_6601:                             ;   in Loop: Header=BB6_5278 Depth=2
	s_or_b32 exec_lo, exec_lo, s28
	v_max_f32_e32 v2, v2, v2
	v_max_f32_e32 v3, v22, v22
	v_min_f32_e32 v94, v3, v2
.LBB6_6602:                             ;   in Loop: Header=BB6_5278 Depth=2
	v_and_b32_e32 v2, 0x7f800000, v94
	v_mov_b32_e32 v22, 0x80
	s_mov_b32 s28, exec_lo
	v_cmpx_ne_u32_e32 0x7f800000, v2
	s_cbranch_execz .LBB6_6610
; %bb.6603:                             ;   in Loop: Header=BB6_5278 Depth=2
	v_mov_b32_e32 v22, 0
	s_mov_b32 s29, exec_lo
	v_cmpx_ne_u32_e32 0, v94
	s_cbranch_execz .LBB6_6609
; %bb.6604:                             ;   in Loop: Header=BB6_5278 Depth=2
	v_bfe_u32 v2, v94, 23, 8
	v_and_b32_e32 v3, 0x7fffff, v94
	v_sub_nc_u32_e32 v22, 0x70, v2
	v_cmp_gt_u32_e32 vcc_lo, 0x71, v2
	v_or_b32_e32 v42, 0x800000, v3
	v_cndmask_b32_e32 v22, 0, v22, vcc_lo
	v_cmp_eq_u32_e32 vcc_lo, 0, v2
	v_add_nc_u32_e32 v2, 0xffffff91, v2
	v_cndmask_b32_e64 v22, v22, 0x6f, vcc_lo
	v_cndmask_b32_e32 v3, v42, v3, vcc_lo
	v_cndmask_b32_e64 v2, v2, 0xffffff92, vcc_lo
	v_lshl_add_u32 v42, 0x200000, v22, -1
	v_lshrrev_b32_e32 v95, v22, v3
	v_lshlrev_b32_e64 v105, v22, 0x100000
	v_and_b32_e32 v3, v42, v3
	v_bfe_u32 v104, v95, 21, 1
	v_cmp_eq_u32_e64 s12, v3, v105
	v_add_nc_u32_e32 v42, -1, v104
	v_lshrrev_b32_e32 v104, 23, v95
	v_cndmask_b32_e64 v3, 0, v42, s12
	s_mov_b32 s12, exec_lo
	v_add_nc_u32_e32 v42, v3, v95
	v_add_nc_u32_e32 v3, v22, v2
                                        ; implicit-def: $vgpr22
	v_and_b32_e32 v2, 0x1fffff, v42
	v_xor_b32_e32 v42, 1, v104
	v_add_nc_u32_e32 v2, v2, v95
	v_cmpx_ne_u32_e64 v3, v42
	s_xor_b32 s12, exec_lo, s12
; %bb.6605:                             ;   in Loop: Header=BB6_5278 Depth=2
	v_cmp_lt_u32_e32 vcc_lo, 0xffffff, v2
	v_sub_nc_u32_e32 v3, v3, v42
	v_cndmask_b32_e64 v42, 0, 1, vcc_lo
	v_add_co_ci_u32_e64 v22, null, 0, v3, vcc_lo
	v_lshrrev_b32_e32 v2, v42, v2
; %bb.6606:                             ;   in Loop: Header=BB6_5278 Depth=2
	s_andn2_saveexec_b32 s12, s12
; %bb.6607:                             ;   in Loop: Header=BB6_5278 Depth=2
	v_bfe_u32 v22, v2, 23, 1
; %bb.6608:                             ;   in Loop: Header=BB6_5278 Depth=2
	s_or_b32 exec_lo, exec_lo, s12
	v_lshrrev_b32_e32 v2, 21, v2
	v_min_i32_e32 v3, 31, v22
	v_cmp_gt_i32_e32 vcc_lo, 32, v22
	v_and_b32_sdwa v42, v94, v44 dst_sel:DWORD dst_unused:UNUSED_PAD src0_sel:BYTE_3 src1_sel:DWORD
	v_lshlrev_b32_e32 v3, 2, v3
	v_cndmask_b32_e32 v2, 3, v2, vcc_lo
	v_and_b32_e32 v3, 0xfc, v3
	v_and_b32_e32 v94, 3, v2
	v_or_b32_e32 v2, v22, v2
	v_or3_b32 v3, v3, v42, v94
	v_cmp_ne_u32_e32 vcc_lo, 0, v2
	v_cndmask_b32_e32 v22, 0, v3, vcc_lo
.LBB6_6609:                             ;   in Loop: Header=BB6_5278 Depth=2
	s_or_b32 exec_lo, exec_lo, s29
.LBB6_6610:                             ;   in Loop: Header=BB6_5278 Depth=2
	s_or_b32 exec_lo, exec_lo, s28
	v_cmp_gt_i16_sdwa s28, v23, v43 src0_sel:BYTE_1 src1_sel:DWORD
	s_andn2_b32 vcc_lo, exec_lo, s27
	s_mov_b32 s12, -1
                                        ; implicit-def: $vgpr95
	s_cbranch_vccnz .LBB6_6624
; %bb.6611:                             ;   in Loop: Header=BB6_5278 Depth=2
	s_mov_b32 s12, 0
	s_and_saveexec_b32 s29, s28
	s_xor_b32 s28, exec_lo, s29
	s_cbranch_execz .LBB6_7876
; %bb.6612:                             ;   in Loop: Header=BB6_5278 Depth=2
	v_cmp_eq_u16_sdwa s40, v23, v44 src0_sel:BYTE_1 src1_sel:DWORD
	s_mov_b32 s12, -1
	s_and_saveexec_b32 s29, s40
; %bb.6613:                             ;   in Loop: Header=BB6_5278 Depth=2
	s_xor_b32 s12, exec_lo, -1
; %bb.6614:                             ;   in Loop: Header=BB6_5278 Depth=2
	s_or_b32 exec_lo, exec_lo, s29
	s_and_b32 s12, s12, exec_lo
	s_or_saveexec_b32 s28, s28
	v_mov_b32_e32 v94, 0x7f800001
	s_xor_b32 exec_lo, exec_lo, s28
	s_cbranch_execnz .LBB6_7877
.LBB6_6615:                             ;   in Loop: Header=BB6_5278 Depth=2
	s_or_b32 exec_lo, exec_lo, s28
	s_and_saveexec_b32 s28, s12
	s_cbranch_execz .LBB6_6617
.LBB6_6616:                             ;   in Loop: Header=BB6_5278 Depth=2
	v_and_b32_sdwa v2, v45, v23 dst_sel:DWORD dst_unused:UNUSED_PAD src0_sel:DWORD src1_sel:BYTE_1
	v_and_b32_e32 v3, 3, v2
	v_bfe_u32 v95, v2, 2, 5
	v_ffbh_u32_e32 v42, v3
	v_cmp_eq_u32_e32 vcc_lo, 0, v95
	v_min_u32_e32 v42, 32, v42
	v_subrev_nc_u32_e32 v94, 29, v42
	v_sub_nc_u32_e32 v42, 30, v42
	v_lshlrev_b32_e32 v2, v94, v2
	v_lshlrev_b32_e32 v94, 16, v23
	v_cndmask_b32_e32 v42, v95, v42, vcc_lo
	v_and_b32_e32 v2, 3, v2
	v_lshl_add_u32 v42, v42, 23, 0x37800000
	v_cndmask_b32_e32 v2, v3, v2, vcc_lo
	v_and_b32_e32 v3, 0x80000000, v94
	v_lshlrev_b32_e32 v2, 21, v2
	v_or3_b32 v94, v3, v42, v2
.LBB6_6617:                             ;   in Loop: Header=BB6_5278 Depth=2
	s_or_b32 exec_lo, exec_lo, s28
	v_cmp_gt_i16_sdwa s28, v19, v43 src0_sel:BYTE_1 src1_sel:DWORD
	s_mov_b32 s12, 0
	s_and_saveexec_b32 s29, s28
	s_xor_b32 s28, exec_lo, s29
	s_cbranch_execz .LBB6_7878
; %bb.6618:                             ;   in Loop: Header=BB6_5278 Depth=2
	v_cmp_eq_u16_sdwa s40, v19, v44 src0_sel:BYTE_1 src1_sel:DWORD
	s_mov_b32 s12, -1
	s_and_saveexec_b32 s29, s40
; %bb.6619:                             ;   in Loop: Header=BB6_5278 Depth=2
	s_xor_b32 s12, exec_lo, -1
; %bb.6620:                             ;   in Loop: Header=BB6_5278 Depth=2
	s_or_b32 exec_lo, exec_lo, s29
	s_and_b32 s12, s12, exec_lo
	s_or_saveexec_b32 s28, s28
	v_mov_b32_e32 v2, 0x7f800001
	s_xor_b32 exec_lo, exec_lo, s28
	s_cbranch_execnz .LBB6_7879
.LBB6_6621:                             ;   in Loop: Header=BB6_5278 Depth=2
	s_or_b32 exec_lo, exec_lo, s28
	s_and_saveexec_b32 s28, s12
	s_cbranch_execz .LBB6_6623
.LBB6_6622:                             ;   in Loop: Header=BB6_5278 Depth=2
	v_and_b32_sdwa v2, v45, v19 dst_sel:DWORD dst_unused:UNUSED_PAD src0_sel:DWORD src1_sel:BYTE_1
	v_and_b32_e32 v3, 3, v2
	v_bfe_u32 v104, v2, 2, 5
	v_ffbh_u32_e32 v42, v3
	v_cmp_eq_u32_e32 vcc_lo, 0, v104
	v_min_u32_e32 v42, 32, v42
	v_subrev_nc_u32_e32 v95, 29, v42
	v_sub_nc_u32_e32 v42, 30, v42
	v_lshlrev_b32_e32 v2, v95, v2
	v_lshlrev_b32_e32 v95, 16, v19
	v_cndmask_b32_e32 v42, v104, v42, vcc_lo
	v_and_b32_e32 v2, 3, v2
	v_lshl_add_u32 v42, v42, 23, 0x37800000
	v_cndmask_b32_e32 v2, v3, v2, vcc_lo
	v_and_b32_e32 v3, 0x80000000, v95
	v_lshlrev_b32_e32 v2, 21, v2
	v_or3_b32 v2, v3, v42, v2
.LBB6_6623:                             ;   in Loop: Header=BB6_5278 Depth=2
	s_or_b32 exec_lo, exec_lo, s28
	v_max_f32_e32 v2, v2, v2
	v_max_f32_e32 v3, v94, v94
	s_mov_b32 s12, 0
	v_max_f32_e32 v95, v3, v2
.LBB6_6624:                             ;   in Loop: Header=BB6_5278 Depth=2
	s_and_b32 vcc_lo, exec_lo, s12
	s_cbranch_vccz .LBB6_6638
; %bb.6625:                             ;   in Loop: Header=BB6_5278 Depth=2
	v_cmp_gt_i16_sdwa s28, v23, v43 src0_sel:BYTE_1 src1_sel:DWORD
	s_mov_b32 s12, 0
	s_and_saveexec_b32 s29, s28
	s_xor_b32 s28, exec_lo, s29
	s_cbranch_execz .LBB6_7880
; %bb.6626:                             ;   in Loop: Header=BB6_5278 Depth=2
	v_cmp_eq_u16_sdwa s40, v23, v44 src0_sel:BYTE_1 src1_sel:DWORD
	s_mov_b32 s12, -1
	s_and_saveexec_b32 s29, s40
; %bb.6627:                             ;   in Loop: Header=BB6_5278 Depth=2
	s_xor_b32 s12, exec_lo, -1
; %bb.6628:                             ;   in Loop: Header=BB6_5278 Depth=2
	s_or_b32 exec_lo, exec_lo, s29
	s_and_b32 s12, s12, exec_lo
	s_or_saveexec_b32 s28, s28
	v_mov_b32_e32 v94, 0x7f800001
	s_xor_b32 exec_lo, exec_lo, s28
	s_cbranch_execnz .LBB6_7881
.LBB6_6629:                             ;   in Loop: Header=BB6_5278 Depth=2
	s_or_b32 exec_lo, exec_lo, s28
	s_and_saveexec_b32 s28, s12
	s_cbranch_execz .LBB6_6631
.LBB6_6630:                             ;   in Loop: Header=BB6_5278 Depth=2
	v_and_b32_sdwa v2, v45, v23 dst_sel:DWORD dst_unused:UNUSED_PAD src0_sel:DWORD src1_sel:BYTE_1
	v_and_b32_e32 v3, 3, v2
	v_bfe_u32 v95, v2, 2, 5
	v_ffbh_u32_e32 v42, v3
	v_cmp_eq_u32_e32 vcc_lo, 0, v95
	v_min_u32_e32 v42, 32, v42
	v_subrev_nc_u32_e32 v94, 29, v42
	v_sub_nc_u32_e32 v42, 30, v42
	v_lshlrev_b32_e32 v2, v94, v2
	v_lshlrev_b32_e32 v94, 16, v23
	v_cndmask_b32_e32 v42, v95, v42, vcc_lo
	v_and_b32_e32 v2, 3, v2
	v_lshl_add_u32 v42, v42, 23, 0x37800000
	v_cndmask_b32_e32 v2, v3, v2, vcc_lo
	v_and_b32_e32 v3, 0x80000000, v94
	v_lshlrev_b32_e32 v2, 21, v2
	v_or3_b32 v94, v3, v42, v2
.LBB6_6631:                             ;   in Loop: Header=BB6_5278 Depth=2
	s_or_b32 exec_lo, exec_lo, s28
	v_cmp_gt_i16_sdwa s28, v19, v43 src0_sel:BYTE_1 src1_sel:DWORD
	s_mov_b32 s12, 0
	s_and_saveexec_b32 s29, s28
	s_xor_b32 s28, exec_lo, s29
	s_cbranch_execz .LBB6_7882
; %bb.6632:                             ;   in Loop: Header=BB6_5278 Depth=2
	v_cmp_eq_u16_sdwa s40, v19, v44 src0_sel:BYTE_1 src1_sel:DWORD
	s_mov_b32 s12, -1
	s_and_saveexec_b32 s29, s40
; %bb.6633:                             ;   in Loop: Header=BB6_5278 Depth=2
	s_xor_b32 s12, exec_lo, -1
; %bb.6634:                             ;   in Loop: Header=BB6_5278 Depth=2
	s_or_b32 exec_lo, exec_lo, s29
	s_and_b32 s12, s12, exec_lo
	s_or_saveexec_b32 s28, s28
	v_mov_b32_e32 v2, 0x7f800001
	s_xor_b32 exec_lo, exec_lo, s28
	s_cbranch_execnz .LBB6_7883
.LBB6_6635:                             ;   in Loop: Header=BB6_5278 Depth=2
	s_or_b32 exec_lo, exec_lo, s28
	s_and_saveexec_b32 s28, s12
	s_cbranch_execz .LBB6_6637
.LBB6_6636:                             ;   in Loop: Header=BB6_5278 Depth=2
	v_and_b32_sdwa v2, v45, v19 dst_sel:DWORD dst_unused:UNUSED_PAD src0_sel:DWORD src1_sel:BYTE_1
	v_and_b32_e32 v3, 3, v2
	v_bfe_u32 v104, v2, 2, 5
	v_ffbh_u32_e32 v42, v3
	v_cmp_eq_u32_e32 vcc_lo, 0, v104
	v_min_u32_e32 v42, 32, v42
	v_subrev_nc_u32_e32 v95, 29, v42
	v_sub_nc_u32_e32 v42, 30, v42
	v_lshlrev_b32_e32 v2, v95, v2
	v_lshlrev_b32_e32 v95, 16, v19
	v_cndmask_b32_e32 v42, v104, v42, vcc_lo
	v_and_b32_e32 v2, 3, v2
	v_lshl_add_u32 v42, v42, 23, 0x37800000
	v_cndmask_b32_e32 v2, v3, v2, vcc_lo
	v_and_b32_e32 v3, 0x80000000, v95
	v_lshlrev_b32_e32 v2, 21, v2
	v_or3_b32 v2, v3, v42, v2
.LBB6_6637:                             ;   in Loop: Header=BB6_5278 Depth=2
	s_or_b32 exec_lo, exec_lo, s28
	v_max_f32_e32 v2, v2, v2
	v_max_f32_e32 v3, v94, v94
	v_min_f32_e32 v95, v3, v2
.LBB6_6638:                             ;   in Loop: Header=BB6_5278 Depth=2
	v_and_b32_e32 v2, 0x7f800000, v95
	v_mov_b32_e32 v94, 0x8000
	s_mov_b32 s28, exec_lo
	v_cmpx_ne_u32_e32 0x7f800000, v2
	s_cbranch_execz .LBB6_6646
; %bb.6639:                             ;   in Loop: Header=BB6_5278 Depth=2
	v_mov_b32_e32 v94, 0
	s_mov_b32 s29, exec_lo
	v_cmpx_ne_u32_e32 0, v95
	s_cbranch_execz .LBB6_6645
; %bb.6640:                             ;   in Loop: Header=BB6_5278 Depth=2
	v_bfe_u32 v2, v95, 23, 8
	v_and_b32_e32 v3, 0x7fffff, v95
	v_sub_nc_u32_e32 v42, 0x70, v2
	v_cmp_gt_u32_e32 vcc_lo, 0x71, v2
	v_or_b32_e32 v94, 0x800000, v3
	v_cndmask_b32_e32 v42, 0, v42, vcc_lo
	v_cmp_eq_u32_e32 vcc_lo, 0, v2
	v_add_nc_u32_e32 v2, 0xffffff91, v2
	v_cndmask_b32_e64 v42, v42, 0x6f, vcc_lo
	v_cndmask_b32_e32 v3, v94, v3, vcc_lo
	v_cndmask_b32_e64 v2, v2, 0xffffff92, vcc_lo
	v_lshl_add_u32 v104, 0x200000, v42, -1
	v_lshrrev_b32_e32 v94, v42, v3
	v_lshlrev_b32_e64 v106, v42, 0x100000
	v_and_b32_e32 v3, v104, v3
	v_bfe_u32 v105, v94, 21, 1
	v_cmp_eq_u32_e64 s12, v3, v106
	v_add_nc_u32_e32 v104, -1, v105
	v_lshrrev_b32_e32 v105, 23, v94
	v_cndmask_b32_e64 v3, 0, v104, s12
	s_mov_b32 s12, exec_lo
	v_add_nc_u32_e32 v104, v3, v94
	v_add_nc_u32_e32 v3, v42, v2
	v_xor_b32_e32 v42, 1, v105
	v_and_b32_e32 v2, 0x1fffff, v104
	v_add_nc_u32_e32 v2, v2, v94
                                        ; implicit-def: $vgpr94
	v_cmpx_ne_u32_e64 v3, v42
	s_xor_b32 s12, exec_lo, s12
; %bb.6641:                             ;   in Loop: Header=BB6_5278 Depth=2
	v_cmp_lt_u32_e32 vcc_lo, 0xffffff, v2
	v_sub_nc_u32_e32 v3, v3, v42
	v_cndmask_b32_e64 v42, 0, 1, vcc_lo
	v_add_co_ci_u32_e64 v94, null, 0, v3, vcc_lo
	v_lshrrev_b32_e32 v2, v42, v2
; %bb.6642:                             ;   in Loop: Header=BB6_5278 Depth=2
	s_andn2_saveexec_b32 s12, s12
; %bb.6643:                             ;   in Loop: Header=BB6_5278 Depth=2
	v_bfe_u32 v94, v2, 23, 1
; %bb.6644:                             ;   in Loop: Header=BB6_5278 Depth=2
	s_or_b32 exec_lo, exec_lo, s12
	v_lshrrev_b32_e32 v2, 21, v2
	v_min_i32_e32 v3, 31, v94
	v_cmp_gt_i32_e32 vcc_lo, 32, v94
	v_and_b32_sdwa v42, v95, v44 dst_sel:DWORD dst_unused:UNUSED_PAD src0_sel:BYTE_3 src1_sel:DWORD
	v_lshlrev_b32_e32 v3, 2, v3
	v_cndmask_b32_e32 v2, 3, v2, vcc_lo
	v_and_b32_e32 v3, 0xfc, v3
	v_and_b32_e32 v95, 3, v2
	v_or_b32_e32 v2, v94, v2
	v_or3_b32 v3, v42, v3, v95
	v_cmp_ne_u32_e32 vcc_lo, 0, v2
	v_lshlrev_b32_e32 v3, 8, v3
	v_cndmask_b32_e32 v94, 0, v3, vcc_lo
.LBB6_6645:                             ;   in Loop: Header=BB6_5278 Depth=2
	s_or_b32 exec_lo, exec_lo, s29
.LBB6_6646:                             ;   in Loop: Header=BB6_5278 Depth=2
	s_or_b32 exec_lo, exec_lo, s28
	v_and_b32_sdwa v95, v23, v46 dst_sel:DWORD dst_unused:UNUSED_PAD src0_sel:WORD_1 src1_sel:DWORD
	s_andn2_b32 vcc_lo, exec_lo, s27
	s_mov_b32 s28, -1
                                        ; implicit-def: $vgpr104
	v_cmp_lt_i16_e64 s12, 0x7f, v95
	s_cbranch_vccnz .LBB6_6660
; %bb.6647:                             ;   in Loop: Header=BB6_5278 Depth=2
	s_mov_b32 s28, 0
	s_and_saveexec_b32 s29, s12
	s_xor_b32 s12, exec_lo, s29
	s_cbranch_execz .LBB6_7884
; %bb.6648:                             ;   in Loop: Header=BB6_5278 Depth=2
	s_mov_b32 s28, -1
	s_mov_b32 s29, exec_lo
	v_cmpx_eq_u16_e32 0x80, v95
; %bb.6649:                             ;   in Loop: Header=BB6_5278 Depth=2
	s_xor_b32 s28, exec_lo, -1
; %bb.6650:                             ;   in Loop: Header=BB6_5278 Depth=2
	s_or_b32 exec_lo, exec_lo, s29
	s_and_b32 s28, s28, exec_lo
	s_or_saveexec_b32 s12, s12
	v_mov_b32_e32 v104, 0x7f800001
	s_xor_b32 exec_lo, exec_lo, s12
	s_cbranch_execnz .LBB6_7885
.LBB6_6651:                             ;   in Loop: Header=BB6_5278 Depth=2
	s_or_b32 exec_lo, exec_lo, s12
	s_and_saveexec_b32 s12, s28
	s_cbranch_execz .LBB6_6653
.LBB6_6652:                             ;   in Loop: Header=BB6_5278 Depth=2
	v_bfe_u32 v2, v23, 16, 2
	v_bfe_u32 v104, v23, 18, 5
	v_lshlrev_b32_sdwa v105, v47, v23 dst_sel:DWORD dst_unused:UNUSED_PAD src0_sel:DWORD src1_sel:WORD_1
	v_ffbh_u32_e32 v3, v2
	v_cmp_eq_u32_e32 vcc_lo, 0, v104
	v_min_u32_e32 v3, 32, v3
	v_subrev_nc_u32_e32 v42, 29, v3
	v_sub_nc_u32_e32 v3, 30, v3
	v_lshlrev_b32_sdwa v42, v42, v23 dst_sel:DWORD dst_unused:UNUSED_PAD src0_sel:DWORD src1_sel:WORD_1
	v_cndmask_b32_e32 v3, v104, v3, vcc_lo
	v_and_b32_e32 v42, 3, v42
	v_lshl_add_u32 v3, v3, 23, 0x37800000
	v_cndmask_b32_e32 v2, v2, v42, vcc_lo
	v_and_b32_e32 v42, 0x80000000, v105
	v_lshlrev_b32_e32 v2, 21, v2
	v_or3_b32 v104, v42, v3, v2
.LBB6_6653:                             ;   in Loop: Header=BB6_5278 Depth=2
	s_or_b32 exec_lo, exec_lo, s12
	v_and_b32_sdwa v3, v19, v46 dst_sel:DWORD dst_unused:UNUSED_PAD src0_sel:WORD_1 src1_sel:DWORD
	s_mov_b32 s12, 0
	s_mov_b32 s28, exec_lo
	v_cmpx_lt_i16_e32 0x7f, v3
	s_xor_b32 s28, exec_lo, s28
	s_cbranch_execz .LBB6_7886
; %bb.6654:                             ;   in Loop: Header=BB6_5278 Depth=2
	s_mov_b32 s12, -1
	s_mov_b32 s29, exec_lo
	v_cmpx_eq_u16_e32 0x80, v3
; %bb.6655:                             ;   in Loop: Header=BB6_5278 Depth=2
	s_xor_b32 s12, exec_lo, -1
; %bb.6656:                             ;   in Loop: Header=BB6_5278 Depth=2
	s_or_b32 exec_lo, exec_lo, s29
	s_and_b32 s12, s12, exec_lo
                                        ; implicit-def: $vgpr3
	s_or_saveexec_b32 s28, s28
	v_mov_b32_e32 v2, 0x7f800001
	s_xor_b32 exec_lo, exec_lo, s28
	s_cbranch_execnz .LBB6_7887
.LBB6_6657:                             ;   in Loop: Header=BB6_5278 Depth=2
	s_or_b32 exec_lo, exec_lo, s28
	s_and_saveexec_b32 s28, s12
	s_cbranch_execz .LBB6_6659
.LBB6_6658:                             ;   in Loop: Header=BB6_5278 Depth=2
	v_bfe_u32 v2, v19, 16, 2
	v_bfe_u32 v105, v19, 18, 5
	v_lshlrev_b32_sdwa v106, v47, v19 dst_sel:DWORD dst_unused:UNUSED_PAD src0_sel:DWORD src1_sel:WORD_1
	v_ffbh_u32_e32 v3, v2
	v_cmp_eq_u32_e32 vcc_lo, 0, v105
	v_min_u32_e32 v3, 32, v3
	v_subrev_nc_u32_e32 v42, 29, v3
	v_sub_nc_u32_e32 v3, 30, v3
	v_lshlrev_b32_sdwa v42, v42, v19 dst_sel:DWORD dst_unused:UNUSED_PAD src0_sel:DWORD src1_sel:WORD_1
	v_cndmask_b32_e32 v3, v105, v3, vcc_lo
	v_and_b32_e32 v42, 3, v42
	v_lshl_add_u32 v3, v3, 23, 0x37800000
	v_cndmask_b32_e32 v2, v2, v42, vcc_lo
	v_and_b32_e32 v42, 0x80000000, v106
	v_lshlrev_b32_e32 v2, 21, v2
	v_or3_b32 v2, v42, v3, v2
.LBB6_6659:                             ;   in Loop: Header=BB6_5278 Depth=2
	s_or_b32 exec_lo, exec_lo, s28
	v_max_f32_e32 v2, v2, v2
	v_max_f32_e32 v3, v104, v104
	s_mov_b32 s28, 0
	v_max_f32_e32 v104, v3, v2
.LBB6_6660:                             ;   in Loop: Header=BB6_5278 Depth=2
	s_and_b32 vcc_lo, exec_lo, s28
	s_cbranch_vccz .LBB6_6674
; %bb.6661:                             ;   in Loop: Header=BB6_5278 Depth=2
	s_mov_b32 s12, 0
	s_mov_b32 s28, exec_lo
	v_cmpx_lt_i16_e32 0x7f, v95
	s_xor_b32 s28, exec_lo, s28
	s_cbranch_execz .LBB6_7888
; %bb.6662:                             ;   in Loop: Header=BB6_5278 Depth=2
	s_mov_b32 s12, -1
	s_mov_b32 s29, exec_lo
	v_cmpx_eq_u16_e32 0x80, v95
; %bb.6663:                             ;   in Loop: Header=BB6_5278 Depth=2
	s_xor_b32 s12, exec_lo, -1
; %bb.6664:                             ;   in Loop: Header=BB6_5278 Depth=2
	s_or_b32 exec_lo, exec_lo, s29
	s_and_b32 s12, s12, exec_lo
                                        ; implicit-def: $vgpr95
	s_or_saveexec_b32 s28, s28
	v_mov_b32_e32 v104, 0x7f800001
	s_xor_b32 exec_lo, exec_lo, s28
	s_cbranch_execnz .LBB6_7889
.LBB6_6665:                             ;   in Loop: Header=BB6_5278 Depth=2
	s_or_b32 exec_lo, exec_lo, s28
	s_and_saveexec_b32 s28, s12
	s_cbranch_execz .LBB6_6667
.LBB6_6666:                             ;   in Loop: Header=BB6_5278 Depth=2
	v_bfe_u32 v2, v23, 16, 2
	v_bfe_u32 v95, v23, 18, 5
	v_lshlrev_b32_sdwa v104, v47, v23 dst_sel:DWORD dst_unused:UNUSED_PAD src0_sel:DWORD src1_sel:WORD_1
	v_ffbh_u32_e32 v3, v2
	v_cmp_eq_u32_e32 vcc_lo, 0, v95
	v_min_u32_e32 v3, 32, v3
	v_subrev_nc_u32_e32 v42, 29, v3
	v_sub_nc_u32_e32 v3, 30, v3
	v_lshlrev_b32_sdwa v42, v42, v23 dst_sel:DWORD dst_unused:UNUSED_PAD src0_sel:DWORD src1_sel:WORD_1
	v_cndmask_b32_e32 v3, v95, v3, vcc_lo
	v_and_b32_e32 v42, 3, v42
	v_lshl_add_u32 v3, v3, 23, 0x37800000
	v_cndmask_b32_e32 v2, v2, v42, vcc_lo
	v_and_b32_e32 v42, 0x80000000, v104
	v_lshlrev_b32_e32 v2, 21, v2
	v_or3_b32 v104, v42, v3, v2
.LBB6_6667:                             ;   in Loop: Header=BB6_5278 Depth=2
	s_or_b32 exec_lo, exec_lo, s28
	v_and_b32_sdwa v3, v19, v46 dst_sel:DWORD dst_unused:UNUSED_PAD src0_sel:WORD_1 src1_sel:DWORD
	s_mov_b32 s12, 0
	s_mov_b32 s28, exec_lo
	v_cmpx_lt_i16_e32 0x7f, v3
	s_xor_b32 s28, exec_lo, s28
	s_cbranch_execz .LBB6_7890
; %bb.6668:                             ;   in Loop: Header=BB6_5278 Depth=2
	s_mov_b32 s12, -1
	s_mov_b32 s29, exec_lo
	v_cmpx_eq_u16_e32 0x80, v3
; %bb.6669:                             ;   in Loop: Header=BB6_5278 Depth=2
	s_xor_b32 s12, exec_lo, -1
; %bb.6670:                             ;   in Loop: Header=BB6_5278 Depth=2
	s_or_b32 exec_lo, exec_lo, s29
	s_and_b32 s12, s12, exec_lo
                                        ; implicit-def: $vgpr3
	s_or_saveexec_b32 s28, s28
	v_mov_b32_e32 v2, 0x7f800001
	s_xor_b32 exec_lo, exec_lo, s28
	s_cbranch_execnz .LBB6_7891
.LBB6_6671:                             ;   in Loop: Header=BB6_5278 Depth=2
	s_or_b32 exec_lo, exec_lo, s28
	s_and_saveexec_b32 s28, s12
	s_cbranch_execz .LBB6_6673
.LBB6_6672:                             ;   in Loop: Header=BB6_5278 Depth=2
	v_bfe_u32 v2, v19, 16, 2
	v_bfe_u32 v95, v19, 18, 5
	v_lshlrev_b32_sdwa v105, v47, v19 dst_sel:DWORD dst_unused:UNUSED_PAD src0_sel:DWORD src1_sel:WORD_1
	v_ffbh_u32_e32 v3, v2
	v_cmp_eq_u32_e32 vcc_lo, 0, v95
	v_min_u32_e32 v3, 32, v3
	v_subrev_nc_u32_e32 v42, 29, v3
	v_sub_nc_u32_e32 v3, 30, v3
	v_lshlrev_b32_sdwa v42, v42, v19 dst_sel:DWORD dst_unused:UNUSED_PAD src0_sel:DWORD src1_sel:WORD_1
	v_cndmask_b32_e32 v3, v95, v3, vcc_lo
	v_and_b32_e32 v42, 3, v42
	v_lshl_add_u32 v3, v3, 23, 0x37800000
	v_cndmask_b32_e32 v2, v2, v42, vcc_lo
	v_and_b32_e32 v42, 0x80000000, v105
	v_lshlrev_b32_e32 v2, 21, v2
	v_or3_b32 v2, v42, v3, v2
.LBB6_6673:                             ;   in Loop: Header=BB6_5278 Depth=2
	s_or_b32 exec_lo, exec_lo, s28
	v_max_f32_e32 v2, v2, v2
	v_max_f32_e32 v3, v104, v104
	v_min_f32_e32 v104, v3, v2
.LBB6_6674:                             ;   in Loop: Header=BB6_5278 Depth=2
	v_and_b32_e32 v2, 0x7f800000, v104
	v_mov_b32_e32 v95, 0x80
	s_mov_b32 s28, exec_lo
	v_cmpx_ne_u32_e32 0x7f800000, v2
	s_cbranch_execz .LBB6_6682
; %bb.6675:                             ;   in Loop: Header=BB6_5278 Depth=2
	v_mov_b32_e32 v95, 0
	s_mov_b32 s29, exec_lo
	v_cmpx_ne_u32_e32 0, v104
	s_cbranch_execz .LBB6_6681
; %bb.6676:                             ;   in Loop: Header=BB6_5278 Depth=2
	v_bfe_u32 v2, v104, 23, 8
	v_and_b32_e32 v3, 0x7fffff, v104
	v_sub_nc_u32_e32 v42, 0x70, v2
	v_cmp_gt_u32_e32 vcc_lo, 0x71, v2
	v_or_b32_e32 v95, 0x800000, v3
	v_cndmask_b32_e32 v42, 0, v42, vcc_lo
	v_cmp_eq_u32_e32 vcc_lo, 0, v2
	v_add_nc_u32_e32 v2, 0xffffff91, v2
	v_cndmask_b32_e64 v42, v42, 0x6f, vcc_lo
	v_cndmask_b32_e32 v3, v95, v3, vcc_lo
	v_cndmask_b32_e64 v2, v2, 0xffffff92, vcc_lo
	v_lshl_add_u32 v105, 0x200000, v42, -1
	v_lshrrev_b32_e32 v95, v42, v3
	v_lshlrev_b32_e64 v107, v42, 0x100000
	v_and_b32_e32 v3, v105, v3
	v_bfe_u32 v106, v95, 21, 1
	v_cmp_eq_u32_e64 s12, v3, v107
	v_add_nc_u32_e32 v105, -1, v106
	v_lshrrev_b32_e32 v106, 23, v95
	v_cndmask_b32_e64 v3, 0, v105, s12
	s_mov_b32 s12, exec_lo
	v_add_nc_u32_e32 v105, v3, v95
	v_add_nc_u32_e32 v3, v42, v2
	v_xor_b32_e32 v42, 1, v106
	v_and_b32_e32 v2, 0x1fffff, v105
	v_add_nc_u32_e32 v2, v2, v95
                                        ; implicit-def: $vgpr95
	v_cmpx_ne_u32_e64 v3, v42
	s_xor_b32 s12, exec_lo, s12
; %bb.6677:                             ;   in Loop: Header=BB6_5278 Depth=2
	v_cmp_lt_u32_e32 vcc_lo, 0xffffff, v2
	v_sub_nc_u32_e32 v3, v3, v42
	v_cndmask_b32_e64 v42, 0, 1, vcc_lo
	v_add_co_ci_u32_e64 v95, null, 0, v3, vcc_lo
	v_lshrrev_b32_e32 v2, v42, v2
; %bb.6678:                             ;   in Loop: Header=BB6_5278 Depth=2
	s_andn2_saveexec_b32 s12, s12
; %bb.6679:                             ;   in Loop: Header=BB6_5278 Depth=2
	v_bfe_u32 v95, v2, 23, 1
; %bb.6680:                             ;   in Loop: Header=BB6_5278 Depth=2
	s_or_b32 exec_lo, exec_lo, s12
	v_lshrrev_b32_e32 v2, 21, v2
	v_min_i32_e32 v3, 31, v95
	v_cmp_gt_i32_e32 vcc_lo, 32, v95
	v_and_b32_sdwa v42, v104, v44 dst_sel:DWORD dst_unused:UNUSED_PAD src0_sel:BYTE_3 src1_sel:DWORD
	v_lshlrev_b32_e32 v3, 2, v3
	v_cndmask_b32_e32 v2, 3, v2, vcc_lo
	v_and_b32_e32 v3, 0xfc, v3
	v_and_b32_e32 v104, 3, v2
	v_or_b32_e32 v2, v95, v2
	v_or3_b32 v3, v3, v42, v104
	v_cmp_ne_u32_e32 vcc_lo, 0, v2
	v_cndmask_b32_e32 v95, 0, v3, vcc_lo
.LBB6_6681:                             ;   in Loop: Header=BB6_5278 Depth=2
	s_or_b32 exec_lo, exec_lo, s29
.LBB6_6682:                             ;   in Loop: Header=BB6_5278 Depth=2
	s_or_b32 exec_lo, exec_lo, s28
	v_cmp_gt_i16_sdwa s28, v23, v43 src0_sel:BYTE_3 src1_sel:DWORD
	s_andn2_b32 vcc_lo, exec_lo, s27
	s_mov_b32 s12, -1
                                        ; implicit-def: $vgpr104
	s_cbranch_vccnz .LBB6_6696
; %bb.6683:                             ;   in Loop: Header=BB6_5278 Depth=2
	s_mov_b32 s12, 0
	s_and_saveexec_b32 s29, s28
	s_xor_b32 s28, exec_lo, s29
	s_cbranch_execz .LBB6_7892
; %bb.6684:                             ;   in Loop: Header=BB6_5278 Depth=2
	v_cmp_eq_u16_sdwa s40, v23, v44 src0_sel:BYTE_3 src1_sel:DWORD
	s_mov_b32 s12, -1
	s_and_saveexec_b32 s29, s40
; %bb.6685:                             ;   in Loop: Header=BB6_5278 Depth=2
	s_xor_b32 s12, exec_lo, -1
; %bb.6686:                             ;   in Loop: Header=BB6_5278 Depth=2
	s_or_b32 exec_lo, exec_lo, s29
	s_and_b32 s12, s12, exec_lo
	s_or_saveexec_b32 s28, s28
	v_mov_b32_e32 v104, 0x7f800001
	s_xor_b32 exec_lo, exec_lo, s28
	s_cbranch_execnz .LBB6_7893
.LBB6_6687:                             ;   in Loop: Header=BB6_5278 Depth=2
	s_or_b32 exec_lo, exec_lo, s28
	s_and_saveexec_b32 s28, s12
	s_cbranch_execz .LBB6_6689
.LBB6_6688:                             ;   in Loop: Header=BB6_5278 Depth=2
	v_bfe_u32 v2, v23, 24, 2
	v_bfe_u32 v104, v23, 26, 5
	v_ffbh_u32_e32 v3, v2
	v_cmp_eq_u32_e32 vcc_lo, 0, v104
	v_min_u32_e32 v3, 32, v3
	v_subrev_nc_u32_e32 v42, 29, v3
	v_sub_nc_u32_e32 v3, 30, v3
	v_lshlrev_b32_sdwa v42, v42, v23 dst_sel:DWORD dst_unused:UNUSED_PAD src0_sel:DWORD src1_sel:BYTE_3
	v_cndmask_b32_e32 v3, v104, v3, vcc_lo
	v_and_b32_e32 v42, 3, v42
	v_lshl_add_u32 v3, v3, 23, 0x37800000
	v_cndmask_b32_e32 v2, v2, v42, vcc_lo
	v_and_b32_e32 v42, 0x80000000, v23
	v_lshlrev_b32_e32 v2, 21, v2
	v_or3_b32 v104, v42, v3, v2
.LBB6_6689:                             ;   in Loop: Header=BB6_5278 Depth=2
	s_or_b32 exec_lo, exec_lo, s28
	v_cmp_gt_i16_sdwa s28, v19, v43 src0_sel:BYTE_3 src1_sel:DWORD
	s_mov_b32 s12, 0
	s_and_saveexec_b32 s29, s28
	s_xor_b32 s28, exec_lo, s29
	s_cbranch_execz .LBB6_7894
; %bb.6690:                             ;   in Loop: Header=BB6_5278 Depth=2
	v_cmp_eq_u16_sdwa s40, v19, v44 src0_sel:BYTE_3 src1_sel:DWORD
	s_mov_b32 s12, -1
	s_and_saveexec_b32 s29, s40
; %bb.6691:                             ;   in Loop: Header=BB6_5278 Depth=2
	s_xor_b32 s12, exec_lo, -1
; %bb.6692:                             ;   in Loop: Header=BB6_5278 Depth=2
	s_or_b32 exec_lo, exec_lo, s29
	s_and_b32 s12, s12, exec_lo
	s_or_saveexec_b32 s28, s28
	v_mov_b32_e32 v2, 0x7f800001
	s_xor_b32 exec_lo, exec_lo, s28
	s_cbranch_execnz .LBB6_7895
.LBB6_6693:                             ;   in Loop: Header=BB6_5278 Depth=2
	s_or_b32 exec_lo, exec_lo, s28
	s_and_saveexec_b32 s28, s12
	s_cbranch_execz .LBB6_6695
.LBB6_6694:                             ;   in Loop: Header=BB6_5278 Depth=2
	v_bfe_u32 v2, v19, 24, 2
	v_bfe_u32 v105, v19, 26, 5
	v_ffbh_u32_e32 v3, v2
	v_cmp_eq_u32_e32 vcc_lo, 0, v105
	v_min_u32_e32 v3, 32, v3
	v_subrev_nc_u32_e32 v42, 29, v3
	v_sub_nc_u32_e32 v3, 30, v3
	v_lshlrev_b32_sdwa v42, v42, v19 dst_sel:DWORD dst_unused:UNUSED_PAD src0_sel:DWORD src1_sel:BYTE_3
	v_cndmask_b32_e32 v3, v105, v3, vcc_lo
	v_and_b32_e32 v42, 3, v42
	v_lshl_add_u32 v3, v3, 23, 0x37800000
	v_cndmask_b32_e32 v2, v2, v42, vcc_lo
	v_and_b32_e32 v42, 0x80000000, v19
	v_lshlrev_b32_e32 v2, 21, v2
	v_or3_b32 v2, v42, v3, v2
.LBB6_6695:                             ;   in Loop: Header=BB6_5278 Depth=2
	s_or_b32 exec_lo, exec_lo, s28
	v_max_f32_e32 v2, v2, v2
	v_max_f32_e32 v3, v104, v104
	s_mov_b32 s12, 0
	v_max_f32_e32 v104, v3, v2
.LBB6_6696:                             ;   in Loop: Header=BB6_5278 Depth=2
	s_and_b32 vcc_lo, exec_lo, s12
	s_cbranch_vccz .LBB6_6710
; %bb.6697:                             ;   in Loop: Header=BB6_5278 Depth=2
	v_cmp_gt_i16_sdwa s28, v23, v43 src0_sel:BYTE_3 src1_sel:DWORD
	s_mov_b32 s12, 0
	s_and_saveexec_b32 s29, s28
	s_xor_b32 s28, exec_lo, s29
	s_cbranch_execz .LBB6_7896
; %bb.6698:                             ;   in Loop: Header=BB6_5278 Depth=2
	v_cmp_eq_u16_sdwa s40, v23, v44 src0_sel:BYTE_3 src1_sel:DWORD
	s_mov_b32 s12, -1
	s_and_saveexec_b32 s29, s40
; %bb.6699:                             ;   in Loop: Header=BB6_5278 Depth=2
	s_xor_b32 s12, exec_lo, -1
; %bb.6700:                             ;   in Loop: Header=BB6_5278 Depth=2
	s_or_b32 exec_lo, exec_lo, s29
	s_and_b32 s12, s12, exec_lo
	s_or_saveexec_b32 s28, s28
	v_mov_b32_e32 v104, 0x7f800001
	s_xor_b32 exec_lo, exec_lo, s28
	s_cbranch_execnz .LBB6_7897
.LBB6_6701:                             ;   in Loop: Header=BB6_5278 Depth=2
	s_or_b32 exec_lo, exec_lo, s28
	s_and_saveexec_b32 s28, s12
	s_cbranch_execz .LBB6_6703
.LBB6_6702:                             ;   in Loop: Header=BB6_5278 Depth=2
	v_bfe_u32 v2, v23, 24, 2
	v_bfe_u32 v104, v23, 26, 5
	v_ffbh_u32_e32 v3, v2
	v_cmp_eq_u32_e32 vcc_lo, 0, v104
	v_min_u32_e32 v3, 32, v3
	v_subrev_nc_u32_e32 v42, 29, v3
	v_sub_nc_u32_e32 v3, 30, v3
	v_lshlrev_b32_sdwa v42, v42, v23 dst_sel:DWORD dst_unused:UNUSED_PAD src0_sel:DWORD src1_sel:BYTE_3
	v_cndmask_b32_e32 v3, v104, v3, vcc_lo
	v_and_b32_e32 v23, 0x80000000, v23
	v_and_b32_e32 v42, 3, v42
	v_lshl_add_u32 v3, v3, 23, 0x37800000
	v_cndmask_b32_e32 v2, v2, v42, vcc_lo
	v_lshlrev_b32_e32 v2, 21, v2
	v_or3_b32 v104, v23, v3, v2
.LBB6_6703:                             ;   in Loop: Header=BB6_5278 Depth=2
	s_or_b32 exec_lo, exec_lo, s28
	v_cmp_gt_i16_sdwa s28, v19, v43 src0_sel:BYTE_3 src1_sel:DWORD
	s_mov_b32 s12, 0
	s_and_saveexec_b32 s29, s28
	s_xor_b32 s28, exec_lo, s29
	s_cbranch_execz .LBB6_7898
; %bb.6704:                             ;   in Loop: Header=BB6_5278 Depth=2
	v_cmp_eq_u16_sdwa s40, v19, v44 src0_sel:BYTE_3 src1_sel:DWORD
	s_mov_b32 s12, -1
	s_and_saveexec_b32 s29, s40
; %bb.6705:                             ;   in Loop: Header=BB6_5278 Depth=2
	s_xor_b32 s12, exec_lo, -1
; %bb.6706:                             ;   in Loop: Header=BB6_5278 Depth=2
	s_or_b32 exec_lo, exec_lo, s29
	s_and_b32 s12, s12, exec_lo
	s_or_saveexec_b32 s28, s28
	v_mov_b32_e32 v2, 0x7f800001
	s_xor_b32 exec_lo, exec_lo, s28
	s_cbranch_execnz .LBB6_7899
.LBB6_6707:                             ;   in Loop: Header=BB6_5278 Depth=2
	s_or_b32 exec_lo, exec_lo, s28
	s_and_saveexec_b32 s28, s12
	s_cbranch_execz .LBB6_6709
.LBB6_6708:                             ;   in Loop: Header=BB6_5278 Depth=2
	v_bfe_u32 v2, v19, 24, 2
	v_bfe_u32 v42, v19, 26, 5
	v_ffbh_u32_e32 v3, v2
	v_cmp_eq_u32_e32 vcc_lo, 0, v42
	v_min_u32_e32 v3, 32, v3
	v_subrev_nc_u32_e32 v23, 29, v3
	v_sub_nc_u32_e32 v3, 30, v3
	v_lshlrev_b32_sdwa v23, v23, v19 dst_sel:DWORD dst_unused:UNUSED_PAD src0_sel:DWORD src1_sel:BYTE_3
	v_cndmask_b32_e32 v3, v42, v3, vcc_lo
	v_and_b32_e32 v19, 0x80000000, v19
	v_and_b32_e32 v23, 3, v23
	v_lshl_add_u32 v3, v3, 23, 0x37800000
	v_cndmask_b32_e32 v2, v2, v23, vcc_lo
	v_lshlrev_b32_e32 v2, 21, v2
	v_or3_b32 v2, v19, v3, v2
.LBB6_6709:                             ;   in Loop: Header=BB6_5278 Depth=2
	s_or_b32 exec_lo, exec_lo, s28
	v_max_f32_e32 v2, v2, v2
	v_max_f32_e32 v3, v104, v104
	v_min_f32_e32 v104, v3, v2
.LBB6_6710:                             ;   in Loop: Header=BB6_5278 Depth=2
	v_and_b32_e32 v2, 0x7f800000, v104
	v_mov_b32_e32 v19, 0x8000
	s_mov_b32 s28, exec_lo
	v_cmpx_ne_u32_e32 0x7f800000, v2
	s_cbranch_execz .LBB6_6718
; %bb.6711:                             ;   in Loop: Header=BB6_5278 Depth=2
	v_mov_b32_e32 v19, 0
	s_mov_b32 s29, exec_lo
	v_cmpx_ne_u32_e32 0, v104
	s_cbranch_execz .LBB6_6717
; %bb.6712:                             ;   in Loop: Header=BB6_5278 Depth=2
	v_bfe_u32 v2, v104, 23, 8
	v_and_b32_e32 v3, 0x7fffff, v104
	v_sub_nc_u32_e32 v19, 0x70, v2
	v_cmp_gt_u32_e32 vcc_lo, 0x71, v2
	v_or_b32_e32 v23, 0x800000, v3
	v_cndmask_b32_e32 v19, 0, v19, vcc_lo
	v_cmp_eq_u32_e32 vcc_lo, 0, v2
	v_add_nc_u32_e32 v2, 0xffffff91, v2
	v_cndmask_b32_e64 v19, v19, 0x6f, vcc_lo
	v_cndmask_b32_e32 v3, v23, v3, vcc_lo
	v_cndmask_b32_e64 v2, v2, 0xffffff92, vcc_lo
	v_lshl_add_u32 v23, 0x200000, v19, -1
	v_lshrrev_b32_e32 v42, v19, v3
	v_lshlrev_b32_e64 v106, v19, 0x100000
	v_and_b32_e32 v3, v23, v3
	v_bfe_u32 v105, v42, 21, 1
	v_cmp_eq_u32_e64 s12, v3, v106
	v_add_nc_u32_e32 v23, -1, v105
	v_lshrrev_b32_e32 v105, 23, v42
	v_cndmask_b32_e64 v3, 0, v23, s12
	s_mov_b32 s12, exec_lo
	v_add_nc_u32_e32 v23, v3, v42
	v_add_nc_u32_e32 v3, v19, v2
                                        ; implicit-def: $vgpr19
	v_and_b32_e32 v2, 0x1fffff, v23
	v_xor_b32_e32 v23, 1, v105
	v_add_nc_u32_e32 v2, v2, v42
	v_cmpx_ne_u32_e64 v3, v23
	s_xor_b32 s12, exec_lo, s12
; %bb.6713:                             ;   in Loop: Header=BB6_5278 Depth=2
	v_cmp_lt_u32_e32 vcc_lo, 0xffffff, v2
	v_sub_nc_u32_e32 v3, v3, v23
	v_cndmask_b32_e64 v23, 0, 1, vcc_lo
	v_add_co_ci_u32_e64 v19, null, 0, v3, vcc_lo
	v_lshrrev_b32_e32 v2, v23, v2
; %bb.6714:                             ;   in Loop: Header=BB6_5278 Depth=2
	s_andn2_saveexec_b32 s12, s12
; %bb.6715:                             ;   in Loop: Header=BB6_5278 Depth=2
	v_bfe_u32 v19, v2, 23, 1
; %bb.6716:                             ;   in Loop: Header=BB6_5278 Depth=2
	s_or_b32 exec_lo, exec_lo, s12
	v_lshrrev_b32_e32 v2, 21, v2
	v_min_i32_e32 v3, 31, v19
	v_cmp_gt_i32_e32 vcc_lo, 32, v19
	v_and_b32_sdwa v23, v104, v44 dst_sel:DWORD dst_unused:UNUSED_PAD src0_sel:BYTE_3 src1_sel:DWORD
	v_lshlrev_b32_e32 v3, 2, v3
	v_cndmask_b32_e32 v2, 3, v2, vcc_lo
	v_and_b32_e32 v3, 0xfc, v3
	v_and_b32_e32 v42, 3, v2
	v_or_b32_e32 v2, v19, v2
	v_or3_b32 v3, v23, v3, v42
	v_cmp_ne_u32_e32 vcc_lo, 0, v2
	v_lshlrev_b32_e32 v3, 8, v3
	v_cndmask_b32_e32 v19, 0, v3, vcc_lo
.LBB6_6717:                             ;   in Loop: Header=BB6_5278 Depth=2
	s_or_b32 exec_lo, exec_lo, s29
.LBB6_6718:                             ;   in Loop: Header=BB6_5278 Depth=2
	s_or_b32 exec_lo, exec_lo, s28
	v_cmp_gt_i16_sdwa s28, v24, v43 src0_sel:BYTE_0 src1_sel:DWORD
	s_andn2_b32 vcc_lo, exec_lo, s27
	s_mov_b32 s12, -1
                                        ; implicit-def: $vgpr104
	s_cbranch_vccnz .LBB6_6732
; %bb.6719:                             ;   in Loop: Header=BB6_5278 Depth=2
	s_mov_b32 s12, 0
	s_and_saveexec_b32 s29, s28
	s_xor_b32 s28, exec_lo, s29
	s_cbranch_execz .LBB6_7900
; %bb.6720:                             ;   in Loop: Header=BB6_5278 Depth=2
	v_cmp_eq_u16_sdwa s40, v24, v44 src0_sel:BYTE_0 src1_sel:DWORD
	s_mov_b32 s12, -1
	s_and_saveexec_b32 s29, s40
; %bb.6721:                             ;   in Loop: Header=BB6_5278 Depth=2
	s_xor_b32 s12, exec_lo, -1
; %bb.6722:                             ;   in Loop: Header=BB6_5278 Depth=2
	s_or_b32 exec_lo, exec_lo, s29
	s_and_b32 s12, s12, exec_lo
	s_or_saveexec_b32 s28, s28
	v_mov_b32_e32 v23, 0x7f800001
	s_xor_b32 exec_lo, exec_lo, s28
	s_cbranch_execnz .LBB6_7901
.LBB6_6723:                             ;   in Loop: Header=BB6_5278 Depth=2
	s_or_b32 exec_lo, exec_lo, s28
	s_and_saveexec_b32 s28, s12
	s_cbranch_execz .LBB6_6725
.LBB6_6724:                             ;   in Loop: Header=BB6_5278 Depth=2
	v_and_b32_e32 v2, 3, v24
	v_bfe_u32 v42, v24, 2, 5
	v_lshlrev_b32_e32 v104, 24, v24
	v_ffbh_u32_e32 v3, v2
	v_cmp_eq_u32_e32 vcc_lo, 0, v42
	v_min_u32_e32 v3, 32, v3
	v_subrev_nc_u32_e32 v23, 29, v3
	v_sub_nc_u32_e32 v3, 30, v3
	v_lshlrev_b32_e32 v23, v23, v24
	v_cndmask_b32_e32 v3, v42, v3, vcc_lo
	v_and_b32_e32 v23, 3, v23
	v_lshl_add_u32 v3, v3, 23, 0x37800000
	v_cndmask_b32_e32 v2, v2, v23, vcc_lo
	v_and_b32_e32 v23, 0x80000000, v104
	v_lshlrev_b32_e32 v2, 21, v2
	v_or3_b32 v23, v23, v3, v2
.LBB6_6725:                             ;   in Loop: Header=BB6_5278 Depth=2
	s_or_b32 exec_lo, exec_lo, s28
	v_cmp_gt_i16_sdwa s28, v20, v43 src0_sel:BYTE_0 src1_sel:DWORD
	s_mov_b32 s12, 0
	s_and_saveexec_b32 s29, s28
	s_xor_b32 s28, exec_lo, s29
	s_cbranch_execz .LBB6_7902
; %bb.6726:                             ;   in Loop: Header=BB6_5278 Depth=2
	v_cmp_eq_u16_sdwa s40, v20, v44 src0_sel:BYTE_0 src1_sel:DWORD
	s_mov_b32 s12, -1
	s_and_saveexec_b32 s29, s40
; %bb.6727:                             ;   in Loop: Header=BB6_5278 Depth=2
	s_xor_b32 s12, exec_lo, -1
; %bb.6728:                             ;   in Loop: Header=BB6_5278 Depth=2
	s_or_b32 exec_lo, exec_lo, s29
	s_and_b32 s12, s12, exec_lo
	s_or_saveexec_b32 s28, s28
	v_mov_b32_e32 v2, 0x7f800001
	s_xor_b32 exec_lo, exec_lo, s28
	s_cbranch_execnz .LBB6_7903
.LBB6_6729:                             ;   in Loop: Header=BB6_5278 Depth=2
	s_or_b32 exec_lo, exec_lo, s28
	s_and_saveexec_b32 s28, s12
	s_cbranch_execz .LBB6_6731
.LBB6_6730:                             ;   in Loop: Header=BB6_5278 Depth=2
	v_and_b32_e32 v2, 3, v20
	v_bfe_u32 v104, v20, 2, 5
	v_lshlrev_b32_e32 v105, 24, v20
	v_ffbh_u32_e32 v3, v2
	v_cmp_eq_u32_e32 vcc_lo, 0, v104
	v_min_u32_e32 v3, 32, v3
	v_subrev_nc_u32_e32 v42, 29, v3
	v_sub_nc_u32_e32 v3, 30, v3
	v_lshlrev_b32_e32 v42, v42, v20
	v_cndmask_b32_e32 v3, v104, v3, vcc_lo
	v_and_b32_e32 v42, 3, v42
	v_lshl_add_u32 v3, v3, 23, 0x37800000
	v_cndmask_b32_e32 v2, v2, v42, vcc_lo
	v_and_b32_e32 v42, 0x80000000, v105
	v_lshlrev_b32_e32 v2, 21, v2
	v_or3_b32 v2, v42, v3, v2
.LBB6_6731:                             ;   in Loop: Header=BB6_5278 Depth=2
	s_or_b32 exec_lo, exec_lo, s28
	v_max_f32_e32 v2, v2, v2
	v_max_f32_e32 v3, v23, v23
	s_mov_b32 s12, 0
	v_max_f32_e32 v104, v3, v2
.LBB6_6732:                             ;   in Loop: Header=BB6_5278 Depth=2
	s_and_b32 vcc_lo, exec_lo, s12
	s_cbranch_vccz .LBB6_6746
; %bb.6733:                             ;   in Loop: Header=BB6_5278 Depth=2
	v_cmp_gt_i16_sdwa s28, v24, v43 src0_sel:BYTE_0 src1_sel:DWORD
	s_mov_b32 s12, 0
	s_and_saveexec_b32 s29, s28
	s_xor_b32 s28, exec_lo, s29
	s_cbranch_execz .LBB6_7904
; %bb.6734:                             ;   in Loop: Header=BB6_5278 Depth=2
	v_cmp_eq_u16_sdwa s40, v24, v44 src0_sel:BYTE_0 src1_sel:DWORD
	s_mov_b32 s12, -1
	s_and_saveexec_b32 s29, s40
; %bb.6735:                             ;   in Loop: Header=BB6_5278 Depth=2
	s_xor_b32 s12, exec_lo, -1
; %bb.6736:                             ;   in Loop: Header=BB6_5278 Depth=2
	s_or_b32 exec_lo, exec_lo, s29
	s_and_b32 s12, s12, exec_lo
	s_or_saveexec_b32 s28, s28
	v_mov_b32_e32 v23, 0x7f800001
	s_xor_b32 exec_lo, exec_lo, s28
	s_cbranch_execnz .LBB6_7905
.LBB6_6737:                             ;   in Loop: Header=BB6_5278 Depth=2
	s_or_b32 exec_lo, exec_lo, s28
	s_and_saveexec_b32 s28, s12
	s_cbranch_execz .LBB6_6739
.LBB6_6738:                             ;   in Loop: Header=BB6_5278 Depth=2
	v_and_b32_e32 v2, 3, v24
	v_bfe_u32 v42, v24, 2, 5
	v_lshlrev_b32_e32 v104, 24, v24
	v_ffbh_u32_e32 v3, v2
	v_cmp_eq_u32_e32 vcc_lo, 0, v42
	v_min_u32_e32 v3, 32, v3
	v_subrev_nc_u32_e32 v23, 29, v3
	v_sub_nc_u32_e32 v3, 30, v3
	v_lshlrev_b32_e32 v23, v23, v24
	v_cndmask_b32_e32 v3, v42, v3, vcc_lo
	v_and_b32_e32 v23, 3, v23
	v_lshl_add_u32 v3, v3, 23, 0x37800000
	v_cndmask_b32_e32 v2, v2, v23, vcc_lo
	v_and_b32_e32 v23, 0x80000000, v104
	v_lshlrev_b32_e32 v2, 21, v2
	v_or3_b32 v23, v23, v3, v2
.LBB6_6739:                             ;   in Loop: Header=BB6_5278 Depth=2
	s_or_b32 exec_lo, exec_lo, s28
	v_cmp_gt_i16_sdwa s28, v20, v43 src0_sel:BYTE_0 src1_sel:DWORD
	s_mov_b32 s12, 0
	s_and_saveexec_b32 s29, s28
	s_xor_b32 s28, exec_lo, s29
	s_cbranch_execz .LBB6_7906
; %bb.6740:                             ;   in Loop: Header=BB6_5278 Depth=2
	v_cmp_eq_u16_sdwa s40, v20, v44 src0_sel:BYTE_0 src1_sel:DWORD
	s_mov_b32 s12, -1
	s_and_saveexec_b32 s29, s40
; %bb.6741:                             ;   in Loop: Header=BB6_5278 Depth=2
	s_xor_b32 s12, exec_lo, -1
; %bb.6742:                             ;   in Loop: Header=BB6_5278 Depth=2
	s_or_b32 exec_lo, exec_lo, s29
	s_and_b32 s12, s12, exec_lo
	s_or_saveexec_b32 s28, s28
	v_mov_b32_e32 v2, 0x7f800001
	s_xor_b32 exec_lo, exec_lo, s28
	s_cbranch_execnz .LBB6_7907
.LBB6_6743:                             ;   in Loop: Header=BB6_5278 Depth=2
	s_or_b32 exec_lo, exec_lo, s28
	s_and_saveexec_b32 s28, s12
	s_cbranch_execz .LBB6_6745
.LBB6_6744:                             ;   in Loop: Header=BB6_5278 Depth=2
	v_and_b32_e32 v2, 3, v20
	v_bfe_u32 v104, v20, 2, 5
	v_lshlrev_b32_e32 v105, 24, v20
	v_ffbh_u32_e32 v3, v2
	v_cmp_eq_u32_e32 vcc_lo, 0, v104
	v_min_u32_e32 v3, 32, v3
	v_subrev_nc_u32_e32 v42, 29, v3
	v_sub_nc_u32_e32 v3, 30, v3
	v_lshlrev_b32_e32 v42, v42, v20
	v_cndmask_b32_e32 v3, v104, v3, vcc_lo
	v_and_b32_e32 v42, 3, v42
	v_lshl_add_u32 v3, v3, 23, 0x37800000
	v_cndmask_b32_e32 v2, v2, v42, vcc_lo
	v_and_b32_e32 v42, 0x80000000, v105
	v_lshlrev_b32_e32 v2, 21, v2
	v_or3_b32 v2, v42, v3, v2
.LBB6_6745:                             ;   in Loop: Header=BB6_5278 Depth=2
	s_or_b32 exec_lo, exec_lo, s28
	v_max_f32_e32 v2, v2, v2
	v_max_f32_e32 v3, v23, v23
	v_min_f32_e32 v104, v3, v2
.LBB6_6746:                             ;   in Loop: Header=BB6_5278 Depth=2
	v_and_b32_e32 v2, 0x7f800000, v104
	v_mov_b32_e32 v23, 0x80
	s_mov_b32 s28, exec_lo
	v_cmpx_ne_u32_e32 0x7f800000, v2
	s_cbranch_execz .LBB6_6754
; %bb.6747:                             ;   in Loop: Header=BB6_5278 Depth=2
	v_mov_b32_e32 v23, 0
	s_mov_b32 s29, exec_lo
	v_cmpx_ne_u32_e32 0, v104
	s_cbranch_execz .LBB6_6753
; %bb.6748:                             ;   in Loop: Header=BB6_5278 Depth=2
	v_bfe_u32 v2, v104, 23, 8
	v_and_b32_e32 v3, 0x7fffff, v104
	v_sub_nc_u32_e32 v23, 0x70, v2
	v_cmp_gt_u32_e32 vcc_lo, 0x71, v2
	v_or_b32_e32 v42, 0x800000, v3
	v_cndmask_b32_e32 v23, 0, v23, vcc_lo
	v_cmp_eq_u32_e32 vcc_lo, 0, v2
	v_add_nc_u32_e32 v2, 0xffffff91, v2
	v_cndmask_b32_e64 v23, v23, 0x6f, vcc_lo
	v_cndmask_b32_e32 v3, v42, v3, vcc_lo
	v_cndmask_b32_e64 v2, v2, 0xffffff92, vcc_lo
	v_lshl_add_u32 v42, 0x200000, v23, -1
	v_lshrrev_b32_e32 v105, v23, v3
	v_lshlrev_b32_e64 v107, v23, 0x100000
	v_and_b32_e32 v3, v42, v3
	v_bfe_u32 v106, v105, 21, 1
	v_cmp_eq_u32_e64 s12, v3, v107
	v_add_nc_u32_e32 v42, -1, v106
	v_lshrrev_b32_e32 v106, 23, v105
	v_cndmask_b32_e64 v3, 0, v42, s12
	s_mov_b32 s12, exec_lo
	v_add_nc_u32_e32 v42, v3, v105
	v_add_nc_u32_e32 v3, v23, v2
                                        ; implicit-def: $vgpr23
	v_and_b32_e32 v2, 0x1fffff, v42
	v_xor_b32_e32 v42, 1, v106
	v_add_nc_u32_e32 v2, v2, v105
	v_cmpx_ne_u32_e64 v3, v42
	s_xor_b32 s12, exec_lo, s12
; %bb.6749:                             ;   in Loop: Header=BB6_5278 Depth=2
	v_cmp_lt_u32_e32 vcc_lo, 0xffffff, v2
	v_sub_nc_u32_e32 v3, v3, v42
	v_cndmask_b32_e64 v42, 0, 1, vcc_lo
	v_add_co_ci_u32_e64 v23, null, 0, v3, vcc_lo
	v_lshrrev_b32_e32 v2, v42, v2
; %bb.6750:                             ;   in Loop: Header=BB6_5278 Depth=2
	s_andn2_saveexec_b32 s12, s12
; %bb.6751:                             ;   in Loop: Header=BB6_5278 Depth=2
	v_bfe_u32 v23, v2, 23, 1
; %bb.6752:                             ;   in Loop: Header=BB6_5278 Depth=2
	s_or_b32 exec_lo, exec_lo, s12
	v_lshrrev_b32_e32 v2, 21, v2
	v_min_i32_e32 v3, 31, v23
	v_cmp_gt_i32_e32 vcc_lo, 32, v23
	v_and_b32_sdwa v42, v104, v44 dst_sel:DWORD dst_unused:UNUSED_PAD src0_sel:BYTE_3 src1_sel:DWORD
	v_lshlrev_b32_e32 v3, 2, v3
	v_cndmask_b32_e32 v2, 3, v2, vcc_lo
	v_and_b32_e32 v3, 0xfc, v3
	v_and_b32_e32 v104, 3, v2
	v_or_b32_e32 v2, v23, v2
	v_or3_b32 v3, v3, v42, v104
	v_cmp_ne_u32_e32 vcc_lo, 0, v2
	v_cndmask_b32_e32 v23, 0, v3, vcc_lo
.LBB6_6753:                             ;   in Loop: Header=BB6_5278 Depth=2
	s_or_b32 exec_lo, exec_lo, s29
.LBB6_6754:                             ;   in Loop: Header=BB6_5278 Depth=2
	s_or_b32 exec_lo, exec_lo, s28
	v_cmp_gt_i16_sdwa s28, v24, v43 src0_sel:BYTE_1 src1_sel:DWORD
	s_andn2_b32 vcc_lo, exec_lo, s27
	s_mov_b32 s12, -1
                                        ; implicit-def: $vgpr105
	s_cbranch_vccnz .LBB6_6768
; %bb.6755:                             ;   in Loop: Header=BB6_5278 Depth=2
	s_mov_b32 s12, 0
	s_and_saveexec_b32 s29, s28
	s_xor_b32 s28, exec_lo, s29
	s_cbranch_execz .LBB6_7908
; %bb.6756:                             ;   in Loop: Header=BB6_5278 Depth=2
	v_cmp_eq_u16_sdwa s40, v24, v44 src0_sel:BYTE_1 src1_sel:DWORD
	s_mov_b32 s12, -1
	s_and_saveexec_b32 s29, s40
; %bb.6757:                             ;   in Loop: Header=BB6_5278 Depth=2
	s_xor_b32 s12, exec_lo, -1
; %bb.6758:                             ;   in Loop: Header=BB6_5278 Depth=2
	s_or_b32 exec_lo, exec_lo, s29
	s_and_b32 s12, s12, exec_lo
	s_or_saveexec_b32 s28, s28
	v_mov_b32_e32 v104, 0x7f800001
	s_xor_b32 exec_lo, exec_lo, s28
	s_cbranch_execnz .LBB6_7909
.LBB6_6759:                             ;   in Loop: Header=BB6_5278 Depth=2
	s_or_b32 exec_lo, exec_lo, s28
	s_and_saveexec_b32 s28, s12
	s_cbranch_execz .LBB6_6761
.LBB6_6760:                             ;   in Loop: Header=BB6_5278 Depth=2
	v_and_b32_sdwa v2, v45, v24 dst_sel:DWORD dst_unused:UNUSED_PAD src0_sel:DWORD src1_sel:BYTE_1
	v_and_b32_e32 v3, 3, v2
	v_bfe_u32 v105, v2, 2, 5
	v_ffbh_u32_e32 v42, v3
	v_cmp_eq_u32_e32 vcc_lo, 0, v105
	v_min_u32_e32 v42, 32, v42
	v_subrev_nc_u32_e32 v104, 29, v42
	v_sub_nc_u32_e32 v42, 30, v42
	v_lshlrev_b32_e32 v2, v104, v2
	v_lshlrev_b32_e32 v104, 16, v24
	v_cndmask_b32_e32 v42, v105, v42, vcc_lo
	v_and_b32_e32 v2, 3, v2
	v_lshl_add_u32 v42, v42, 23, 0x37800000
	v_cndmask_b32_e32 v2, v3, v2, vcc_lo
	v_and_b32_e32 v3, 0x80000000, v104
	v_lshlrev_b32_e32 v2, 21, v2
	v_or3_b32 v104, v3, v42, v2
.LBB6_6761:                             ;   in Loop: Header=BB6_5278 Depth=2
	s_or_b32 exec_lo, exec_lo, s28
	v_cmp_gt_i16_sdwa s28, v20, v43 src0_sel:BYTE_1 src1_sel:DWORD
	s_mov_b32 s12, 0
	s_and_saveexec_b32 s29, s28
	s_xor_b32 s28, exec_lo, s29
	s_cbranch_execz .LBB6_7910
; %bb.6762:                             ;   in Loop: Header=BB6_5278 Depth=2
	v_cmp_eq_u16_sdwa s40, v20, v44 src0_sel:BYTE_1 src1_sel:DWORD
	s_mov_b32 s12, -1
	s_and_saveexec_b32 s29, s40
; %bb.6763:                             ;   in Loop: Header=BB6_5278 Depth=2
	s_xor_b32 s12, exec_lo, -1
; %bb.6764:                             ;   in Loop: Header=BB6_5278 Depth=2
	s_or_b32 exec_lo, exec_lo, s29
	s_and_b32 s12, s12, exec_lo
	s_or_saveexec_b32 s28, s28
	v_mov_b32_e32 v2, 0x7f800001
	s_xor_b32 exec_lo, exec_lo, s28
	s_cbranch_execnz .LBB6_7911
.LBB6_6765:                             ;   in Loop: Header=BB6_5278 Depth=2
	s_or_b32 exec_lo, exec_lo, s28
	s_and_saveexec_b32 s28, s12
	s_cbranch_execz .LBB6_6767
.LBB6_6766:                             ;   in Loop: Header=BB6_5278 Depth=2
	v_and_b32_sdwa v2, v45, v20 dst_sel:DWORD dst_unused:UNUSED_PAD src0_sel:DWORD src1_sel:BYTE_1
	v_and_b32_e32 v3, 3, v2
	v_bfe_u32 v106, v2, 2, 5
	v_ffbh_u32_e32 v42, v3
	v_cmp_eq_u32_e32 vcc_lo, 0, v106
	v_min_u32_e32 v42, 32, v42
	v_subrev_nc_u32_e32 v105, 29, v42
	v_sub_nc_u32_e32 v42, 30, v42
	v_lshlrev_b32_e32 v2, v105, v2
	v_lshlrev_b32_e32 v105, 16, v20
	v_cndmask_b32_e32 v42, v106, v42, vcc_lo
	v_and_b32_e32 v2, 3, v2
	v_lshl_add_u32 v42, v42, 23, 0x37800000
	v_cndmask_b32_e32 v2, v3, v2, vcc_lo
	v_and_b32_e32 v3, 0x80000000, v105
	v_lshlrev_b32_e32 v2, 21, v2
	v_or3_b32 v2, v3, v42, v2
.LBB6_6767:                             ;   in Loop: Header=BB6_5278 Depth=2
	s_or_b32 exec_lo, exec_lo, s28
	v_max_f32_e32 v2, v2, v2
	v_max_f32_e32 v3, v104, v104
	s_mov_b32 s12, 0
	v_max_f32_e32 v105, v3, v2
.LBB6_6768:                             ;   in Loop: Header=BB6_5278 Depth=2
	s_and_b32 vcc_lo, exec_lo, s12
	s_cbranch_vccz .LBB6_6782
; %bb.6769:                             ;   in Loop: Header=BB6_5278 Depth=2
	v_cmp_gt_i16_sdwa s28, v24, v43 src0_sel:BYTE_1 src1_sel:DWORD
	s_mov_b32 s12, 0
	s_and_saveexec_b32 s29, s28
	s_xor_b32 s28, exec_lo, s29
	s_cbranch_execz .LBB6_7912
; %bb.6770:                             ;   in Loop: Header=BB6_5278 Depth=2
	v_cmp_eq_u16_sdwa s40, v24, v44 src0_sel:BYTE_1 src1_sel:DWORD
	s_mov_b32 s12, -1
	s_and_saveexec_b32 s29, s40
; %bb.6771:                             ;   in Loop: Header=BB6_5278 Depth=2
	s_xor_b32 s12, exec_lo, -1
; %bb.6772:                             ;   in Loop: Header=BB6_5278 Depth=2
	s_or_b32 exec_lo, exec_lo, s29
	s_and_b32 s12, s12, exec_lo
	s_or_saveexec_b32 s28, s28
	v_mov_b32_e32 v104, 0x7f800001
	s_xor_b32 exec_lo, exec_lo, s28
	s_cbranch_execnz .LBB6_7913
.LBB6_6773:                             ;   in Loop: Header=BB6_5278 Depth=2
	s_or_b32 exec_lo, exec_lo, s28
	s_and_saveexec_b32 s28, s12
	s_cbranch_execz .LBB6_6775
.LBB6_6774:                             ;   in Loop: Header=BB6_5278 Depth=2
	v_and_b32_sdwa v2, v45, v24 dst_sel:DWORD dst_unused:UNUSED_PAD src0_sel:DWORD src1_sel:BYTE_1
	v_and_b32_e32 v3, 3, v2
	v_bfe_u32 v105, v2, 2, 5
	v_ffbh_u32_e32 v42, v3
	v_cmp_eq_u32_e32 vcc_lo, 0, v105
	v_min_u32_e32 v42, 32, v42
	v_subrev_nc_u32_e32 v104, 29, v42
	v_sub_nc_u32_e32 v42, 30, v42
	v_lshlrev_b32_e32 v2, v104, v2
	v_lshlrev_b32_e32 v104, 16, v24
	v_cndmask_b32_e32 v42, v105, v42, vcc_lo
	v_and_b32_e32 v2, 3, v2
	v_lshl_add_u32 v42, v42, 23, 0x37800000
	v_cndmask_b32_e32 v2, v3, v2, vcc_lo
	v_and_b32_e32 v3, 0x80000000, v104
	v_lshlrev_b32_e32 v2, 21, v2
	v_or3_b32 v104, v3, v42, v2
.LBB6_6775:                             ;   in Loop: Header=BB6_5278 Depth=2
	s_or_b32 exec_lo, exec_lo, s28
	v_cmp_gt_i16_sdwa s28, v20, v43 src0_sel:BYTE_1 src1_sel:DWORD
	s_mov_b32 s12, 0
	s_and_saveexec_b32 s29, s28
	s_xor_b32 s28, exec_lo, s29
	s_cbranch_execz .LBB6_7914
; %bb.6776:                             ;   in Loop: Header=BB6_5278 Depth=2
	v_cmp_eq_u16_sdwa s40, v20, v44 src0_sel:BYTE_1 src1_sel:DWORD
	s_mov_b32 s12, -1
	s_and_saveexec_b32 s29, s40
; %bb.6777:                             ;   in Loop: Header=BB6_5278 Depth=2
	s_xor_b32 s12, exec_lo, -1
; %bb.6778:                             ;   in Loop: Header=BB6_5278 Depth=2
	s_or_b32 exec_lo, exec_lo, s29
	s_and_b32 s12, s12, exec_lo
	s_or_saveexec_b32 s28, s28
	v_mov_b32_e32 v2, 0x7f800001
	s_xor_b32 exec_lo, exec_lo, s28
	s_cbranch_execnz .LBB6_7915
.LBB6_6779:                             ;   in Loop: Header=BB6_5278 Depth=2
	s_or_b32 exec_lo, exec_lo, s28
	s_and_saveexec_b32 s28, s12
	s_cbranch_execz .LBB6_6781
.LBB6_6780:                             ;   in Loop: Header=BB6_5278 Depth=2
	v_and_b32_sdwa v2, v45, v20 dst_sel:DWORD dst_unused:UNUSED_PAD src0_sel:DWORD src1_sel:BYTE_1
	v_and_b32_e32 v3, 3, v2
	v_bfe_u32 v106, v2, 2, 5
	v_ffbh_u32_e32 v42, v3
	v_cmp_eq_u32_e32 vcc_lo, 0, v106
	v_min_u32_e32 v42, 32, v42
	v_subrev_nc_u32_e32 v105, 29, v42
	v_sub_nc_u32_e32 v42, 30, v42
	v_lshlrev_b32_e32 v2, v105, v2
	v_lshlrev_b32_e32 v105, 16, v20
	v_cndmask_b32_e32 v42, v106, v42, vcc_lo
	v_and_b32_e32 v2, 3, v2
	v_lshl_add_u32 v42, v42, 23, 0x37800000
	v_cndmask_b32_e32 v2, v3, v2, vcc_lo
	v_and_b32_e32 v3, 0x80000000, v105
	v_lshlrev_b32_e32 v2, 21, v2
	v_or3_b32 v2, v3, v42, v2
.LBB6_6781:                             ;   in Loop: Header=BB6_5278 Depth=2
	s_or_b32 exec_lo, exec_lo, s28
	v_max_f32_e32 v2, v2, v2
	v_max_f32_e32 v3, v104, v104
	v_min_f32_e32 v105, v3, v2
.LBB6_6782:                             ;   in Loop: Header=BB6_5278 Depth=2
	v_and_b32_e32 v2, 0x7f800000, v105
	v_mov_b32_e32 v104, 0x8000
	s_mov_b32 s28, exec_lo
	v_cmpx_ne_u32_e32 0x7f800000, v2
	s_cbranch_execz .LBB6_6790
; %bb.6783:                             ;   in Loop: Header=BB6_5278 Depth=2
	v_mov_b32_e32 v104, 0
	s_mov_b32 s29, exec_lo
	v_cmpx_ne_u32_e32 0, v105
	s_cbranch_execz .LBB6_6789
; %bb.6784:                             ;   in Loop: Header=BB6_5278 Depth=2
	v_bfe_u32 v2, v105, 23, 8
	v_and_b32_e32 v3, 0x7fffff, v105
	v_sub_nc_u32_e32 v42, 0x70, v2
	v_cmp_gt_u32_e32 vcc_lo, 0x71, v2
	v_or_b32_e32 v104, 0x800000, v3
	v_cndmask_b32_e32 v42, 0, v42, vcc_lo
	v_cmp_eq_u32_e32 vcc_lo, 0, v2
	v_add_nc_u32_e32 v2, 0xffffff91, v2
	v_cndmask_b32_e64 v42, v42, 0x6f, vcc_lo
	v_cndmask_b32_e32 v3, v104, v3, vcc_lo
	v_cndmask_b32_e64 v2, v2, 0xffffff92, vcc_lo
	v_lshl_add_u32 v106, 0x200000, v42, -1
	v_lshrrev_b32_e32 v104, v42, v3
	v_lshlrev_b32_e64 v108, v42, 0x100000
	v_and_b32_e32 v3, v106, v3
	v_bfe_u32 v107, v104, 21, 1
	v_cmp_eq_u32_e64 s12, v3, v108
	v_add_nc_u32_e32 v106, -1, v107
	v_lshrrev_b32_e32 v107, 23, v104
	v_cndmask_b32_e64 v3, 0, v106, s12
	s_mov_b32 s12, exec_lo
	v_add_nc_u32_e32 v106, v3, v104
	v_add_nc_u32_e32 v3, v42, v2
	v_xor_b32_e32 v42, 1, v107
	v_and_b32_e32 v2, 0x1fffff, v106
	v_add_nc_u32_e32 v2, v2, v104
                                        ; implicit-def: $vgpr104
	v_cmpx_ne_u32_e64 v3, v42
	s_xor_b32 s12, exec_lo, s12
; %bb.6785:                             ;   in Loop: Header=BB6_5278 Depth=2
	v_cmp_lt_u32_e32 vcc_lo, 0xffffff, v2
	v_sub_nc_u32_e32 v3, v3, v42
	v_cndmask_b32_e64 v42, 0, 1, vcc_lo
	v_add_co_ci_u32_e64 v104, null, 0, v3, vcc_lo
	v_lshrrev_b32_e32 v2, v42, v2
; %bb.6786:                             ;   in Loop: Header=BB6_5278 Depth=2
	s_andn2_saveexec_b32 s12, s12
; %bb.6787:                             ;   in Loop: Header=BB6_5278 Depth=2
	v_bfe_u32 v104, v2, 23, 1
; %bb.6788:                             ;   in Loop: Header=BB6_5278 Depth=2
	s_or_b32 exec_lo, exec_lo, s12
	v_lshrrev_b32_e32 v2, 21, v2
	v_min_i32_e32 v3, 31, v104
	v_cmp_gt_i32_e32 vcc_lo, 32, v104
	v_and_b32_sdwa v42, v105, v44 dst_sel:DWORD dst_unused:UNUSED_PAD src0_sel:BYTE_3 src1_sel:DWORD
	v_lshlrev_b32_e32 v3, 2, v3
	v_cndmask_b32_e32 v2, 3, v2, vcc_lo
	v_and_b32_e32 v3, 0xfc, v3
	v_and_b32_e32 v105, 3, v2
	v_or_b32_e32 v2, v104, v2
	v_or3_b32 v3, v42, v3, v105
	v_cmp_ne_u32_e32 vcc_lo, 0, v2
	v_lshlrev_b32_e32 v3, 8, v3
	v_cndmask_b32_e32 v104, 0, v3, vcc_lo
.LBB6_6789:                             ;   in Loop: Header=BB6_5278 Depth=2
	s_or_b32 exec_lo, exec_lo, s29
.LBB6_6790:                             ;   in Loop: Header=BB6_5278 Depth=2
	s_or_b32 exec_lo, exec_lo, s28
	v_and_b32_sdwa v105, v24, v46 dst_sel:DWORD dst_unused:UNUSED_PAD src0_sel:WORD_1 src1_sel:DWORD
	s_andn2_b32 vcc_lo, exec_lo, s27
	s_mov_b32 s28, -1
                                        ; implicit-def: $vgpr106
	v_cmp_lt_i16_e64 s12, 0x7f, v105
	s_cbranch_vccnz .LBB6_6804
; %bb.6791:                             ;   in Loop: Header=BB6_5278 Depth=2
	s_mov_b32 s28, 0
	s_and_saveexec_b32 s29, s12
	s_xor_b32 s12, exec_lo, s29
	s_cbranch_execz .LBB6_7916
; %bb.6792:                             ;   in Loop: Header=BB6_5278 Depth=2
	s_mov_b32 s28, -1
	s_mov_b32 s29, exec_lo
	v_cmpx_eq_u16_e32 0x80, v105
; %bb.6793:                             ;   in Loop: Header=BB6_5278 Depth=2
	s_xor_b32 s28, exec_lo, -1
; %bb.6794:                             ;   in Loop: Header=BB6_5278 Depth=2
	s_or_b32 exec_lo, exec_lo, s29
	s_and_b32 s28, s28, exec_lo
	s_or_saveexec_b32 s12, s12
	v_mov_b32_e32 v106, 0x7f800001
	s_xor_b32 exec_lo, exec_lo, s12
	s_cbranch_execnz .LBB6_7917
.LBB6_6795:                             ;   in Loop: Header=BB6_5278 Depth=2
	s_or_b32 exec_lo, exec_lo, s12
	s_and_saveexec_b32 s12, s28
	s_cbranch_execz .LBB6_6797
.LBB6_6796:                             ;   in Loop: Header=BB6_5278 Depth=2
	v_bfe_u32 v2, v24, 16, 2
	v_bfe_u32 v106, v24, 18, 5
	v_lshlrev_b32_sdwa v107, v47, v24 dst_sel:DWORD dst_unused:UNUSED_PAD src0_sel:DWORD src1_sel:WORD_1
	v_ffbh_u32_e32 v3, v2
	v_cmp_eq_u32_e32 vcc_lo, 0, v106
	v_min_u32_e32 v3, 32, v3
	v_subrev_nc_u32_e32 v42, 29, v3
	v_sub_nc_u32_e32 v3, 30, v3
	v_lshlrev_b32_sdwa v42, v42, v24 dst_sel:DWORD dst_unused:UNUSED_PAD src0_sel:DWORD src1_sel:WORD_1
	v_cndmask_b32_e32 v3, v106, v3, vcc_lo
	v_and_b32_e32 v42, 3, v42
	v_lshl_add_u32 v3, v3, 23, 0x37800000
	v_cndmask_b32_e32 v2, v2, v42, vcc_lo
	v_and_b32_e32 v42, 0x80000000, v107
	v_lshlrev_b32_e32 v2, 21, v2
	v_or3_b32 v106, v42, v3, v2
.LBB6_6797:                             ;   in Loop: Header=BB6_5278 Depth=2
	s_or_b32 exec_lo, exec_lo, s12
	v_and_b32_sdwa v3, v20, v46 dst_sel:DWORD dst_unused:UNUSED_PAD src0_sel:WORD_1 src1_sel:DWORD
	s_mov_b32 s12, 0
	s_mov_b32 s28, exec_lo
	v_cmpx_lt_i16_e32 0x7f, v3
	s_xor_b32 s28, exec_lo, s28
	s_cbranch_execz .LBB6_7918
; %bb.6798:                             ;   in Loop: Header=BB6_5278 Depth=2
	s_mov_b32 s12, -1
	s_mov_b32 s29, exec_lo
	v_cmpx_eq_u16_e32 0x80, v3
; %bb.6799:                             ;   in Loop: Header=BB6_5278 Depth=2
	s_xor_b32 s12, exec_lo, -1
; %bb.6800:                             ;   in Loop: Header=BB6_5278 Depth=2
	s_or_b32 exec_lo, exec_lo, s29
	s_and_b32 s12, s12, exec_lo
                                        ; implicit-def: $vgpr3
	s_or_saveexec_b32 s28, s28
	v_mov_b32_e32 v2, 0x7f800001
	s_xor_b32 exec_lo, exec_lo, s28
	s_cbranch_execnz .LBB6_7919
.LBB6_6801:                             ;   in Loop: Header=BB6_5278 Depth=2
	s_or_b32 exec_lo, exec_lo, s28
	s_and_saveexec_b32 s28, s12
	s_cbranch_execz .LBB6_6803
.LBB6_6802:                             ;   in Loop: Header=BB6_5278 Depth=2
	v_bfe_u32 v2, v20, 16, 2
	v_bfe_u32 v107, v20, 18, 5
	v_lshlrev_b32_sdwa v108, v47, v20 dst_sel:DWORD dst_unused:UNUSED_PAD src0_sel:DWORD src1_sel:WORD_1
	v_ffbh_u32_e32 v3, v2
	v_cmp_eq_u32_e32 vcc_lo, 0, v107
	v_min_u32_e32 v3, 32, v3
	v_subrev_nc_u32_e32 v42, 29, v3
	v_sub_nc_u32_e32 v3, 30, v3
	v_lshlrev_b32_sdwa v42, v42, v20 dst_sel:DWORD dst_unused:UNUSED_PAD src0_sel:DWORD src1_sel:WORD_1
	v_cndmask_b32_e32 v3, v107, v3, vcc_lo
	v_and_b32_e32 v42, 3, v42
	v_lshl_add_u32 v3, v3, 23, 0x37800000
	v_cndmask_b32_e32 v2, v2, v42, vcc_lo
	v_and_b32_e32 v42, 0x80000000, v108
	v_lshlrev_b32_e32 v2, 21, v2
	v_or3_b32 v2, v42, v3, v2
.LBB6_6803:                             ;   in Loop: Header=BB6_5278 Depth=2
	s_or_b32 exec_lo, exec_lo, s28
	v_max_f32_e32 v2, v2, v2
	v_max_f32_e32 v3, v106, v106
	s_mov_b32 s28, 0
	v_max_f32_e32 v106, v3, v2
.LBB6_6804:                             ;   in Loop: Header=BB6_5278 Depth=2
	s_and_b32 vcc_lo, exec_lo, s28
	s_cbranch_vccz .LBB6_6818
; %bb.6805:                             ;   in Loop: Header=BB6_5278 Depth=2
	s_mov_b32 s12, 0
	s_mov_b32 s28, exec_lo
	v_cmpx_lt_i16_e32 0x7f, v105
	s_xor_b32 s28, exec_lo, s28
	s_cbranch_execz .LBB6_7920
; %bb.6806:                             ;   in Loop: Header=BB6_5278 Depth=2
	s_mov_b32 s12, -1
	s_mov_b32 s29, exec_lo
	v_cmpx_eq_u16_e32 0x80, v105
; %bb.6807:                             ;   in Loop: Header=BB6_5278 Depth=2
	s_xor_b32 s12, exec_lo, -1
; %bb.6808:                             ;   in Loop: Header=BB6_5278 Depth=2
	s_or_b32 exec_lo, exec_lo, s29
	s_and_b32 s12, s12, exec_lo
                                        ; implicit-def: $vgpr105
	s_or_saveexec_b32 s28, s28
	v_mov_b32_e32 v106, 0x7f800001
	s_xor_b32 exec_lo, exec_lo, s28
	s_cbranch_execnz .LBB6_7921
.LBB6_6809:                             ;   in Loop: Header=BB6_5278 Depth=2
	s_or_b32 exec_lo, exec_lo, s28
	s_and_saveexec_b32 s28, s12
	s_cbranch_execz .LBB6_6811
.LBB6_6810:                             ;   in Loop: Header=BB6_5278 Depth=2
	v_bfe_u32 v2, v24, 16, 2
	v_bfe_u32 v105, v24, 18, 5
	v_lshlrev_b32_sdwa v106, v47, v24 dst_sel:DWORD dst_unused:UNUSED_PAD src0_sel:DWORD src1_sel:WORD_1
	v_ffbh_u32_e32 v3, v2
	v_cmp_eq_u32_e32 vcc_lo, 0, v105
	v_min_u32_e32 v3, 32, v3
	v_subrev_nc_u32_e32 v42, 29, v3
	v_sub_nc_u32_e32 v3, 30, v3
	v_lshlrev_b32_sdwa v42, v42, v24 dst_sel:DWORD dst_unused:UNUSED_PAD src0_sel:DWORD src1_sel:WORD_1
	v_cndmask_b32_e32 v3, v105, v3, vcc_lo
	v_and_b32_e32 v42, 3, v42
	v_lshl_add_u32 v3, v3, 23, 0x37800000
	v_cndmask_b32_e32 v2, v2, v42, vcc_lo
	v_and_b32_e32 v42, 0x80000000, v106
	v_lshlrev_b32_e32 v2, 21, v2
	v_or3_b32 v106, v42, v3, v2
.LBB6_6811:                             ;   in Loop: Header=BB6_5278 Depth=2
	s_or_b32 exec_lo, exec_lo, s28
	v_and_b32_sdwa v3, v20, v46 dst_sel:DWORD dst_unused:UNUSED_PAD src0_sel:WORD_1 src1_sel:DWORD
	s_mov_b32 s12, 0
	s_mov_b32 s28, exec_lo
	v_cmpx_lt_i16_e32 0x7f, v3
	s_xor_b32 s28, exec_lo, s28
	s_cbranch_execz .LBB6_7922
; %bb.6812:                             ;   in Loop: Header=BB6_5278 Depth=2
	s_mov_b32 s12, -1
	s_mov_b32 s29, exec_lo
	v_cmpx_eq_u16_e32 0x80, v3
; %bb.6813:                             ;   in Loop: Header=BB6_5278 Depth=2
	s_xor_b32 s12, exec_lo, -1
; %bb.6814:                             ;   in Loop: Header=BB6_5278 Depth=2
	s_or_b32 exec_lo, exec_lo, s29
	s_and_b32 s12, s12, exec_lo
                                        ; implicit-def: $vgpr3
	s_or_saveexec_b32 s28, s28
	v_mov_b32_e32 v2, 0x7f800001
	s_xor_b32 exec_lo, exec_lo, s28
	s_cbranch_execnz .LBB6_7923
.LBB6_6815:                             ;   in Loop: Header=BB6_5278 Depth=2
	s_or_b32 exec_lo, exec_lo, s28
	s_and_saveexec_b32 s28, s12
	s_cbranch_execz .LBB6_6817
.LBB6_6816:                             ;   in Loop: Header=BB6_5278 Depth=2
	v_bfe_u32 v2, v20, 16, 2
	v_bfe_u32 v105, v20, 18, 5
	v_lshlrev_b32_sdwa v107, v47, v20 dst_sel:DWORD dst_unused:UNUSED_PAD src0_sel:DWORD src1_sel:WORD_1
	v_ffbh_u32_e32 v3, v2
	v_cmp_eq_u32_e32 vcc_lo, 0, v105
	v_min_u32_e32 v3, 32, v3
	v_subrev_nc_u32_e32 v42, 29, v3
	v_sub_nc_u32_e32 v3, 30, v3
	v_lshlrev_b32_sdwa v42, v42, v20 dst_sel:DWORD dst_unused:UNUSED_PAD src0_sel:DWORD src1_sel:WORD_1
	v_cndmask_b32_e32 v3, v105, v3, vcc_lo
	v_and_b32_e32 v42, 3, v42
	v_lshl_add_u32 v3, v3, 23, 0x37800000
	v_cndmask_b32_e32 v2, v2, v42, vcc_lo
	v_and_b32_e32 v42, 0x80000000, v107
	v_lshlrev_b32_e32 v2, 21, v2
	v_or3_b32 v2, v42, v3, v2
.LBB6_6817:                             ;   in Loop: Header=BB6_5278 Depth=2
	s_or_b32 exec_lo, exec_lo, s28
	v_max_f32_e32 v2, v2, v2
	v_max_f32_e32 v3, v106, v106
	v_min_f32_e32 v106, v3, v2
.LBB6_6818:                             ;   in Loop: Header=BB6_5278 Depth=2
	v_and_b32_e32 v2, 0x7f800000, v106
	v_mov_b32_e32 v105, 0x80
	s_mov_b32 s28, exec_lo
	v_cmpx_ne_u32_e32 0x7f800000, v2
	s_cbranch_execz .LBB6_6826
; %bb.6819:                             ;   in Loop: Header=BB6_5278 Depth=2
	v_mov_b32_e32 v105, 0
	s_mov_b32 s29, exec_lo
	v_cmpx_ne_u32_e32 0, v106
	s_cbranch_execz .LBB6_6825
; %bb.6820:                             ;   in Loop: Header=BB6_5278 Depth=2
	v_bfe_u32 v2, v106, 23, 8
	v_and_b32_e32 v3, 0x7fffff, v106
	v_sub_nc_u32_e32 v42, 0x70, v2
	v_cmp_gt_u32_e32 vcc_lo, 0x71, v2
	v_or_b32_e32 v105, 0x800000, v3
	v_cndmask_b32_e32 v42, 0, v42, vcc_lo
	v_cmp_eq_u32_e32 vcc_lo, 0, v2
	v_add_nc_u32_e32 v2, 0xffffff91, v2
	v_cndmask_b32_e64 v42, v42, 0x6f, vcc_lo
	v_cndmask_b32_e32 v3, v105, v3, vcc_lo
	v_cndmask_b32_e64 v2, v2, 0xffffff92, vcc_lo
	v_lshl_add_u32 v107, 0x200000, v42, -1
	v_lshrrev_b32_e32 v105, v42, v3
	v_lshlrev_b32_e64 v109, v42, 0x100000
	v_and_b32_e32 v3, v107, v3
	v_bfe_u32 v108, v105, 21, 1
	v_cmp_eq_u32_e64 s12, v3, v109
	v_add_nc_u32_e32 v107, -1, v108
	v_lshrrev_b32_e32 v108, 23, v105
	v_cndmask_b32_e64 v3, 0, v107, s12
	s_mov_b32 s12, exec_lo
	v_add_nc_u32_e32 v107, v3, v105
	v_add_nc_u32_e32 v3, v42, v2
	v_xor_b32_e32 v42, 1, v108
	v_and_b32_e32 v2, 0x1fffff, v107
	v_add_nc_u32_e32 v2, v2, v105
                                        ; implicit-def: $vgpr105
	v_cmpx_ne_u32_e64 v3, v42
	s_xor_b32 s12, exec_lo, s12
; %bb.6821:                             ;   in Loop: Header=BB6_5278 Depth=2
	v_cmp_lt_u32_e32 vcc_lo, 0xffffff, v2
	v_sub_nc_u32_e32 v3, v3, v42
	v_cndmask_b32_e64 v42, 0, 1, vcc_lo
	v_add_co_ci_u32_e64 v105, null, 0, v3, vcc_lo
	v_lshrrev_b32_e32 v2, v42, v2
; %bb.6822:                             ;   in Loop: Header=BB6_5278 Depth=2
	s_andn2_saveexec_b32 s12, s12
; %bb.6823:                             ;   in Loop: Header=BB6_5278 Depth=2
	v_bfe_u32 v105, v2, 23, 1
; %bb.6824:                             ;   in Loop: Header=BB6_5278 Depth=2
	s_or_b32 exec_lo, exec_lo, s12
	v_lshrrev_b32_e32 v2, 21, v2
	v_min_i32_e32 v3, 31, v105
	v_cmp_gt_i32_e32 vcc_lo, 32, v105
	v_and_b32_sdwa v42, v106, v44 dst_sel:DWORD dst_unused:UNUSED_PAD src0_sel:BYTE_3 src1_sel:DWORD
	v_lshlrev_b32_e32 v3, 2, v3
	v_cndmask_b32_e32 v2, 3, v2, vcc_lo
	v_and_b32_e32 v3, 0xfc, v3
	v_and_b32_e32 v106, 3, v2
	v_or_b32_e32 v2, v105, v2
	v_or3_b32 v3, v3, v42, v106
	v_cmp_ne_u32_e32 vcc_lo, 0, v2
	v_cndmask_b32_e32 v105, 0, v3, vcc_lo
.LBB6_6825:                             ;   in Loop: Header=BB6_5278 Depth=2
	s_or_b32 exec_lo, exec_lo, s29
.LBB6_6826:                             ;   in Loop: Header=BB6_5278 Depth=2
	s_or_b32 exec_lo, exec_lo, s28
	v_cmp_gt_i16_sdwa s28, v24, v43 src0_sel:BYTE_3 src1_sel:DWORD
	s_andn2_b32 vcc_lo, exec_lo, s27
	s_mov_b32 s12, -1
                                        ; implicit-def: $vgpr106
	s_cbranch_vccnz .LBB6_6840
; %bb.6827:                             ;   in Loop: Header=BB6_5278 Depth=2
	s_mov_b32 s12, 0
	s_and_saveexec_b32 s29, s28
	s_xor_b32 s28, exec_lo, s29
	s_cbranch_execz .LBB6_7924
; %bb.6828:                             ;   in Loop: Header=BB6_5278 Depth=2
	v_cmp_eq_u16_sdwa s40, v24, v44 src0_sel:BYTE_3 src1_sel:DWORD
	s_mov_b32 s12, -1
	s_and_saveexec_b32 s29, s40
; %bb.6829:                             ;   in Loop: Header=BB6_5278 Depth=2
	s_xor_b32 s12, exec_lo, -1
; %bb.6830:                             ;   in Loop: Header=BB6_5278 Depth=2
	s_or_b32 exec_lo, exec_lo, s29
	s_and_b32 s12, s12, exec_lo
	s_or_saveexec_b32 s28, s28
	v_mov_b32_e32 v106, 0x7f800001
	s_xor_b32 exec_lo, exec_lo, s28
	s_cbranch_execnz .LBB6_7925
.LBB6_6831:                             ;   in Loop: Header=BB6_5278 Depth=2
	s_or_b32 exec_lo, exec_lo, s28
	s_and_saveexec_b32 s28, s12
	s_cbranch_execz .LBB6_6833
.LBB6_6832:                             ;   in Loop: Header=BB6_5278 Depth=2
	v_bfe_u32 v2, v24, 24, 2
	v_bfe_u32 v106, v24, 26, 5
	v_ffbh_u32_e32 v3, v2
	v_cmp_eq_u32_e32 vcc_lo, 0, v106
	v_min_u32_e32 v3, 32, v3
	v_subrev_nc_u32_e32 v42, 29, v3
	v_sub_nc_u32_e32 v3, 30, v3
	v_lshlrev_b32_sdwa v42, v42, v24 dst_sel:DWORD dst_unused:UNUSED_PAD src0_sel:DWORD src1_sel:BYTE_3
	v_cndmask_b32_e32 v3, v106, v3, vcc_lo
	v_and_b32_e32 v42, 3, v42
	v_lshl_add_u32 v3, v3, 23, 0x37800000
	v_cndmask_b32_e32 v2, v2, v42, vcc_lo
	v_and_b32_e32 v42, 0x80000000, v24
	v_lshlrev_b32_e32 v2, 21, v2
	v_or3_b32 v106, v42, v3, v2
.LBB6_6833:                             ;   in Loop: Header=BB6_5278 Depth=2
	s_or_b32 exec_lo, exec_lo, s28
	v_cmp_gt_i16_sdwa s28, v20, v43 src0_sel:BYTE_3 src1_sel:DWORD
	s_mov_b32 s12, 0
	s_and_saveexec_b32 s29, s28
	s_xor_b32 s28, exec_lo, s29
	s_cbranch_execz .LBB6_7926
; %bb.6834:                             ;   in Loop: Header=BB6_5278 Depth=2
	v_cmp_eq_u16_sdwa s40, v20, v44 src0_sel:BYTE_3 src1_sel:DWORD
	s_mov_b32 s12, -1
	s_and_saveexec_b32 s29, s40
; %bb.6835:                             ;   in Loop: Header=BB6_5278 Depth=2
	s_xor_b32 s12, exec_lo, -1
; %bb.6836:                             ;   in Loop: Header=BB6_5278 Depth=2
	s_or_b32 exec_lo, exec_lo, s29
	s_and_b32 s12, s12, exec_lo
	s_or_saveexec_b32 s28, s28
	v_mov_b32_e32 v2, 0x7f800001
	s_xor_b32 exec_lo, exec_lo, s28
	s_cbranch_execnz .LBB6_7927
.LBB6_6837:                             ;   in Loop: Header=BB6_5278 Depth=2
	s_or_b32 exec_lo, exec_lo, s28
	s_and_saveexec_b32 s28, s12
	s_cbranch_execz .LBB6_6839
.LBB6_6838:                             ;   in Loop: Header=BB6_5278 Depth=2
	v_bfe_u32 v2, v20, 24, 2
	v_bfe_u32 v107, v20, 26, 5
	v_ffbh_u32_e32 v3, v2
	v_cmp_eq_u32_e32 vcc_lo, 0, v107
	v_min_u32_e32 v3, 32, v3
	v_subrev_nc_u32_e32 v42, 29, v3
	v_sub_nc_u32_e32 v3, 30, v3
	v_lshlrev_b32_sdwa v42, v42, v20 dst_sel:DWORD dst_unused:UNUSED_PAD src0_sel:DWORD src1_sel:BYTE_3
	v_cndmask_b32_e32 v3, v107, v3, vcc_lo
	v_and_b32_e32 v42, 3, v42
	v_lshl_add_u32 v3, v3, 23, 0x37800000
	v_cndmask_b32_e32 v2, v2, v42, vcc_lo
	v_and_b32_e32 v42, 0x80000000, v20
	v_lshlrev_b32_e32 v2, 21, v2
	v_or3_b32 v2, v42, v3, v2
.LBB6_6839:                             ;   in Loop: Header=BB6_5278 Depth=2
	s_or_b32 exec_lo, exec_lo, s28
	v_max_f32_e32 v2, v2, v2
	v_max_f32_e32 v3, v106, v106
	s_mov_b32 s12, 0
	v_max_f32_e32 v106, v3, v2
.LBB6_6840:                             ;   in Loop: Header=BB6_5278 Depth=2
	s_and_b32 vcc_lo, exec_lo, s12
	s_cbranch_vccz .LBB6_6854
; %bb.6841:                             ;   in Loop: Header=BB6_5278 Depth=2
	v_cmp_gt_i16_sdwa s28, v24, v43 src0_sel:BYTE_3 src1_sel:DWORD
	s_mov_b32 s12, 0
	s_and_saveexec_b32 s29, s28
	s_xor_b32 s28, exec_lo, s29
	s_cbranch_execz .LBB6_7928
; %bb.6842:                             ;   in Loop: Header=BB6_5278 Depth=2
	v_cmp_eq_u16_sdwa s40, v24, v44 src0_sel:BYTE_3 src1_sel:DWORD
	s_mov_b32 s12, -1
	s_and_saveexec_b32 s29, s40
; %bb.6843:                             ;   in Loop: Header=BB6_5278 Depth=2
	s_xor_b32 s12, exec_lo, -1
; %bb.6844:                             ;   in Loop: Header=BB6_5278 Depth=2
	s_or_b32 exec_lo, exec_lo, s29
	s_and_b32 s12, s12, exec_lo
	s_or_saveexec_b32 s28, s28
	v_mov_b32_e32 v106, 0x7f800001
	s_xor_b32 exec_lo, exec_lo, s28
	s_cbranch_execnz .LBB6_7929
.LBB6_6845:                             ;   in Loop: Header=BB6_5278 Depth=2
	s_or_b32 exec_lo, exec_lo, s28
	s_and_saveexec_b32 s28, s12
	s_cbranch_execz .LBB6_6847
.LBB6_6846:                             ;   in Loop: Header=BB6_5278 Depth=2
	v_bfe_u32 v2, v24, 24, 2
	v_bfe_u32 v106, v24, 26, 5
	v_ffbh_u32_e32 v3, v2
	v_cmp_eq_u32_e32 vcc_lo, 0, v106
	v_min_u32_e32 v3, 32, v3
	v_subrev_nc_u32_e32 v42, 29, v3
	v_sub_nc_u32_e32 v3, 30, v3
	v_lshlrev_b32_sdwa v42, v42, v24 dst_sel:DWORD dst_unused:UNUSED_PAD src0_sel:DWORD src1_sel:BYTE_3
	v_cndmask_b32_e32 v3, v106, v3, vcc_lo
	v_and_b32_e32 v24, 0x80000000, v24
	v_and_b32_e32 v42, 3, v42
	v_lshl_add_u32 v3, v3, 23, 0x37800000
	v_cndmask_b32_e32 v2, v2, v42, vcc_lo
	v_lshlrev_b32_e32 v2, 21, v2
	v_or3_b32 v106, v24, v3, v2
.LBB6_6847:                             ;   in Loop: Header=BB6_5278 Depth=2
	s_or_b32 exec_lo, exec_lo, s28
	v_cmp_gt_i16_sdwa s28, v20, v43 src0_sel:BYTE_3 src1_sel:DWORD
	s_mov_b32 s12, 0
	s_and_saveexec_b32 s29, s28
	s_xor_b32 s28, exec_lo, s29
	s_cbranch_execz .LBB6_7930
; %bb.6848:                             ;   in Loop: Header=BB6_5278 Depth=2
	v_cmp_eq_u16_sdwa s40, v20, v44 src0_sel:BYTE_3 src1_sel:DWORD
	s_mov_b32 s12, -1
	s_and_saveexec_b32 s29, s40
; %bb.6849:                             ;   in Loop: Header=BB6_5278 Depth=2
	s_xor_b32 s12, exec_lo, -1
; %bb.6850:                             ;   in Loop: Header=BB6_5278 Depth=2
	s_or_b32 exec_lo, exec_lo, s29
	s_and_b32 s12, s12, exec_lo
	s_or_saveexec_b32 s28, s28
	v_mov_b32_e32 v2, 0x7f800001
	s_xor_b32 exec_lo, exec_lo, s28
	s_cbranch_execnz .LBB6_7931
.LBB6_6851:                             ;   in Loop: Header=BB6_5278 Depth=2
	s_or_b32 exec_lo, exec_lo, s28
	s_and_saveexec_b32 s28, s12
	s_cbranch_execz .LBB6_6853
.LBB6_6852:                             ;   in Loop: Header=BB6_5278 Depth=2
	v_bfe_u32 v2, v20, 24, 2
	v_bfe_u32 v42, v20, 26, 5
	v_ffbh_u32_e32 v3, v2
	v_cmp_eq_u32_e32 vcc_lo, 0, v42
	v_min_u32_e32 v3, 32, v3
	v_subrev_nc_u32_e32 v24, 29, v3
	v_sub_nc_u32_e32 v3, 30, v3
	v_lshlrev_b32_sdwa v24, v24, v20 dst_sel:DWORD dst_unused:UNUSED_PAD src0_sel:DWORD src1_sel:BYTE_3
	v_cndmask_b32_e32 v3, v42, v3, vcc_lo
	v_and_b32_e32 v20, 0x80000000, v20
	v_and_b32_e32 v24, 3, v24
	v_lshl_add_u32 v3, v3, 23, 0x37800000
	v_cndmask_b32_e32 v2, v2, v24, vcc_lo
	v_lshlrev_b32_e32 v2, 21, v2
	v_or3_b32 v2, v20, v3, v2
.LBB6_6853:                             ;   in Loop: Header=BB6_5278 Depth=2
	s_or_b32 exec_lo, exec_lo, s28
	v_max_f32_e32 v2, v2, v2
	v_max_f32_e32 v3, v106, v106
	v_min_f32_e32 v106, v3, v2
.LBB6_6854:                             ;   in Loop: Header=BB6_5278 Depth=2
	v_and_b32_e32 v2, 0x7f800000, v106
	v_mov_b32_e32 v20, 0x8000
	s_mov_b32 s28, exec_lo
	v_cmpx_ne_u32_e32 0x7f800000, v2
	s_cbranch_execz .LBB6_6862
; %bb.6855:                             ;   in Loop: Header=BB6_5278 Depth=2
	v_mov_b32_e32 v20, 0
	s_mov_b32 s29, exec_lo
	v_cmpx_ne_u32_e32 0, v106
	s_cbranch_execz .LBB6_6861
; %bb.6856:                             ;   in Loop: Header=BB6_5278 Depth=2
	v_bfe_u32 v2, v106, 23, 8
	v_and_b32_e32 v3, 0x7fffff, v106
	v_sub_nc_u32_e32 v20, 0x70, v2
	v_cmp_gt_u32_e32 vcc_lo, 0x71, v2
	v_or_b32_e32 v24, 0x800000, v3
	v_cndmask_b32_e32 v20, 0, v20, vcc_lo
	v_cmp_eq_u32_e32 vcc_lo, 0, v2
	v_add_nc_u32_e32 v2, 0xffffff91, v2
	v_cndmask_b32_e64 v20, v20, 0x6f, vcc_lo
	v_cndmask_b32_e32 v3, v24, v3, vcc_lo
	v_cndmask_b32_e64 v2, v2, 0xffffff92, vcc_lo
	v_lshl_add_u32 v24, 0x200000, v20, -1
	v_lshrrev_b32_e32 v42, v20, v3
	v_lshlrev_b32_e64 v108, v20, 0x100000
	v_and_b32_e32 v3, v24, v3
	v_bfe_u32 v107, v42, 21, 1
	v_cmp_eq_u32_e64 s12, v3, v108
	v_add_nc_u32_e32 v24, -1, v107
	v_lshrrev_b32_e32 v107, 23, v42
	v_cndmask_b32_e64 v3, 0, v24, s12
	s_mov_b32 s12, exec_lo
	v_add_nc_u32_e32 v24, v3, v42
	v_add_nc_u32_e32 v3, v20, v2
                                        ; implicit-def: $vgpr20
	v_and_b32_e32 v2, 0x1fffff, v24
	v_xor_b32_e32 v24, 1, v107
	v_add_nc_u32_e32 v2, v2, v42
	v_cmpx_ne_u32_e64 v3, v24
	s_xor_b32 s12, exec_lo, s12
; %bb.6857:                             ;   in Loop: Header=BB6_5278 Depth=2
	v_cmp_lt_u32_e32 vcc_lo, 0xffffff, v2
	v_sub_nc_u32_e32 v3, v3, v24
	v_cndmask_b32_e64 v24, 0, 1, vcc_lo
	v_add_co_ci_u32_e64 v20, null, 0, v3, vcc_lo
	v_lshrrev_b32_e32 v2, v24, v2
; %bb.6858:                             ;   in Loop: Header=BB6_5278 Depth=2
	s_andn2_saveexec_b32 s12, s12
; %bb.6859:                             ;   in Loop: Header=BB6_5278 Depth=2
	v_bfe_u32 v20, v2, 23, 1
; %bb.6860:                             ;   in Loop: Header=BB6_5278 Depth=2
	s_or_b32 exec_lo, exec_lo, s12
	v_lshrrev_b32_e32 v2, 21, v2
	v_min_i32_e32 v3, 31, v20
	v_cmp_gt_i32_e32 vcc_lo, 32, v20
	v_and_b32_sdwa v24, v106, v44 dst_sel:DWORD dst_unused:UNUSED_PAD src0_sel:BYTE_3 src1_sel:DWORD
	v_lshlrev_b32_e32 v3, 2, v3
	v_cndmask_b32_e32 v2, 3, v2, vcc_lo
	v_and_b32_e32 v3, 0xfc, v3
	v_and_b32_e32 v42, 3, v2
	v_or_b32_e32 v2, v20, v2
	v_or3_b32 v3, v24, v3, v42
	v_cmp_ne_u32_e32 vcc_lo, 0, v2
	v_lshlrev_b32_e32 v3, 8, v3
	v_cndmask_b32_e32 v20, 0, v3, vcc_lo
.LBB6_6861:                             ;   in Loop: Header=BB6_5278 Depth=2
	s_or_b32 exec_lo, exec_lo, s29
.LBB6_6862:                             ;   in Loop: Header=BB6_5278 Depth=2
	s_or_b32 exec_lo, exec_lo, s28
	v_cmp_gt_i16_sdwa s28, v25, v43 src0_sel:BYTE_0 src1_sel:DWORD
	s_andn2_b32 vcc_lo, exec_lo, s27
	s_mov_b32 s12, -1
                                        ; implicit-def: $vgpr106
	s_cbranch_vccnz .LBB6_6876
; %bb.6863:                             ;   in Loop: Header=BB6_5278 Depth=2
	s_mov_b32 s12, 0
	s_and_saveexec_b32 s29, s28
	s_xor_b32 s28, exec_lo, s29
	s_cbranch_execz .LBB6_7932
; %bb.6864:                             ;   in Loop: Header=BB6_5278 Depth=2
	v_cmp_eq_u16_sdwa s40, v25, v44 src0_sel:BYTE_0 src1_sel:DWORD
	s_mov_b32 s12, -1
	s_and_saveexec_b32 s29, s40
; %bb.6865:                             ;   in Loop: Header=BB6_5278 Depth=2
	s_xor_b32 s12, exec_lo, -1
; %bb.6866:                             ;   in Loop: Header=BB6_5278 Depth=2
	s_or_b32 exec_lo, exec_lo, s29
	s_and_b32 s12, s12, exec_lo
	s_or_saveexec_b32 s28, s28
	v_mov_b32_e32 v24, 0x7f800001
	s_xor_b32 exec_lo, exec_lo, s28
	s_cbranch_execnz .LBB6_7933
.LBB6_6867:                             ;   in Loop: Header=BB6_5278 Depth=2
	s_or_b32 exec_lo, exec_lo, s28
	s_and_saveexec_b32 s28, s12
	s_cbranch_execz .LBB6_6869
.LBB6_6868:                             ;   in Loop: Header=BB6_5278 Depth=2
	v_and_b32_e32 v2, 3, v25
	v_bfe_u32 v42, v25, 2, 5
	v_lshlrev_b32_e32 v106, 24, v25
	v_ffbh_u32_e32 v3, v2
	v_cmp_eq_u32_e32 vcc_lo, 0, v42
	v_min_u32_e32 v3, 32, v3
	v_subrev_nc_u32_e32 v24, 29, v3
	v_sub_nc_u32_e32 v3, 30, v3
	v_lshlrev_b32_e32 v24, v24, v25
	v_cndmask_b32_e32 v3, v42, v3, vcc_lo
	v_and_b32_e32 v24, 3, v24
	v_lshl_add_u32 v3, v3, 23, 0x37800000
	v_cndmask_b32_e32 v2, v2, v24, vcc_lo
	v_and_b32_e32 v24, 0x80000000, v106
	v_lshlrev_b32_e32 v2, 21, v2
	v_or3_b32 v24, v24, v3, v2
.LBB6_6869:                             ;   in Loop: Header=BB6_5278 Depth=2
	s_or_b32 exec_lo, exec_lo, s28
	v_cmp_gt_i16_sdwa s28, v21, v43 src0_sel:BYTE_0 src1_sel:DWORD
	s_mov_b32 s12, 0
	s_and_saveexec_b32 s29, s28
	s_xor_b32 s28, exec_lo, s29
	s_cbranch_execz .LBB6_7934
; %bb.6870:                             ;   in Loop: Header=BB6_5278 Depth=2
	v_cmp_eq_u16_sdwa s40, v21, v44 src0_sel:BYTE_0 src1_sel:DWORD
	s_mov_b32 s12, -1
	s_and_saveexec_b32 s29, s40
; %bb.6871:                             ;   in Loop: Header=BB6_5278 Depth=2
	s_xor_b32 s12, exec_lo, -1
; %bb.6872:                             ;   in Loop: Header=BB6_5278 Depth=2
	s_or_b32 exec_lo, exec_lo, s29
	s_and_b32 s12, s12, exec_lo
	s_or_saveexec_b32 s28, s28
	v_mov_b32_e32 v2, 0x7f800001
	s_xor_b32 exec_lo, exec_lo, s28
	s_cbranch_execnz .LBB6_7935
.LBB6_6873:                             ;   in Loop: Header=BB6_5278 Depth=2
	s_or_b32 exec_lo, exec_lo, s28
	s_and_saveexec_b32 s28, s12
	s_cbranch_execz .LBB6_6875
.LBB6_6874:                             ;   in Loop: Header=BB6_5278 Depth=2
	v_and_b32_e32 v2, 3, v21
	v_bfe_u32 v106, v21, 2, 5
	v_lshlrev_b32_e32 v107, 24, v21
	v_ffbh_u32_e32 v3, v2
	v_cmp_eq_u32_e32 vcc_lo, 0, v106
	v_min_u32_e32 v3, 32, v3
	v_subrev_nc_u32_e32 v42, 29, v3
	v_sub_nc_u32_e32 v3, 30, v3
	v_lshlrev_b32_e32 v42, v42, v21
	v_cndmask_b32_e32 v3, v106, v3, vcc_lo
	v_and_b32_e32 v42, 3, v42
	v_lshl_add_u32 v3, v3, 23, 0x37800000
	v_cndmask_b32_e32 v2, v2, v42, vcc_lo
	v_and_b32_e32 v42, 0x80000000, v107
	v_lshlrev_b32_e32 v2, 21, v2
	v_or3_b32 v2, v42, v3, v2
.LBB6_6875:                             ;   in Loop: Header=BB6_5278 Depth=2
	s_or_b32 exec_lo, exec_lo, s28
	v_max_f32_e32 v2, v2, v2
	v_max_f32_e32 v3, v24, v24
	s_mov_b32 s12, 0
	v_max_f32_e32 v106, v3, v2
.LBB6_6876:                             ;   in Loop: Header=BB6_5278 Depth=2
	s_and_b32 vcc_lo, exec_lo, s12
	s_cbranch_vccz .LBB6_6890
; %bb.6877:                             ;   in Loop: Header=BB6_5278 Depth=2
	v_cmp_gt_i16_sdwa s28, v25, v43 src0_sel:BYTE_0 src1_sel:DWORD
	s_mov_b32 s12, 0
	s_and_saveexec_b32 s29, s28
	s_xor_b32 s28, exec_lo, s29
	s_cbranch_execz .LBB6_7936
; %bb.6878:                             ;   in Loop: Header=BB6_5278 Depth=2
	v_cmp_eq_u16_sdwa s40, v25, v44 src0_sel:BYTE_0 src1_sel:DWORD
	s_mov_b32 s12, -1
	s_and_saveexec_b32 s29, s40
; %bb.6879:                             ;   in Loop: Header=BB6_5278 Depth=2
	s_xor_b32 s12, exec_lo, -1
; %bb.6880:                             ;   in Loop: Header=BB6_5278 Depth=2
	s_or_b32 exec_lo, exec_lo, s29
	s_and_b32 s12, s12, exec_lo
	s_or_saveexec_b32 s28, s28
	v_mov_b32_e32 v24, 0x7f800001
	s_xor_b32 exec_lo, exec_lo, s28
	s_cbranch_execnz .LBB6_7937
.LBB6_6881:                             ;   in Loop: Header=BB6_5278 Depth=2
	s_or_b32 exec_lo, exec_lo, s28
	s_and_saveexec_b32 s28, s12
	s_cbranch_execz .LBB6_6883
.LBB6_6882:                             ;   in Loop: Header=BB6_5278 Depth=2
	v_and_b32_e32 v2, 3, v25
	v_bfe_u32 v42, v25, 2, 5
	v_lshlrev_b32_e32 v106, 24, v25
	v_ffbh_u32_e32 v3, v2
	v_cmp_eq_u32_e32 vcc_lo, 0, v42
	v_min_u32_e32 v3, 32, v3
	v_subrev_nc_u32_e32 v24, 29, v3
	v_sub_nc_u32_e32 v3, 30, v3
	v_lshlrev_b32_e32 v24, v24, v25
	v_cndmask_b32_e32 v3, v42, v3, vcc_lo
	v_and_b32_e32 v24, 3, v24
	v_lshl_add_u32 v3, v3, 23, 0x37800000
	v_cndmask_b32_e32 v2, v2, v24, vcc_lo
	v_and_b32_e32 v24, 0x80000000, v106
	v_lshlrev_b32_e32 v2, 21, v2
	v_or3_b32 v24, v24, v3, v2
.LBB6_6883:                             ;   in Loop: Header=BB6_5278 Depth=2
	s_or_b32 exec_lo, exec_lo, s28
	v_cmp_gt_i16_sdwa s28, v21, v43 src0_sel:BYTE_0 src1_sel:DWORD
	s_mov_b32 s12, 0
	s_and_saveexec_b32 s29, s28
	s_xor_b32 s28, exec_lo, s29
	s_cbranch_execz .LBB6_7938
; %bb.6884:                             ;   in Loop: Header=BB6_5278 Depth=2
	v_cmp_eq_u16_sdwa s40, v21, v44 src0_sel:BYTE_0 src1_sel:DWORD
	s_mov_b32 s12, -1
	s_and_saveexec_b32 s29, s40
; %bb.6885:                             ;   in Loop: Header=BB6_5278 Depth=2
	s_xor_b32 s12, exec_lo, -1
; %bb.6886:                             ;   in Loop: Header=BB6_5278 Depth=2
	s_or_b32 exec_lo, exec_lo, s29
	s_and_b32 s12, s12, exec_lo
	s_or_saveexec_b32 s28, s28
	v_mov_b32_e32 v2, 0x7f800001
	s_xor_b32 exec_lo, exec_lo, s28
	s_cbranch_execnz .LBB6_7939
.LBB6_6887:                             ;   in Loop: Header=BB6_5278 Depth=2
	s_or_b32 exec_lo, exec_lo, s28
	s_and_saveexec_b32 s28, s12
	s_cbranch_execz .LBB6_6889
.LBB6_6888:                             ;   in Loop: Header=BB6_5278 Depth=2
	v_and_b32_e32 v2, 3, v21
	v_bfe_u32 v106, v21, 2, 5
	v_lshlrev_b32_e32 v107, 24, v21
	v_ffbh_u32_e32 v3, v2
	v_cmp_eq_u32_e32 vcc_lo, 0, v106
	v_min_u32_e32 v3, 32, v3
	v_subrev_nc_u32_e32 v42, 29, v3
	v_sub_nc_u32_e32 v3, 30, v3
	v_lshlrev_b32_e32 v42, v42, v21
	v_cndmask_b32_e32 v3, v106, v3, vcc_lo
	v_and_b32_e32 v42, 3, v42
	v_lshl_add_u32 v3, v3, 23, 0x37800000
	v_cndmask_b32_e32 v2, v2, v42, vcc_lo
	v_and_b32_e32 v42, 0x80000000, v107
	v_lshlrev_b32_e32 v2, 21, v2
	v_or3_b32 v2, v42, v3, v2
.LBB6_6889:                             ;   in Loop: Header=BB6_5278 Depth=2
	s_or_b32 exec_lo, exec_lo, s28
	v_max_f32_e32 v2, v2, v2
	v_max_f32_e32 v3, v24, v24
	v_min_f32_e32 v106, v3, v2
.LBB6_6890:                             ;   in Loop: Header=BB6_5278 Depth=2
	v_and_b32_e32 v2, 0x7f800000, v106
	v_mov_b32_e32 v24, 0x80
	s_mov_b32 s28, exec_lo
	v_cmpx_ne_u32_e32 0x7f800000, v2
	s_cbranch_execz .LBB6_6898
; %bb.6891:                             ;   in Loop: Header=BB6_5278 Depth=2
	v_mov_b32_e32 v24, 0
	s_mov_b32 s29, exec_lo
	v_cmpx_ne_u32_e32 0, v106
	s_cbranch_execz .LBB6_6897
; %bb.6892:                             ;   in Loop: Header=BB6_5278 Depth=2
	v_bfe_u32 v2, v106, 23, 8
	v_and_b32_e32 v3, 0x7fffff, v106
	v_sub_nc_u32_e32 v24, 0x70, v2
	v_cmp_gt_u32_e32 vcc_lo, 0x71, v2
	v_or_b32_e32 v42, 0x800000, v3
	v_cndmask_b32_e32 v24, 0, v24, vcc_lo
	v_cmp_eq_u32_e32 vcc_lo, 0, v2
	v_add_nc_u32_e32 v2, 0xffffff91, v2
	v_cndmask_b32_e64 v24, v24, 0x6f, vcc_lo
	v_cndmask_b32_e32 v3, v42, v3, vcc_lo
	v_cndmask_b32_e64 v2, v2, 0xffffff92, vcc_lo
	v_lshl_add_u32 v42, 0x200000, v24, -1
	v_lshrrev_b32_e32 v107, v24, v3
	v_lshlrev_b32_e64 v109, v24, 0x100000
	v_and_b32_e32 v3, v42, v3
	v_bfe_u32 v108, v107, 21, 1
	v_cmp_eq_u32_e64 s12, v3, v109
	v_add_nc_u32_e32 v42, -1, v108
	v_lshrrev_b32_e32 v108, 23, v107
	v_cndmask_b32_e64 v3, 0, v42, s12
	s_mov_b32 s12, exec_lo
	v_add_nc_u32_e32 v42, v3, v107
	v_add_nc_u32_e32 v3, v24, v2
                                        ; implicit-def: $vgpr24
	v_and_b32_e32 v2, 0x1fffff, v42
	v_xor_b32_e32 v42, 1, v108
	v_add_nc_u32_e32 v2, v2, v107
	v_cmpx_ne_u32_e64 v3, v42
	s_xor_b32 s12, exec_lo, s12
; %bb.6893:                             ;   in Loop: Header=BB6_5278 Depth=2
	v_cmp_lt_u32_e32 vcc_lo, 0xffffff, v2
	v_sub_nc_u32_e32 v3, v3, v42
	v_cndmask_b32_e64 v42, 0, 1, vcc_lo
	v_add_co_ci_u32_e64 v24, null, 0, v3, vcc_lo
	v_lshrrev_b32_e32 v2, v42, v2
; %bb.6894:                             ;   in Loop: Header=BB6_5278 Depth=2
	s_andn2_saveexec_b32 s12, s12
; %bb.6895:                             ;   in Loop: Header=BB6_5278 Depth=2
	v_bfe_u32 v24, v2, 23, 1
; %bb.6896:                             ;   in Loop: Header=BB6_5278 Depth=2
	s_or_b32 exec_lo, exec_lo, s12
	v_lshrrev_b32_e32 v2, 21, v2
	v_min_i32_e32 v3, 31, v24
	v_cmp_gt_i32_e32 vcc_lo, 32, v24
	v_and_b32_sdwa v42, v106, v44 dst_sel:DWORD dst_unused:UNUSED_PAD src0_sel:BYTE_3 src1_sel:DWORD
	v_lshlrev_b32_e32 v3, 2, v3
	v_cndmask_b32_e32 v2, 3, v2, vcc_lo
	v_and_b32_e32 v3, 0xfc, v3
	v_and_b32_e32 v106, 3, v2
	v_or_b32_e32 v2, v24, v2
	v_or3_b32 v3, v3, v42, v106
	v_cmp_ne_u32_e32 vcc_lo, 0, v2
	v_cndmask_b32_e32 v24, 0, v3, vcc_lo
.LBB6_6897:                             ;   in Loop: Header=BB6_5278 Depth=2
	s_or_b32 exec_lo, exec_lo, s29
.LBB6_6898:                             ;   in Loop: Header=BB6_5278 Depth=2
	s_or_b32 exec_lo, exec_lo, s28
	v_cmp_gt_i16_sdwa s28, v25, v43 src0_sel:BYTE_1 src1_sel:DWORD
	s_andn2_b32 vcc_lo, exec_lo, s27
	s_mov_b32 s12, -1
                                        ; implicit-def: $vgpr107
	s_cbranch_vccnz .LBB6_6912
; %bb.6899:                             ;   in Loop: Header=BB6_5278 Depth=2
	s_mov_b32 s12, 0
	s_and_saveexec_b32 s29, s28
	s_xor_b32 s28, exec_lo, s29
	s_cbranch_execz .LBB6_7940
; %bb.6900:                             ;   in Loop: Header=BB6_5278 Depth=2
	v_cmp_eq_u16_sdwa s40, v25, v44 src0_sel:BYTE_1 src1_sel:DWORD
	s_mov_b32 s12, -1
	s_and_saveexec_b32 s29, s40
; %bb.6901:                             ;   in Loop: Header=BB6_5278 Depth=2
	s_xor_b32 s12, exec_lo, -1
; %bb.6902:                             ;   in Loop: Header=BB6_5278 Depth=2
	s_or_b32 exec_lo, exec_lo, s29
	s_and_b32 s12, s12, exec_lo
	s_or_saveexec_b32 s28, s28
	v_mov_b32_e32 v106, 0x7f800001
	s_xor_b32 exec_lo, exec_lo, s28
	s_cbranch_execnz .LBB6_7941
.LBB6_6903:                             ;   in Loop: Header=BB6_5278 Depth=2
	s_or_b32 exec_lo, exec_lo, s28
	s_and_saveexec_b32 s28, s12
	s_cbranch_execz .LBB6_6905
.LBB6_6904:                             ;   in Loop: Header=BB6_5278 Depth=2
	v_and_b32_sdwa v2, v45, v25 dst_sel:DWORD dst_unused:UNUSED_PAD src0_sel:DWORD src1_sel:BYTE_1
	v_and_b32_e32 v3, 3, v2
	v_bfe_u32 v107, v2, 2, 5
	v_ffbh_u32_e32 v42, v3
	v_cmp_eq_u32_e32 vcc_lo, 0, v107
	v_min_u32_e32 v42, 32, v42
	v_subrev_nc_u32_e32 v106, 29, v42
	v_sub_nc_u32_e32 v42, 30, v42
	v_lshlrev_b32_e32 v2, v106, v2
	v_lshlrev_b32_e32 v106, 16, v25
	v_cndmask_b32_e32 v42, v107, v42, vcc_lo
	v_and_b32_e32 v2, 3, v2
	v_lshl_add_u32 v42, v42, 23, 0x37800000
	v_cndmask_b32_e32 v2, v3, v2, vcc_lo
	v_and_b32_e32 v3, 0x80000000, v106
	v_lshlrev_b32_e32 v2, 21, v2
	v_or3_b32 v106, v3, v42, v2
.LBB6_6905:                             ;   in Loop: Header=BB6_5278 Depth=2
	s_or_b32 exec_lo, exec_lo, s28
	v_cmp_gt_i16_sdwa s28, v21, v43 src0_sel:BYTE_1 src1_sel:DWORD
	s_mov_b32 s12, 0
	s_and_saveexec_b32 s29, s28
	s_xor_b32 s28, exec_lo, s29
	s_cbranch_execz .LBB6_7942
; %bb.6906:                             ;   in Loop: Header=BB6_5278 Depth=2
	v_cmp_eq_u16_sdwa s40, v21, v44 src0_sel:BYTE_1 src1_sel:DWORD
	s_mov_b32 s12, -1
	s_and_saveexec_b32 s29, s40
; %bb.6907:                             ;   in Loop: Header=BB6_5278 Depth=2
	s_xor_b32 s12, exec_lo, -1
; %bb.6908:                             ;   in Loop: Header=BB6_5278 Depth=2
	s_or_b32 exec_lo, exec_lo, s29
	s_and_b32 s12, s12, exec_lo
	s_or_saveexec_b32 s28, s28
	v_mov_b32_e32 v2, 0x7f800001
	s_xor_b32 exec_lo, exec_lo, s28
	s_cbranch_execnz .LBB6_7943
.LBB6_6909:                             ;   in Loop: Header=BB6_5278 Depth=2
	s_or_b32 exec_lo, exec_lo, s28
	s_and_saveexec_b32 s28, s12
	s_cbranch_execz .LBB6_6911
.LBB6_6910:                             ;   in Loop: Header=BB6_5278 Depth=2
	v_and_b32_sdwa v2, v45, v21 dst_sel:DWORD dst_unused:UNUSED_PAD src0_sel:DWORD src1_sel:BYTE_1
	v_and_b32_e32 v3, 3, v2
	v_bfe_u32 v108, v2, 2, 5
	v_ffbh_u32_e32 v42, v3
	v_cmp_eq_u32_e32 vcc_lo, 0, v108
	v_min_u32_e32 v42, 32, v42
	v_subrev_nc_u32_e32 v107, 29, v42
	v_sub_nc_u32_e32 v42, 30, v42
	v_lshlrev_b32_e32 v2, v107, v2
	v_lshlrev_b32_e32 v107, 16, v21
	v_cndmask_b32_e32 v42, v108, v42, vcc_lo
	v_and_b32_e32 v2, 3, v2
	v_lshl_add_u32 v42, v42, 23, 0x37800000
	v_cndmask_b32_e32 v2, v3, v2, vcc_lo
	v_and_b32_e32 v3, 0x80000000, v107
	v_lshlrev_b32_e32 v2, 21, v2
	v_or3_b32 v2, v3, v42, v2
.LBB6_6911:                             ;   in Loop: Header=BB6_5278 Depth=2
	s_or_b32 exec_lo, exec_lo, s28
	v_max_f32_e32 v2, v2, v2
	v_max_f32_e32 v3, v106, v106
	s_mov_b32 s12, 0
	v_max_f32_e32 v107, v3, v2
.LBB6_6912:                             ;   in Loop: Header=BB6_5278 Depth=2
	s_and_b32 vcc_lo, exec_lo, s12
	s_cbranch_vccz .LBB6_6926
; %bb.6913:                             ;   in Loop: Header=BB6_5278 Depth=2
	v_cmp_gt_i16_sdwa s28, v25, v43 src0_sel:BYTE_1 src1_sel:DWORD
	s_mov_b32 s12, 0
	s_and_saveexec_b32 s29, s28
	s_xor_b32 s28, exec_lo, s29
	s_cbranch_execz .LBB6_7944
; %bb.6914:                             ;   in Loop: Header=BB6_5278 Depth=2
	v_cmp_eq_u16_sdwa s40, v25, v44 src0_sel:BYTE_1 src1_sel:DWORD
	s_mov_b32 s12, -1
	s_and_saveexec_b32 s29, s40
; %bb.6915:                             ;   in Loop: Header=BB6_5278 Depth=2
	s_xor_b32 s12, exec_lo, -1
; %bb.6916:                             ;   in Loop: Header=BB6_5278 Depth=2
	s_or_b32 exec_lo, exec_lo, s29
	s_and_b32 s12, s12, exec_lo
	s_or_saveexec_b32 s28, s28
	v_mov_b32_e32 v106, 0x7f800001
	s_xor_b32 exec_lo, exec_lo, s28
	s_cbranch_execnz .LBB6_7945
.LBB6_6917:                             ;   in Loop: Header=BB6_5278 Depth=2
	s_or_b32 exec_lo, exec_lo, s28
	s_and_saveexec_b32 s28, s12
	s_cbranch_execz .LBB6_6919
.LBB6_6918:                             ;   in Loop: Header=BB6_5278 Depth=2
	v_and_b32_sdwa v2, v45, v25 dst_sel:DWORD dst_unused:UNUSED_PAD src0_sel:DWORD src1_sel:BYTE_1
	v_and_b32_e32 v3, 3, v2
	v_bfe_u32 v107, v2, 2, 5
	v_ffbh_u32_e32 v42, v3
	v_cmp_eq_u32_e32 vcc_lo, 0, v107
	v_min_u32_e32 v42, 32, v42
	v_subrev_nc_u32_e32 v106, 29, v42
	v_sub_nc_u32_e32 v42, 30, v42
	v_lshlrev_b32_e32 v2, v106, v2
	v_lshlrev_b32_e32 v106, 16, v25
	v_cndmask_b32_e32 v42, v107, v42, vcc_lo
	v_and_b32_e32 v2, 3, v2
	v_lshl_add_u32 v42, v42, 23, 0x37800000
	v_cndmask_b32_e32 v2, v3, v2, vcc_lo
	v_and_b32_e32 v3, 0x80000000, v106
	v_lshlrev_b32_e32 v2, 21, v2
	v_or3_b32 v106, v3, v42, v2
.LBB6_6919:                             ;   in Loop: Header=BB6_5278 Depth=2
	s_or_b32 exec_lo, exec_lo, s28
	v_cmp_gt_i16_sdwa s28, v21, v43 src0_sel:BYTE_1 src1_sel:DWORD
	s_mov_b32 s12, 0
	s_and_saveexec_b32 s29, s28
	s_xor_b32 s28, exec_lo, s29
	s_cbranch_execz .LBB6_7946
; %bb.6920:                             ;   in Loop: Header=BB6_5278 Depth=2
	v_cmp_eq_u16_sdwa s40, v21, v44 src0_sel:BYTE_1 src1_sel:DWORD
	s_mov_b32 s12, -1
	s_and_saveexec_b32 s29, s40
; %bb.6921:                             ;   in Loop: Header=BB6_5278 Depth=2
	s_xor_b32 s12, exec_lo, -1
; %bb.6922:                             ;   in Loop: Header=BB6_5278 Depth=2
	s_or_b32 exec_lo, exec_lo, s29
	s_and_b32 s12, s12, exec_lo
	s_or_saveexec_b32 s28, s28
	v_mov_b32_e32 v2, 0x7f800001
	s_xor_b32 exec_lo, exec_lo, s28
	s_cbranch_execnz .LBB6_7947
.LBB6_6923:                             ;   in Loop: Header=BB6_5278 Depth=2
	s_or_b32 exec_lo, exec_lo, s28
	s_and_saveexec_b32 s28, s12
	s_cbranch_execz .LBB6_6925
.LBB6_6924:                             ;   in Loop: Header=BB6_5278 Depth=2
	v_and_b32_sdwa v2, v45, v21 dst_sel:DWORD dst_unused:UNUSED_PAD src0_sel:DWORD src1_sel:BYTE_1
	v_and_b32_e32 v3, 3, v2
	v_bfe_u32 v108, v2, 2, 5
	v_ffbh_u32_e32 v42, v3
	v_cmp_eq_u32_e32 vcc_lo, 0, v108
	v_min_u32_e32 v42, 32, v42
	v_subrev_nc_u32_e32 v107, 29, v42
	v_sub_nc_u32_e32 v42, 30, v42
	v_lshlrev_b32_e32 v2, v107, v2
	v_lshlrev_b32_e32 v107, 16, v21
	v_cndmask_b32_e32 v42, v108, v42, vcc_lo
	v_and_b32_e32 v2, 3, v2
	v_lshl_add_u32 v42, v42, 23, 0x37800000
	v_cndmask_b32_e32 v2, v3, v2, vcc_lo
	v_and_b32_e32 v3, 0x80000000, v107
	v_lshlrev_b32_e32 v2, 21, v2
	v_or3_b32 v2, v3, v42, v2
.LBB6_6925:                             ;   in Loop: Header=BB6_5278 Depth=2
	s_or_b32 exec_lo, exec_lo, s28
	v_max_f32_e32 v2, v2, v2
	v_max_f32_e32 v3, v106, v106
	v_min_f32_e32 v107, v3, v2
.LBB6_6926:                             ;   in Loop: Header=BB6_5278 Depth=2
	v_and_b32_e32 v2, 0x7f800000, v107
	v_mov_b32_e32 v106, 0x8000
	s_mov_b32 s28, exec_lo
	v_cmpx_ne_u32_e32 0x7f800000, v2
	s_cbranch_execz .LBB6_6934
; %bb.6927:                             ;   in Loop: Header=BB6_5278 Depth=2
	v_mov_b32_e32 v106, 0
	s_mov_b32 s29, exec_lo
	v_cmpx_ne_u32_e32 0, v107
	s_cbranch_execz .LBB6_6933
; %bb.6928:                             ;   in Loop: Header=BB6_5278 Depth=2
	v_bfe_u32 v2, v107, 23, 8
	v_and_b32_e32 v3, 0x7fffff, v107
	v_sub_nc_u32_e32 v42, 0x70, v2
	v_cmp_gt_u32_e32 vcc_lo, 0x71, v2
	v_or_b32_e32 v106, 0x800000, v3
	v_cndmask_b32_e32 v42, 0, v42, vcc_lo
	v_cmp_eq_u32_e32 vcc_lo, 0, v2
	v_add_nc_u32_e32 v2, 0xffffff91, v2
	v_cndmask_b32_e64 v42, v42, 0x6f, vcc_lo
	v_cndmask_b32_e32 v3, v106, v3, vcc_lo
	v_cndmask_b32_e64 v2, v2, 0xffffff92, vcc_lo
	v_lshl_add_u32 v108, 0x200000, v42, -1
	v_lshrrev_b32_e32 v106, v42, v3
	v_lshlrev_b32_e64 v110, v42, 0x100000
	v_and_b32_e32 v3, v108, v3
	v_bfe_u32 v109, v106, 21, 1
	v_cmp_eq_u32_e64 s12, v3, v110
	v_add_nc_u32_e32 v108, -1, v109
	v_lshrrev_b32_e32 v109, 23, v106
	v_cndmask_b32_e64 v3, 0, v108, s12
	s_mov_b32 s12, exec_lo
	v_add_nc_u32_e32 v108, v3, v106
	v_add_nc_u32_e32 v3, v42, v2
	v_xor_b32_e32 v42, 1, v109
	v_and_b32_e32 v2, 0x1fffff, v108
	v_add_nc_u32_e32 v2, v2, v106
                                        ; implicit-def: $vgpr106
	v_cmpx_ne_u32_e64 v3, v42
	s_xor_b32 s12, exec_lo, s12
; %bb.6929:                             ;   in Loop: Header=BB6_5278 Depth=2
	v_cmp_lt_u32_e32 vcc_lo, 0xffffff, v2
	v_sub_nc_u32_e32 v3, v3, v42
	v_cndmask_b32_e64 v42, 0, 1, vcc_lo
	v_add_co_ci_u32_e64 v106, null, 0, v3, vcc_lo
	v_lshrrev_b32_e32 v2, v42, v2
; %bb.6930:                             ;   in Loop: Header=BB6_5278 Depth=2
	s_andn2_saveexec_b32 s12, s12
; %bb.6931:                             ;   in Loop: Header=BB6_5278 Depth=2
	v_bfe_u32 v106, v2, 23, 1
; %bb.6932:                             ;   in Loop: Header=BB6_5278 Depth=2
	s_or_b32 exec_lo, exec_lo, s12
	v_lshrrev_b32_e32 v2, 21, v2
	v_min_i32_e32 v3, 31, v106
	v_cmp_gt_i32_e32 vcc_lo, 32, v106
	v_and_b32_sdwa v42, v107, v44 dst_sel:DWORD dst_unused:UNUSED_PAD src0_sel:BYTE_3 src1_sel:DWORD
	v_lshlrev_b32_e32 v3, 2, v3
	v_cndmask_b32_e32 v2, 3, v2, vcc_lo
	v_and_b32_e32 v3, 0xfc, v3
	v_and_b32_e32 v107, 3, v2
	v_or_b32_e32 v2, v106, v2
	v_or3_b32 v3, v42, v3, v107
	v_cmp_ne_u32_e32 vcc_lo, 0, v2
	v_lshlrev_b32_e32 v3, 8, v3
	v_cndmask_b32_e32 v106, 0, v3, vcc_lo
.LBB6_6933:                             ;   in Loop: Header=BB6_5278 Depth=2
	s_or_b32 exec_lo, exec_lo, s29
.LBB6_6934:                             ;   in Loop: Header=BB6_5278 Depth=2
	s_or_b32 exec_lo, exec_lo, s28
	v_and_b32_sdwa v107, v25, v46 dst_sel:DWORD dst_unused:UNUSED_PAD src0_sel:WORD_1 src1_sel:DWORD
	s_andn2_b32 vcc_lo, exec_lo, s27
	s_mov_b32 s28, -1
                                        ; implicit-def: $vgpr108
	v_cmp_lt_i16_e64 s12, 0x7f, v107
	s_cbranch_vccnz .LBB6_6948
; %bb.6935:                             ;   in Loop: Header=BB6_5278 Depth=2
	s_mov_b32 s28, 0
	s_and_saveexec_b32 s29, s12
	s_xor_b32 s12, exec_lo, s29
	s_cbranch_execz .LBB6_7948
; %bb.6936:                             ;   in Loop: Header=BB6_5278 Depth=2
	s_mov_b32 s28, -1
	s_mov_b32 s29, exec_lo
	v_cmpx_eq_u16_e32 0x80, v107
; %bb.6937:                             ;   in Loop: Header=BB6_5278 Depth=2
	s_xor_b32 s28, exec_lo, -1
; %bb.6938:                             ;   in Loop: Header=BB6_5278 Depth=2
	s_or_b32 exec_lo, exec_lo, s29
	s_and_b32 s28, s28, exec_lo
	s_or_saveexec_b32 s12, s12
	v_mov_b32_e32 v108, 0x7f800001
	s_xor_b32 exec_lo, exec_lo, s12
	s_cbranch_execnz .LBB6_7949
.LBB6_6939:                             ;   in Loop: Header=BB6_5278 Depth=2
	s_or_b32 exec_lo, exec_lo, s12
	s_and_saveexec_b32 s12, s28
	s_cbranch_execz .LBB6_6941
.LBB6_6940:                             ;   in Loop: Header=BB6_5278 Depth=2
	v_bfe_u32 v2, v25, 16, 2
	v_bfe_u32 v108, v25, 18, 5
	v_lshlrev_b32_sdwa v109, v47, v25 dst_sel:DWORD dst_unused:UNUSED_PAD src0_sel:DWORD src1_sel:WORD_1
	v_ffbh_u32_e32 v3, v2
	v_cmp_eq_u32_e32 vcc_lo, 0, v108
	v_min_u32_e32 v3, 32, v3
	v_subrev_nc_u32_e32 v42, 29, v3
	v_sub_nc_u32_e32 v3, 30, v3
	v_lshlrev_b32_sdwa v42, v42, v25 dst_sel:DWORD dst_unused:UNUSED_PAD src0_sel:DWORD src1_sel:WORD_1
	v_cndmask_b32_e32 v3, v108, v3, vcc_lo
	v_and_b32_e32 v42, 3, v42
	v_lshl_add_u32 v3, v3, 23, 0x37800000
	v_cndmask_b32_e32 v2, v2, v42, vcc_lo
	v_and_b32_e32 v42, 0x80000000, v109
	v_lshlrev_b32_e32 v2, 21, v2
	v_or3_b32 v108, v42, v3, v2
.LBB6_6941:                             ;   in Loop: Header=BB6_5278 Depth=2
	s_or_b32 exec_lo, exec_lo, s12
	v_and_b32_sdwa v3, v21, v46 dst_sel:DWORD dst_unused:UNUSED_PAD src0_sel:WORD_1 src1_sel:DWORD
	s_mov_b32 s12, 0
	s_mov_b32 s28, exec_lo
	v_cmpx_lt_i16_e32 0x7f, v3
	s_xor_b32 s28, exec_lo, s28
	s_cbranch_execz .LBB6_7950
; %bb.6942:                             ;   in Loop: Header=BB6_5278 Depth=2
	s_mov_b32 s12, -1
	s_mov_b32 s29, exec_lo
	v_cmpx_eq_u16_e32 0x80, v3
; %bb.6943:                             ;   in Loop: Header=BB6_5278 Depth=2
	s_xor_b32 s12, exec_lo, -1
; %bb.6944:                             ;   in Loop: Header=BB6_5278 Depth=2
	s_or_b32 exec_lo, exec_lo, s29
	s_and_b32 s12, s12, exec_lo
                                        ; implicit-def: $vgpr3
	s_or_saveexec_b32 s28, s28
	v_mov_b32_e32 v2, 0x7f800001
	s_xor_b32 exec_lo, exec_lo, s28
	s_cbranch_execnz .LBB6_7951
.LBB6_6945:                             ;   in Loop: Header=BB6_5278 Depth=2
	s_or_b32 exec_lo, exec_lo, s28
	s_and_saveexec_b32 s28, s12
	s_cbranch_execz .LBB6_6947
.LBB6_6946:                             ;   in Loop: Header=BB6_5278 Depth=2
	v_bfe_u32 v2, v21, 16, 2
	v_bfe_u32 v109, v21, 18, 5
	v_lshlrev_b32_sdwa v110, v47, v21 dst_sel:DWORD dst_unused:UNUSED_PAD src0_sel:DWORD src1_sel:WORD_1
	v_ffbh_u32_e32 v3, v2
	v_cmp_eq_u32_e32 vcc_lo, 0, v109
	v_min_u32_e32 v3, 32, v3
	v_subrev_nc_u32_e32 v42, 29, v3
	v_sub_nc_u32_e32 v3, 30, v3
	v_lshlrev_b32_sdwa v42, v42, v21 dst_sel:DWORD dst_unused:UNUSED_PAD src0_sel:DWORD src1_sel:WORD_1
	v_cndmask_b32_e32 v3, v109, v3, vcc_lo
	v_and_b32_e32 v42, 3, v42
	v_lshl_add_u32 v3, v3, 23, 0x37800000
	v_cndmask_b32_e32 v2, v2, v42, vcc_lo
	v_and_b32_e32 v42, 0x80000000, v110
	v_lshlrev_b32_e32 v2, 21, v2
	v_or3_b32 v2, v42, v3, v2
.LBB6_6947:                             ;   in Loop: Header=BB6_5278 Depth=2
	s_or_b32 exec_lo, exec_lo, s28
	v_max_f32_e32 v2, v2, v2
	v_max_f32_e32 v3, v108, v108
	s_mov_b32 s28, 0
	v_max_f32_e32 v108, v3, v2
.LBB6_6948:                             ;   in Loop: Header=BB6_5278 Depth=2
	s_and_b32 vcc_lo, exec_lo, s28
	s_cbranch_vccz .LBB6_6962
; %bb.6949:                             ;   in Loop: Header=BB6_5278 Depth=2
	s_mov_b32 s12, 0
	s_mov_b32 s28, exec_lo
	v_cmpx_lt_i16_e32 0x7f, v107
	s_xor_b32 s28, exec_lo, s28
	s_cbranch_execz .LBB6_7952
; %bb.6950:                             ;   in Loop: Header=BB6_5278 Depth=2
	s_mov_b32 s12, -1
	s_mov_b32 s29, exec_lo
	v_cmpx_eq_u16_e32 0x80, v107
; %bb.6951:                             ;   in Loop: Header=BB6_5278 Depth=2
	s_xor_b32 s12, exec_lo, -1
; %bb.6952:                             ;   in Loop: Header=BB6_5278 Depth=2
	s_or_b32 exec_lo, exec_lo, s29
	s_and_b32 s12, s12, exec_lo
                                        ; implicit-def: $vgpr107
	s_or_saveexec_b32 s28, s28
	v_mov_b32_e32 v108, 0x7f800001
	s_xor_b32 exec_lo, exec_lo, s28
	s_cbranch_execnz .LBB6_7953
.LBB6_6953:                             ;   in Loop: Header=BB6_5278 Depth=2
	s_or_b32 exec_lo, exec_lo, s28
	s_and_saveexec_b32 s28, s12
	s_cbranch_execz .LBB6_6955
.LBB6_6954:                             ;   in Loop: Header=BB6_5278 Depth=2
	v_bfe_u32 v2, v25, 16, 2
	v_bfe_u32 v107, v25, 18, 5
	v_lshlrev_b32_sdwa v108, v47, v25 dst_sel:DWORD dst_unused:UNUSED_PAD src0_sel:DWORD src1_sel:WORD_1
	v_ffbh_u32_e32 v3, v2
	v_cmp_eq_u32_e32 vcc_lo, 0, v107
	v_min_u32_e32 v3, 32, v3
	v_subrev_nc_u32_e32 v42, 29, v3
	v_sub_nc_u32_e32 v3, 30, v3
	v_lshlrev_b32_sdwa v42, v42, v25 dst_sel:DWORD dst_unused:UNUSED_PAD src0_sel:DWORD src1_sel:WORD_1
	v_cndmask_b32_e32 v3, v107, v3, vcc_lo
	v_and_b32_e32 v42, 3, v42
	v_lshl_add_u32 v3, v3, 23, 0x37800000
	v_cndmask_b32_e32 v2, v2, v42, vcc_lo
	v_and_b32_e32 v42, 0x80000000, v108
	v_lshlrev_b32_e32 v2, 21, v2
	v_or3_b32 v108, v42, v3, v2
.LBB6_6955:                             ;   in Loop: Header=BB6_5278 Depth=2
	s_or_b32 exec_lo, exec_lo, s28
	v_and_b32_sdwa v3, v21, v46 dst_sel:DWORD dst_unused:UNUSED_PAD src0_sel:WORD_1 src1_sel:DWORD
	s_mov_b32 s12, 0
	s_mov_b32 s28, exec_lo
	v_cmpx_lt_i16_e32 0x7f, v3
	s_xor_b32 s28, exec_lo, s28
	s_cbranch_execz .LBB6_7954
; %bb.6956:                             ;   in Loop: Header=BB6_5278 Depth=2
	s_mov_b32 s12, -1
	s_mov_b32 s29, exec_lo
	v_cmpx_eq_u16_e32 0x80, v3
; %bb.6957:                             ;   in Loop: Header=BB6_5278 Depth=2
	s_xor_b32 s12, exec_lo, -1
; %bb.6958:                             ;   in Loop: Header=BB6_5278 Depth=2
	s_or_b32 exec_lo, exec_lo, s29
	s_and_b32 s12, s12, exec_lo
                                        ; implicit-def: $vgpr3
	s_or_saveexec_b32 s28, s28
	v_mov_b32_e32 v2, 0x7f800001
	s_xor_b32 exec_lo, exec_lo, s28
	s_cbranch_execnz .LBB6_7955
.LBB6_6959:                             ;   in Loop: Header=BB6_5278 Depth=2
	s_or_b32 exec_lo, exec_lo, s28
	s_and_saveexec_b32 s28, s12
	s_cbranch_execz .LBB6_6961
.LBB6_6960:                             ;   in Loop: Header=BB6_5278 Depth=2
	v_bfe_u32 v2, v21, 16, 2
	v_bfe_u32 v107, v21, 18, 5
	v_lshlrev_b32_sdwa v109, v47, v21 dst_sel:DWORD dst_unused:UNUSED_PAD src0_sel:DWORD src1_sel:WORD_1
	v_ffbh_u32_e32 v3, v2
	v_cmp_eq_u32_e32 vcc_lo, 0, v107
	v_min_u32_e32 v3, 32, v3
	v_subrev_nc_u32_e32 v42, 29, v3
	v_sub_nc_u32_e32 v3, 30, v3
	v_lshlrev_b32_sdwa v42, v42, v21 dst_sel:DWORD dst_unused:UNUSED_PAD src0_sel:DWORD src1_sel:WORD_1
	v_cndmask_b32_e32 v3, v107, v3, vcc_lo
	v_and_b32_e32 v42, 3, v42
	v_lshl_add_u32 v3, v3, 23, 0x37800000
	v_cndmask_b32_e32 v2, v2, v42, vcc_lo
	v_and_b32_e32 v42, 0x80000000, v109
	v_lshlrev_b32_e32 v2, 21, v2
	v_or3_b32 v2, v42, v3, v2
.LBB6_6961:                             ;   in Loop: Header=BB6_5278 Depth=2
	s_or_b32 exec_lo, exec_lo, s28
	v_max_f32_e32 v2, v2, v2
	v_max_f32_e32 v3, v108, v108
	v_min_f32_e32 v108, v3, v2
.LBB6_6962:                             ;   in Loop: Header=BB6_5278 Depth=2
	v_and_b32_e32 v2, 0x7f800000, v108
	v_mov_b32_e32 v107, 0x80
	s_mov_b32 s28, exec_lo
	v_cmpx_ne_u32_e32 0x7f800000, v2
	s_cbranch_execz .LBB6_6970
; %bb.6963:                             ;   in Loop: Header=BB6_5278 Depth=2
	v_mov_b32_e32 v107, 0
	s_mov_b32 s29, exec_lo
	v_cmpx_ne_u32_e32 0, v108
	s_cbranch_execz .LBB6_6969
; %bb.6964:                             ;   in Loop: Header=BB6_5278 Depth=2
	v_bfe_u32 v2, v108, 23, 8
	v_and_b32_e32 v3, 0x7fffff, v108
	v_sub_nc_u32_e32 v42, 0x70, v2
	v_cmp_gt_u32_e32 vcc_lo, 0x71, v2
	v_or_b32_e32 v107, 0x800000, v3
	v_cndmask_b32_e32 v42, 0, v42, vcc_lo
	v_cmp_eq_u32_e32 vcc_lo, 0, v2
	v_add_nc_u32_e32 v2, 0xffffff91, v2
	v_cndmask_b32_e64 v42, v42, 0x6f, vcc_lo
	v_cndmask_b32_e32 v3, v107, v3, vcc_lo
	v_cndmask_b32_e64 v2, v2, 0xffffff92, vcc_lo
	v_lshl_add_u32 v109, 0x200000, v42, -1
	v_lshrrev_b32_e32 v107, v42, v3
	v_lshlrev_b32_e64 v111, v42, 0x100000
	v_and_b32_e32 v3, v109, v3
	v_bfe_u32 v110, v107, 21, 1
	v_cmp_eq_u32_e64 s12, v3, v111
	v_add_nc_u32_e32 v109, -1, v110
	v_lshrrev_b32_e32 v110, 23, v107
	v_cndmask_b32_e64 v3, 0, v109, s12
	s_mov_b32 s12, exec_lo
	v_add_nc_u32_e32 v109, v3, v107
	v_add_nc_u32_e32 v3, v42, v2
	v_xor_b32_e32 v42, 1, v110
	v_and_b32_e32 v2, 0x1fffff, v109
	v_add_nc_u32_e32 v2, v2, v107
                                        ; implicit-def: $vgpr107
	v_cmpx_ne_u32_e64 v3, v42
	s_xor_b32 s12, exec_lo, s12
; %bb.6965:                             ;   in Loop: Header=BB6_5278 Depth=2
	v_cmp_lt_u32_e32 vcc_lo, 0xffffff, v2
	v_sub_nc_u32_e32 v3, v3, v42
	v_cndmask_b32_e64 v42, 0, 1, vcc_lo
	v_add_co_ci_u32_e64 v107, null, 0, v3, vcc_lo
	v_lshrrev_b32_e32 v2, v42, v2
; %bb.6966:                             ;   in Loop: Header=BB6_5278 Depth=2
	s_andn2_saveexec_b32 s12, s12
; %bb.6967:                             ;   in Loop: Header=BB6_5278 Depth=2
	v_bfe_u32 v107, v2, 23, 1
; %bb.6968:                             ;   in Loop: Header=BB6_5278 Depth=2
	s_or_b32 exec_lo, exec_lo, s12
	v_lshrrev_b32_e32 v2, 21, v2
	v_min_i32_e32 v3, 31, v107
	v_cmp_gt_i32_e32 vcc_lo, 32, v107
	v_and_b32_sdwa v42, v108, v44 dst_sel:DWORD dst_unused:UNUSED_PAD src0_sel:BYTE_3 src1_sel:DWORD
	v_lshlrev_b32_e32 v3, 2, v3
	v_cndmask_b32_e32 v2, 3, v2, vcc_lo
	v_and_b32_e32 v3, 0xfc, v3
	v_and_b32_e32 v108, 3, v2
	v_or_b32_e32 v2, v107, v2
	v_or3_b32 v3, v3, v42, v108
	v_cmp_ne_u32_e32 vcc_lo, 0, v2
	v_cndmask_b32_e32 v107, 0, v3, vcc_lo
.LBB6_6969:                             ;   in Loop: Header=BB6_5278 Depth=2
	s_or_b32 exec_lo, exec_lo, s29
.LBB6_6970:                             ;   in Loop: Header=BB6_5278 Depth=2
	s_or_b32 exec_lo, exec_lo, s28
	v_cmp_gt_i16_sdwa s28, v25, v43 src0_sel:BYTE_3 src1_sel:DWORD
	s_andn2_b32 vcc_lo, exec_lo, s27
	s_mov_b32 s12, -1
                                        ; implicit-def: $vgpr108
	s_cbranch_vccnz .LBB6_6984
; %bb.6971:                             ;   in Loop: Header=BB6_5278 Depth=2
	s_mov_b32 s12, 0
	s_and_saveexec_b32 s29, s28
	s_xor_b32 s28, exec_lo, s29
	s_cbranch_execz .LBB6_7956
; %bb.6972:                             ;   in Loop: Header=BB6_5278 Depth=2
	v_cmp_eq_u16_sdwa s40, v25, v44 src0_sel:BYTE_3 src1_sel:DWORD
	s_mov_b32 s12, -1
	s_and_saveexec_b32 s29, s40
; %bb.6973:                             ;   in Loop: Header=BB6_5278 Depth=2
	s_xor_b32 s12, exec_lo, -1
; %bb.6974:                             ;   in Loop: Header=BB6_5278 Depth=2
	s_or_b32 exec_lo, exec_lo, s29
	s_and_b32 s12, s12, exec_lo
	s_or_saveexec_b32 s28, s28
	v_mov_b32_e32 v108, 0x7f800001
	s_xor_b32 exec_lo, exec_lo, s28
	s_cbranch_execnz .LBB6_7957
.LBB6_6975:                             ;   in Loop: Header=BB6_5278 Depth=2
	s_or_b32 exec_lo, exec_lo, s28
	s_and_saveexec_b32 s28, s12
	s_cbranch_execz .LBB6_6977
.LBB6_6976:                             ;   in Loop: Header=BB6_5278 Depth=2
	v_bfe_u32 v2, v25, 24, 2
	v_bfe_u32 v108, v25, 26, 5
	v_ffbh_u32_e32 v3, v2
	v_cmp_eq_u32_e32 vcc_lo, 0, v108
	v_min_u32_e32 v3, 32, v3
	v_subrev_nc_u32_e32 v42, 29, v3
	v_sub_nc_u32_e32 v3, 30, v3
	v_lshlrev_b32_sdwa v42, v42, v25 dst_sel:DWORD dst_unused:UNUSED_PAD src0_sel:DWORD src1_sel:BYTE_3
	v_cndmask_b32_e32 v3, v108, v3, vcc_lo
	v_and_b32_e32 v42, 3, v42
	v_lshl_add_u32 v3, v3, 23, 0x37800000
	v_cndmask_b32_e32 v2, v2, v42, vcc_lo
	v_and_b32_e32 v42, 0x80000000, v25
	v_lshlrev_b32_e32 v2, 21, v2
	v_or3_b32 v108, v42, v3, v2
.LBB6_6977:                             ;   in Loop: Header=BB6_5278 Depth=2
	s_or_b32 exec_lo, exec_lo, s28
	v_cmp_gt_i16_sdwa s28, v21, v43 src0_sel:BYTE_3 src1_sel:DWORD
	s_mov_b32 s12, 0
	s_and_saveexec_b32 s29, s28
	s_xor_b32 s28, exec_lo, s29
	s_cbranch_execz .LBB6_7958
; %bb.6978:                             ;   in Loop: Header=BB6_5278 Depth=2
	v_cmp_eq_u16_sdwa s40, v21, v44 src0_sel:BYTE_3 src1_sel:DWORD
	s_mov_b32 s12, -1
	s_and_saveexec_b32 s29, s40
; %bb.6979:                             ;   in Loop: Header=BB6_5278 Depth=2
	s_xor_b32 s12, exec_lo, -1
; %bb.6980:                             ;   in Loop: Header=BB6_5278 Depth=2
	s_or_b32 exec_lo, exec_lo, s29
	s_and_b32 s12, s12, exec_lo
	s_or_saveexec_b32 s28, s28
	v_mov_b32_e32 v2, 0x7f800001
	s_xor_b32 exec_lo, exec_lo, s28
	s_cbranch_execnz .LBB6_7959
.LBB6_6981:                             ;   in Loop: Header=BB6_5278 Depth=2
	s_or_b32 exec_lo, exec_lo, s28
	s_and_saveexec_b32 s28, s12
	s_cbranch_execz .LBB6_6983
.LBB6_6982:                             ;   in Loop: Header=BB6_5278 Depth=2
	v_bfe_u32 v2, v21, 24, 2
	v_bfe_u32 v109, v21, 26, 5
	v_ffbh_u32_e32 v3, v2
	v_cmp_eq_u32_e32 vcc_lo, 0, v109
	v_min_u32_e32 v3, 32, v3
	v_subrev_nc_u32_e32 v42, 29, v3
	v_sub_nc_u32_e32 v3, 30, v3
	v_lshlrev_b32_sdwa v42, v42, v21 dst_sel:DWORD dst_unused:UNUSED_PAD src0_sel:DWORD src1_sel:BYTE_3
	v_cndmask_b32_e32 v3, v109, v3, vcc_lo
	v_and_b32_e32 v42, 3, v42
	v_lshl_add_u32 v3, v3, 23, 0x37800000
	v_cndmask_b32_e32 v2, v2, v42, vcc_lo
	v_and_b32_e32 v42, 0x80000000, v21
	v_lshlrev_b32_e32 v2, 21, v2
	v_or3_b32 v2, v42, v3, v2
.LBB6_6983:                             ;   in Loop: Header=BB6_5278 Depth=2
	s_or_b32 exec_lo, exec_lo, s28
	v_max_f32_e32 v2, v2, v2
	v_max_f32_e32 v3, v108, v108
	s_mov_b32 s12, 0
	v_max_f32_e32 v108, v3, v2
.LBB6_6984:                             ;   in Loop: Header=BB6_5278 Depth=2
	s_and_b32 vcc_lo, exec_lo, s12
	s_cbranch_vccz .LBB6_6998
; %bb.6985:                             ;   in Loop: Header=BB6_5278 Depth=2
	v_cmp_gt_i16_sdwa s28, v25, v43 src0_sel:BYTE_3 src1_sel:DWORD
	s_mov_b32 s12, 0
	s_and_saveexec_b32 s29, s28
	s_xor_b32 s28, exec_lo, s29
	s_cbranch_execz .LBB6_7960
; %bb.6986:                             ;   in Loop: Header=BB6_5278 Depth=2
	v_cmp_eq_u16_sdwa s40, v25, v44 src0_sel:BYTE_3 src1_sel:DWORD
	s_mov_b32 s12, -1
	s_and_saveexec_b32 s29, s40
; %bb.6987:                             ;   in Loop: Header=BB6_5278 Depth=2
	s_xor_b32 s12, exec_lo, -1
; %bb.6988:                             ;   in Loop: Header=BB6_5278 Depth=2
	s_or_b32 exec_lo, exec_lo, s29
	s_and_b32 s12, s12, exec_lo
	s_or_saveexec_b32 s28, s28
	v_mov_b32_e32 v108, 0x7f800001
	s_xor_b32 exec_lo, exec_lo, s28
	s_cbranch_execnz .LBB6_7961
.LBB6_6989:                             ;   in Loop: Header=BB6_5278 Depth=2
	s_or_b32 exec_lo, exec_lo, s28
	s_and_saveexec_b32 s28, s12
	s_cbranch_execz .LBB6_6991
.LBB6_6990:                             ;   in Loop: Header=BB6_5278 Depth=2
	v_bfe_u32 v2, v25, 24, 2
	v_bfe_u32 v108, v25, 26, 5
	v_ffbh_u32_e32 v3, v2
	v_cmp_eq_u32_e32 vcc_lo, 0, v108
	v_min_u32_e32 v3, 32, v3
	v_subrev_nc_u32_e32 v42, 29, v3
	v_sub_nc_u32_e32 v3, 30, v3
	v_lshlrev_b32_sdwa v42, v42, v25 dst_sel:DWORD dst_unused:UNUSED_PAD src0_sel:DWORD src1_sel:BYTE_3
	v_cndmask_b32_e32 v3, v108, v3, vcc_lo
	v_and_b32_e32 v25, 0x80000000, v25
	v_and_b32_e32 v42, 3, v42
	v_lshl_add_u32 v3, v3, 23, 0x37800000
	v_cndmask_b32_e32 v2, v2, v42, vcc_lo
	v_lshlrev_b32_e32 v2, 21, v2
	v_or3_b32 v108, v25, v3, v2
.LBB6_6991:                             ;   in Loop: Header=BB6_5278 Depth=2
	s_or_b32 exec_lo, exec_lo, s28
	v_cmp_gt_i16_sdwa s28, v21, v43 src0_sel:BYTE_3 src1_sel:DWORD
	s_mov_b32 s12, 0
	s_and_saveexec_b32 s29, s28
	s_xor_b32 s28, exec_lo, s29
	s_cbranch_execz .LBB6_7962
; %bb.6992:                             ;   in Loop: Header=BB6_5278 Depth=2
	v_cmp_eq_u16_sdwa s40, v21, v44 src0_sel:BYTE_3 src1_sel:DWORD
	s_mov_b32 s12, -1
	s_and_saveexec_b32 s29, s40
; %bb.6993:                             ;   in Loop: Header=BB6_5278 Depth=2
	s_xor_b32 s12, exec_lo, -1
; %bb.6994:                             ;   in Loop: Header=BB6_5278 Depth=2
	s_or_b32 exec_lo, exec_lo, s29
	s_and_b32 s12, s12, exec_lo
	s_or_saveexec_b32 s28, s28
	v_mov_b32_e32 v2, 0x7f800001
	s_xor_b32 exec_lo, exec_lo, s28
	s_cbranch_execnz .LBB6_7963
.LBB6_6995:                             ;   in Loop: Header=BB6_5278 Depth=2
	s_or_b32 exec_lo, exec_lo, s28
	s_and_saveexec_b32 s28, s12
	s_cbranch_execz .LBB6_6997
.LBB6_6996:                             ;   in Loop: Header=BB6_5278 Depth=2
	v_bfe_u32 v2, v21, 24, 2
	v_bfe_u32 v42, v21, 26, 5
	v_ffbh_u32_e32 v3, v2
	v_cmp_eq_u32_e32 vcc_lo, 0, v42
	v_min_u32_e32 v3, 32, v3
	v_subrev_nc_u32_e32 v25, 29, v3
	v_sub_nc_u32_e32 v3, 30, v3
	v_lshlrev_b32_sdwa v25, v25, v21 dst_sel:DWORD dst_unused:UNUSED_PAD src0_sel:DWORD src1_sel:BYTE_3
	v_cndmask_b32_e32 v3, v42, v3, vcc_lo
	v_and_b32_e32 v21, 0x80000000, v21
	v_and_b32_e32 v25, 3, v25
	v_lshl_add_u32 v3, v3, 23, 0x37800000
	v_cndmask_b32_e32 v2, v2, v25, vcc_lo
	v_lshlrev_b32_e32 v2, 21, v2
	v_or3_b32 v2, v21, v3, v2
.LBB6_6997:                             ;   in Loop: Header=BB6_5278 Depth=2
	s_or_b32 exec_lo, exec_lo, s28
	v_max_f32_e32 v2, v2, v2
	v_max_f32_e32 v3, v108, v108
	v_min_f32_e32 v108, v3, v2
.LBB6_6998:                             ;   in Loop: Header=BB6_5278 Depth=2
	v_and_b32_e32 v2, 0x7f800000, v108
	v_mov_b32_e32 v21, 0x8000
	s_mov_b32 s28, exec_lo
	v_cmpx_ne_u32_e32 0x7f800000, v2
	s_cbranch_execz .LBB6_7006
; %bb.6999:                             ;   in Loop: Header=BB6_5278 Depth=2
	v_mov_b32_e32 v21, 0
	s_mov_b32 s29, exec_lo
	v_cmpx_ne_u32_e32 0, v108
	s_cbranch_execz .LBB6_7005
; %bb.7000:                             ;   in Loop: Header=BB6_5278 Depth=2
	v_bfe_u32 v2, v108, 23, 8
	v_and_b32_e32 v3, 0x7fffff, v108
	v_sub_nc_u32_e32 v21, 0x70, v2
	v_cmp_gt_u32_e32 vcc_lo, 0x71, v2
	v_or_b32_e32 v25, 0x800000, v3
	v_cndmask_b32_e32 v21, 0, v21, vcc_lo
	v_cmp_eq_u32_e32 vcc_lo, 0, v2
	v_add_nc_u32_e32 v2, 0xffffff91, v2
	v_cndmask_b32_e64 v21, v21, 0x6f, vcc_lo
	v_cndmask_b32_e32 v3, v25, v3, vcc_lo
	v_cndmask_b32_e64 v2, v2, 0xffffff92, vcc_lo
	v_lshl_add_u32 v25, 0x200000, v21, -1
	v_lshrrev_b32_e32 v42, v21, v3
	v_lshlrev_b32_e64 v110, v21, 0x100000
	v_and_b32_e32 v3, v25, v3
	v_bfe_u32 v109, v42, 21, 1
	v_cmp_eq_u32_e64 s12, v3, v110
	v_add_nc_u32_e32 v25, -1, v109
	v_lshrrev_b32_e32 v109, 23, v42
	v_cndmask_b32_e64 v3, 0, v25, s12
	s_mov_b32 s12, exec_lo
	v_add_nc_u32_e32 v25, v3, v42
	v_add_nc_u32_e32 v3, v21, v2
                                        ; implicit-def: $vgpr21
	v_and_b32_e32 v2, 0x1fffff, v25
	v_xor_b32_e32 v25, 1, v109
	v_add_nc_u32_e32 v2, v2, v42
	v_cmpx_ne_u32_e64 v3, v25
	s_xor_b32 s12, exec_lo, s12
; %bb.7001:                             ;   in Loop: Header=BB6_5278 Depth=2
	v_cmp_lt_u32_e32 vcc_lo, 0xffffff, v2
	v_sub_nc_u32_e32 v3, v3, v25
	v_cndmask_b32_e64 v25, 0, 1, vcc_lo
	v_add_co_ci_u32_e64 v21, null, 0, v3, vcc_lo
	v_lshrrev_b32_e32 v2, v25, v2
; %bb.7002:                             ;   in Loop: Header=BB6_5278 Depth=2
	s_andn2_saveexec_b32 s12, s12
; %bb.7003:                             ;   in Loop: Header=BB6_5278 Depth=2
	v_bfe_u32 v21, v2, 23, 1
; %bb.7004:                             ;   in Loop: Header=BB6_5278 Depth=2
	s_or_b32 exec_lo, exec_lo, s12
	v_lshrrev_b32_e32 v2, 21, v2
	v_min_i32_e32 v3, 31, v21
	v_cmp_gt_i32_e32 vcc_lo, 32, v21
	v_and_b32_sdwa v25, v108, v44 dst_sel:DWORD dst_unused:UNUSED_PAD src0_sel:BYTE_3 src1_sel:DWORD
	v_lshlrev_b32_e32 v3, 2, v3
	v_cndmask_b32_e32 v2, 3, v2, vcc_lo
	v_and_b32_e32 v3, 0xfc, v3
	v_and_b32_e32 v42, 3, v2
	v_or_b32_e32 v2, v21, v2
	v_or3_b32 v3, v25, v3, v42
	v_cmp_ne_u32_e32 vcc_lo, 0, v2
	v_lshlrev_b32_e32 v3, 8, v3
	v_cndmask_b32_e32 v21, 0, v3, vcc_lo
.LBB6_7005:                             ;   in Loop: Header=BB6_5278 Depth=2
	s_or_b32 exec_lo, exec_lo, s29
.LBB6_7006:                             ;   in Loop: Header=BB6_5278 Depth=2
	s_or_b32 exec_lo, exec_lo, s28
	v_cmp_gt_i16_sdwa s28, v14, v43 src0_sel:BYTE_0 src1_sel:DWORD
	s_andn2_b32 vcc_lo, exec_lo, s27
	s_mov_b32 s12, -1
                                        ; implicit-def: $vgpr108
	s_cbranch_vccnz .LBB6_7020
; %bb.7007:                             ;   in Loop: Header=BB6_5278 Depth=2
	s_mov_b32 s12, 0
	s_and_saveexec_b32 s29, s28
	s_xor_b32 s28, exec_lo, s29
	s_cbranch_execz .LBB6_7964
; %bb.7008:                             ;   in Loop: Header=BB6_5278 Depth=2
	v_cmp_eq_u16_sdwa s40, v14, v44 src0_sel:BYTE_0 src1_sel:DWORD
	s_mov_b32 s12, -1
	s_and_saveexec_b32 s29, s40
; %bb.7009:                             ;   in Loop: Header=BB6_5278 Depth=2
	s_xor_b32 s12, exec_lo, -1
; %bb.7010:                             ;   in Loop: Header=BB6_5278 Depth=2
	s_or_b32 exec_lo, exec_lo, s29
	s_and_b32 s12, s12, exec_lo
	s_or_saveexec_b32 s28, s28
	v_mov_b32_e32 v25, 0x7f800001
	s_xor_b32 exec_lo, exec_lo, s28
	s_cbranch_execnz .LBB6_7965
.LBB6_7011:                             ;   in Loop: Header=BB6_5278 Depth=2
	s_or_b32 exec_lo, exec_lo, s28
	s_and_saveexec_b32 s28, s12
	s_cbranch_execz .LBB6_7013
.LBB6_7012:                             ;   in Loop: Header=BB6_5278 Depth=2
	v_and_b32_e32 v2, 3, v14
	v_bfe_u32 v42, v14, 2, 5
	v_lshlrev_b32_e32 v108, 24, v14
	v_ffbh_u32_e32 v3, v2
	v_cmp_eq_u32_e32 vcc_lo, 0, v42
	v_min_u32_e32 v3, 32, v3
	v_subrev_nc_u32_e32 v25, 29, v3
	v_sub_nc_u32_e32 v3, 30, v3
	v_lshlrev_b32_e32 v25, v25, v14
	v_cndmask_b32_e32 v3, v42, v3, vcc_lo
	v_and_b32_e32 v25, 3, v25
	v_lshl_add_u32 v3, v3, 23, 0x37800000
	v_cndmask_b32_e32 v2, v2, v25, vcc_lo
	v_and_b32_e32 v25, 0x80000000, v108
	v_lshlrev_b32_e32 v2, 21, v2
	v_or3_b32 v25, v25, v3, v2
.LBB6_7013:                             ;   in Loop: Header=BB6_5278 Depth=2
	s_or_b32 exec_lo, exec_lo, s28
	s_waitcnt vmcnt(0)
	v_cmp_gt_i16_sdwa s28, v10, v43 src0_sel:BYTE_0 src1_sel:DWORD
	s_mov_b32 s12, 0
	s_and_saveexec_b32 s29, s28
	s_xor_b32 s28, exec_lo, s29
	s_cbranch_execz .LBB6_7966
; %bb.7014:                             ;   in Loop: Header=BB6_5278 Depth=2
	v_cmp_eq_u16_sdwa s40, v10, v44 src0_sel:BYTE_0 src1_sel:DWORD
	s_mov_b32 s12, -1
	s_and_saveexec_b32 s29, s40
; %bb.7015:                             ;   in Loop: Header=BB6_5278 Depth=2
	s_xor_b32 s12, exec_lo, -1
; %bb.7016:                             ;   in Loop: Header=BB6_5278 Depth=2
	s_or_b32 exec_lo, exec_lo, s29
	s_and_b32 s12, s12, exec_lo
	s_or_saveexec_b32 s28, s28
	v_mov_b32_e32 v2, 0x7f800001
	s_xor_b32 exec_lo, exec_lo, s28
	s_cbranch_execnz .LBB6_7967
.LBB6_7017:                             ;   in Loop: Header=BB6_5278 Depth=2
	s_or_b32 exec_lo, exec_lo, s28
	s_and_saveexec_b32 s28, s12
	s_cbranch_execz .LBB6_7019
.LBB6_7018:                             ;   in Loop: Header=BB6_5278 Depth=2
	v_and_b32_e32 v2, 3, v10
	v_bfe_u32 v108, v10, 2, 5
	v_lshlrev_b32_e32 v109, 24, v10
	v_ffbh_u32_e32 v3, v2
	v_cmp_eq_u32_e32 vcc_lo, 0, v108
	v_min_u32_e32 v3, 32, v3
	v_subrev_nc_u32_e32 v42, 29, v3
	v_sub_nc_u32_e32 v3, 30, v3
	v_lshlrev_b32_e32 v42, v42, v10
	v_cndmask_b32_e32 v3, v108, v3, vcc_lo
	v_and_b32_e32 v42, 3, v42
	v_lshl_add_u32 v3, v3, 23, 0x37800000
	v_cndmask_b32_e32 v2, v2, v42, vcc_lo
	v_and_b32_e32 v42, 0x80000000, v109
	v_lshlrev_b32_e32 v2, 21, v2
	v_or3_b32 v2, v42, v3, v2
.LBB6_7019:                             ;   in Loop: Header=BB6_5278 Depth=2
	s_or_b32 exec_lo, exec_lo, s28
	v_max_f32_e32 v2, v2, v2
	v_max_f32_e32 v3, v25, v25
	s_mov_b32 s12, 0
	v_max_f32_e32 v108, v3, v2
.LBB6_7020:                             ;   in Loop: Header=BB6_5278 Depth=2
	s_and_b32 vcc_lo, exec_lo, s12
	s_cbranch_vccz .LBB6_7034
; %bb.7021:                             ;   in Loop: Header=BB6_5278 Depth=2
	v_cmp_gt_i16_sdwa s28, v14, v43 src0_sel:BYTE_0 src1_sel:DWORD
	s_mov_b32 s12, 0
	s_and_saveexec_b32 s29, s28
	s_xor_b32 s28, exec_lo, s29
	s_cbranch_execz .LBB6_7968
; %bb.7022:                             ;   in Loop: Header=BB6_5278 Depth=2
	v_cmp_eq_u16_sdwa s40, v14, v44 src0_sel:BYTE_0 src1_sel:DWORD
	s_mov_b32 s12, -1
	s_and_saveexec_b32 s29, s40
; %bb.7023:                             ;   in Loop: Header=BB6_5278 Depth=2
	s_xor_b32 s12, exec_lo, -1
; %bb.7024:                             ;   in Loop: Header=BB6_5278 Depth=2
	s_or_b32 exec_lo, exec_lo, s29
	s_and_b32 s12, s12, exec_lo
	s_or_saveexec_b32 s28, s28
	v_mov_b32_e32 v25, 0x7f800001
	s_xor_b32 exec_lo, exec_lo, s28
	s_cbranch_execnz .LBB6_7969
.LBB6_7025:                             ;   in Loop: Header=BB6_5278 Depth=2
	s_or_b32 exec_lo, exec_lo, s28
	s_and_saveexec_b32 s28, s12
	s_cbranch_execz .LBB6_7027
.LBB6_7026:                             ;   in Loop: Header=BB6_5278 Depth=2
	v_and_b32_e32 v2, 3, v14
	v_bfe_u32 v42, v14, 2, 5
	v_lshlrev_b32_e32 v108, 24, v14
	v_ffbh_u32_e32 v3, v2
	v_cmp_eq_u32_e32 vcc_lo, 0, v42
	v_min_u32_e32 v3, 32, v3
	v_subrev_nc_u32_e32 v25, 29, v3
	v_sub_nc_u32_e32 v3, 30, v3
	v_lshlrev_b32_e32 v25, v25, v14
	v_cndmask_b32_e32 v3, v42, v3, vcc_lo
	v_and_b32_e32 v25, 3, v25
	v_lshl_add_u32 v3, v3, 23, 0x37800000
	v_cndmask_b32_e32 v2, v2, v25, vcc_lo
	v_and_b32_e32 v25, 0x80000000, v108
	v_lshlrev_b32_e32 v2, 21, v2
	v_or3_b32 v25, v25, v3, v2
.LBB6_7027:                             ;   in Loop: Header=BB6_5278 Depth=2
	s_or_b32 exec_lo, exec_lo, s28
	s_waitcnt vmcnt(0)
	v_cmp_gt_i16_sdwa s28, v10, v43 src0_sel:BYTE_0 src1_sel:DWORD
	s_mov_b32 s12, 0
	s_and_saveexec_b32 s29, s28
	s_xor_b32 s28, exec_lo, s29
	s_cbranch_execz .LBB6_7970
; %bb.7028:                             ;   in Loop: Header=BB6_5278 Depth=2
	v_cmp_eq_u16_sdwa s40, v10, v44 src0_sel:BYTE_0 src1_sel:DWORD
	s_mov_b32 s12, -1
	s_and_saveexec_b32 s29, s40
; %bb.7029:                             ;   in Loop: Header=BB6_5278 Depth=2
	s_xor_b32 s12, exec_lo, -1
; %bb.7030:                             ;   in Loop: Header=BB6_5278 Depth=2
	s_or_b32 exec_lo, exec_lo, s29
	s_and_b32 s12, s12, exec_lo
	s_or_saveexec_b32 s28, s28
	v_mov_b32_e32 v2, 0x7f800001
	s_xor_b32 exec_lo, exec_lo, s28
	s_cbranch_execnz .LBB6_7971
.LBB6_7031:                             ;   in Loop: Header=BB6_5278 Depth=2
	s_or_b32 exec_lo, exec_lo, s28
	s_and_saveexec_b32 s28, s12
	s_cbranch_execz .LBB6_7033
.LBB6_7032:                             ;   in Loop: Header=BB6_5278 Depth=2
	v_and_b32_e32 v2, 3, v10
	v_bfe_u32 v108, v10, 2, 5
	v_lshlrev_b32_e32 v109, 24, v10
	v_ffbh_u32_e32 v3, v2
	v_cmp_eq_u32_e32 vcc_lo, 0, v108
	v_min_u32_e32 v3, 32, v3
	v_subrev_nc_u32_e32 v42, 29, v3
	v_sub_nc_u32_e32 v3, 30, v3
	v_lshlrev_b32_e32 v42, v42, v10
	v_cndmask_b32_e32 v3, v108, v3, vcc_lo
	v_and_b32_e32 v42, 3, v42
	v_lshl_add_u32 v3, v3, 23, 0x37800000
	v_cndmask_b32_e32 v2, v2, v42, vcc_lo
	v_and_b32_e32 v42, 0x80000000, v109
	v_lshlrev_b32_e32 v2, 21, v2
	v_or3_b32 v2, v42, v3, v2
.LBB6_7033:                             ;   in Loop: Header=BB6_5278 Depth=2
	s_or_b32 exec_lo, exec_lo, s28
	v_max_f32_e32 v2, v2, v2
	v_max_f32_e32 v3, v25, v25
	v_min_f32_e32 v108, v3, v2
.LBB6_7034:                             ;   in Loop: Header=BB6_5278 Depth=2
	v_and_b32_e32 v2, 0x7f800000, v108
	v_mov_b32_e32 v25, 0x80
	s_mov_b32 s28, exec_lo
	v_cmpx_ne_u32_e32 0x7f800000, v2
	s_cbranch_execz .LBB6_7042
; %bb.7035:                             ;   in Loop: Header=BB6_5278 Depth=2
	v_mov_b32_e32 v25, 0
	s_mov_b32 s29, exec_lo
	v_cmpx_ne_u32_e32 0, v108
	s_cbranch_execz .LBB6_7041
; %bb.7036:                             ;   in Loop: Header=BB6_5278 Depth=2
	v_bfe_u32 v2, v108, 23, 8
	v_and_b32_e32 v3, 0x7fffff, v108
	v_sub_nc_u32_e32 v25, 0x70, v2
	v_cmp_gt_u32_e32 vcc_lo, 0x71, v2
	v_or_b32_e32 v42, 0x800000, v3
	v_cndmask_b32_e32 v25, 0, v25, vcc_lo
	v_cmp_eq_u32_e32 vcc_lo, 0, v2
	v_add_nc_u32_e32 v2, 0xffffff91, v2
	v_cndmask_b32_e64 v25, v25, 0x6f, vcc_lo
	v_cndmask_b32_e32 v3, v42, v3, vcc_lo
	v_cndmask_b32_e64 v2, v2, 0xffffff92, vcc_lo
	v_lshl_add_u32 v42, 0x200000, v25, -1
	v_lshrrev_b32_e32 v109, v25, v3
	v_lshlrev_b32_e64 v111, v25, 0x100000
	v_and_b32_e32 v3, v42, v3
	v_bfe_u32 v110, v109, 21, 1
	v_cmp_eq_u32_e64 s12, v3, v111
	v_add_nc_u32_e32 v42, -1, v110
	v_lshrrev_b32_e32 v110, 23, v109
	v_cndmask_b32_e64 v3, 0, v42, s12
	s_mov_b32 s12, exec_lo
	v_add_nc_u32_e32 v42, v3, v109
	v_add_nc_u32_e32 v3, v25, v2
                                        ; implicit-def: $vgpr25
	v_and_b32_e32 v2, 0x1fffff, v42
	v_xor_b32_e32 v42, 1, v110
	v_add_nc_u32_e32 v2, v2, v109
	v_cmpx_ne_u32_e64 v3, v42
	s_xor_b32 s12, exec_lo, s12
; %bb.7037:                             ;   in Loop: Header=BB6_5278 Depth=2
	v_cmp_lt_u32_e32 vcc_lo, 0xffffff, v2
	v_sub_nc_u32_e32 v3, v3, v42
	v_cndmask_b32_e64 v42, 0, 1, vcc_lo
	v_add_co_ci_u32_e64 v25, null, 0, v3, vcc_lo
	v_lshrrev_b32_e32 v2, v42, v2
; %bb.7038:                             ;   in Loop: Header=BB6_5278 Depth=2
	s_andn2_saveexec_b32 s12, s12
; %bb.7039:                             ;   in Loop: Header=BB6_5278 Depth=2
	v_bfe_u32 v25, v2, 23, 1
; %bb.7040:                             ;   in Loop: Header=BB6_5278 Depth=2
	s_or_b32 exec_lo, exec_lo, s12
	v_lshrrev_b32_e32 v2, 21, v2
	v_min_i32_e32 v3, 31, v25
	v_cmp_gt_i32_e32 vcc_lo, 32, v25
	v_and_b32_sdwa v42, v108, v44 dst_sel:DWORD dst_unused:UNUSED_PAD src0_sel:BYTE_3 src1_sel:DWORD
	v_lshlrev_b32_e32 v3, 2, v3
	v_cndmask_b32_e32 v2, 3, v2, vcc_lo
	v_and_b32_e32 v3, 0xfc, v3
	v_and_b32_e32 v108, 3, v2
	v_or_b32_e32 v2, v25, v2
	v_or3_b32 v3, v3, v42, v108
	v_cmp_ne_u32_e32 vcc_lo, 0, v2
	v_cndmask_b32_e32 v25, 0, v3, vcc_lo
.LBB6_7041:                             ;   in Loop: Header=BB6_5278 Depth=2
	s_or_b32 exec_lo, exec_lo, s29
.LBB6_7042:                             ;   in Loop: Header=BB6_5278 Depth=2
	s_or_b32 exec_lo, exec_lo, s28
	v_cmp_gt_i16_sdwa s28, v14, v43 src0_sel:BYTE_1 src1_sel:DWORD
	s_andn2_b32 vcc_lo, exec_lo, s27
	s_mov_b32 s12, -1
                                        ; implicit-def: $vgpr109
	s_cbranch_vccnz .LBB6_7056
; %bb.7043:                             ;   in Loop: Header=BB6_5278 Depth=2
	s_mov_b32 s12, 0
	s_and_saveexec_b32 s29, s28
	s_xor_b32 s28, exec_lo, s29
	s_cbranch_execz .LBB6_7972
; %bb.7044:                             ;   in Loop: Header=BB6_5278 Depth=2
	v_cmp_eq_u16_sdwa s40, v14, v44 src0_sel:BYTE_1 src1_sel:DWORD
	s_mov_b32 s12, -1
	s_and_saveexec_b32 s29, s40
; %bb.7045:                             ;   in Loop: Header=BB6_5278 Depth=2
	s_xor_b32 s12, exec_lo, -1
; %bb.7046:                             ;   in Loop: Header=BB6_5278 Depth=2
	s_or_b32 exec_lo, exec_lo, s29
	s_and_b32 s12, s12, exec_lo
	s_or_saveexec_b32 s28, s28
	v_mov_b32_e32 v108, 0x7f800001
	s_xor_b32 exec_lo, exec_lo, s28
	s_cbranch_execnz .LBB6_7973
.LBB6_7047:                             ;   in Loop: Header=BB6_5278 Depth=2
	s_or_b32 exec_lo, exec_lo, s28
	s_and_saveexec_b32 s28, s12
	s_cbranch_execz .LBB6_7049
.LBB6_7048:                             ;   in Loop: Header=BB6_5278 Depth=2
	v_and_b32_sdwa v2, v45, v14 dst_sel:DWORD dst_unused:UNUSED_PAD src0_sel:DWORD src1_sel:BYTE_1
	v_and_b32_e32 v3, 3, v2
	v_bfe_u32 v109, v2, 2, 5
	v_ffbh_u32_e32 v42, v3
	v_cmp_eq_u32_e32 vcc_lo, 0, v109
	v_min_u32_e32 v42, 32, v42
	v_subrev_nc_u32_e32 v108, 29, v42
	v_sub_nc_u32_e32 v42, 30, v42
	v_lshlrev_b32_e32 v2, v108, v2
	v_lshlrev_b32_e32 v108, 16, v14
	v_cndmask_b32_e32 v42, v109, v42, vcc_lo
	v_and_b32_e32 v2, 3, v2
	v_lshl_add_u32 v42, v42, 23, 0x37800000
	v_cndmask_b32_e32 v2, v3, v2, vcc_lo
	v_and_b32_e32 v3, 0x80000000, v108
	v_lshlrev_b32_e32 v2, 21, v2
	v_or3_b32 v108, v3, v42, v2
.LBB6_7049:                             ;   in Loop: Header=BB6_5278 Depth=2
	s_or_b32 exec_lo, exec_lo, s28
	s_waitcnt vmcnt(0)
	v_cmp_gt_i16_sdwa s28, v10, v43 src0_sel:BYTE_1 src1_sel:DWORD
	s_mov_b32 s12, 0
	s_and_saveexec_b32 s29, s28
	s_xor_b32 s28, exec_lo, s29
	s_cbranch_execz .LBB6_7974
; %bb.7050:                             ;   in Loop: Header=BB6_5278 Depth=2
	v_cmp_eq_u16_sdwa s40, v10, v44 src0_sel:BYTE_1 src1_sel:DWORD
	s_mov_b32 s12, -1
	s_and_saveexec_b32 s29, s40
; %bb.7051:                             ;   in Loop: Header=BB6_5278 Depth=2
	s_xor_b32 s12, exec_lo, -1
; %bb.7052:                             ;   in Loop: Header=BB6_5278 Depth=2
	s_or_b32 exec_lo, exec_lo, s29
	s_and_b32 s12, s12, exec_lo
	s_or_saveexec_b32 s28, s28
	v_mov_b32_e32 v2, 0x7f800001
	s_xor_b32 exec_lo, exec_lo, s28
	s_cbranch_execnz .LBB6_7975
.LBB6_7053:                             ;   in Loop: Header=BB6_5278 Depth=2
	s_or_b32 exec_lo, exec_lo, s28
	s_and_saveexec_b32 s28, s12
	s_cbranch_execz .LBB6_7055
.LBB6_7054:                             ;   in Loop: Header=BB6_5278 Depth=2
	v_and_b32_sdwa v2, v45, v10 dst_sel:DWORD dst_unused:UNUSED_PAD src0_sel:DWORD src1_sel:BYTE_1
	v_and_b32_e32 v3, 3, v2
	v_bfe_u32 v110, v2, 2, 5
	v_ffbh_u32_e32 v42, v3
	v_cmp_eq_u32_e32 vcc_lo, 0, v110
	v_min_u32_e32 v42, 32, v42
	v_subrev_nc_u32_e32 v109, 29, v42
	v_sub_nc_u32_e32 v42, 30, v42
	v_lshlrev_b32_e32 v2, v109, v2
	v_lshlrev_b32_e32 v109, 16, v10
	v_cndmask_b32_e32 v42, v110, v42, vcc_lo
	v_and_b32_e32 v2, 3, v2
	v_lshl_add_u32 v42, v42, 23, 0x37800000
	v_cndmask_b32_e32 v2, v3, v2, vcc_lo
	v_and_b32_e32 v3, 0x80000000, v109
	v_lshlrev_b32_e32 v2, 21, v2
	v_or3_b32 v2, v3, v42, v2
.LBB6_7055:                             ;   in Loop: Header=BB6_5278 Depth=2
	s_or_b32 exec_lo, exec_lo, s28
	v_max_f32_e32 v2, v2, v2
	v_max_f32_e32 v3, v108, v108
	s_mov_b32 s12, 0
	v_max_f32_e32 v109, v3, v2
.LBB6_7056:                             ;   in Loop: Header=BB6_5278 Depth=2
	s_and_b32 vcc_lo, exec_lo, s12
	s_cbranch_vccz .LBB6_7070
; %bb.7057:                             ;   in Loop: Header=BB6_5278 Depth=2
	v_cmp_gt_i16_sdwa s28, v14, v43 src0_sel:BYTE_1 src1_sel:DWORD
	s_mov_b32 s12, 0
	s_and_saveexec_b32 s29, s28
	s_xor_b32 s28, exec_lo, s29
	s_cbranch_execz .LBB6_7976
; %bb.7058:                             ;   in Loop: Header=BB6_5278 Depth=2
	v_cmp_eq_u16_sdwa s40, v14, v44 src0_sel:BYTE_1 src1_sel:DWORD
	s_mov_b32 s12, -1
	s_and_saveexec_b32 s29, s40
; %bb.7059:                             ;   in Loop: Header=BB6_5278 Depth=2
	s_xor_b32 s12, exec_lo, -1
; %bb.7060:                             ;   in Loop: Header=BB6_5278 Depth=2
	s_or_b32 exec_lo, exec_lo, s29
	s_and_b32 s12, s12, exec_lo
	s_or_saveexec_b32 s28, s28
	v_mov_b32_e32 v108, 0x7f800001
	s_xor_b32 exec_lo, exec_lo, s28
	s_cbranch_execnz .LBB6_7977
.LBB6_7061:                             ;   in Loop: Header=BB6_5278 Depth=2
	s_or_b32 exec_lo, exec_lo, s28
	s_and_saveexec_b32 s28, s12
	s_cbranch_execz .LBB6_7063
.LBB6_7062:                             ;   in Loop: Header=BB6_5278 Depth=2
	v_and_b32_sdwa v2, v45, v14 dst_sel:DWORD dst_unused:UNUSED_PAD src0_sel:DWORD src1_sel:BYTE_1
	v_and_b32_e32 v3, 3, v2
	v_bfe_u32 v109, v2, 2, 5
	v_ffbh_u32_e32 v42, v3
	v_cmp_eq_u32_e32 vcc_lo, 0, v109
	v_min_u32_e32 v42, 32, v42
	v_subrev_nc_u32_e32 v108, 29, v42
	v_sub_nc_u32_e32 v42, 30, v42
	v_lshlrev_b32_e32 v2, v108, v2
	v_lshlrev_b32_e32 v108, 16, v14
	v_cndmask_b32_e32 v42, v109, v42, vcc_lo
	v_and_b32_e32 v2, 3, v2
	v_lshl_add_u32 v42, v42, 23, 0x37800000
	v_cndmask_b32_e32 v2, v3, v2, vcc_lo
	v_and_b32_e32 v3, 0x80000000, v108
	v_lshlrev_b32_e32 v2, 21, v2
	v_or3_b32 v108, v3, v42, v2
.LBB6_7063:                             ;   in Loop: Header=BB6_5278 Depth=2
	s_or_b32 exec_lo, exec_lo, s28
	s_waitcnt vmcnt(0)
	v_cmp_gt_i16_sdwa s28, v10, v43 src0_sel:BYTE_1 src1_sel:DWORD
	s_mov_b32 s12, 0
	s_and_saveexec_b32 s29, s28
	s_xor_b32 s28, exec_lo, s29
	s_cbranch_execz .LBB6_7978
; %bb.7064:                             ;   in Loop: Header=BB6_5278 Depth=2
	v_cmp_eq_u16_sdwa s40, v10, v44 src0_sel:BYTE_1 src1_sel:DWORD
	s_mov_b32 s12, -1
	s_and_saveexec_b32 s29, s40
; %bb.7065:                             ;   in Loop: Header=BB6_5278 Depth=2
	s_xor_b32 s12, exec_lo, -1
; %bb.7066:                             ;   in Loop: Header=BB6_5278 Depth=2
	s_or_b32 exec_lo, exec_lo, s29
	s_and_b32 s12, s12, exec_lo
	s_or_saveexec_b32 s28, s28
	v_mov_b32_e32 v2, 0x7f800001
	s_xor_b32 exec_lo, exec_lo, s28
	s_cbranch_execnz .LBB6_7979
.LBB6_7067:                             ;   in Loop: Header=BB6_5278 Depth=2
	s_or_b32 exec_lo, exec_lo, s28
	s_and_saveexec_b32 s28, s12
	s_cbranch_execz .LBB6_7069
.LBB6_7068:                             ;   in Loop: Header=BB6_5278 Depth=2
	v_and_b32_sdwa v2, v45, v10 dst_sel:DWORD dst_unused:UNUSED_PAD src0_sel:DWORD src1_sel:BYTE_1
	v_and_b32_e32 v3, 3, v2
	v_bfe_u32 v110, v2, 2, 5
	v_ffbh_u32_e32 v42, v3
	v_cmp_eq_u32_e32 vcc_lo, 0, v110
	v_min_u32_e32 v42, 32, v42
	v_subrev_nc_u32_e32 v109, 29, v42
	v_sub_nc_u32_e32 v42, 30, v42
	v_lshlrev_b32_e32 v2, v109, v2
	v_lshlrev_b32_e32 v109, 16, v10
	v_cndmask_b32_e32 v42, v110, v42, vcc_lo
	v_and_b32_e32 v2, 3, v2
	v_lshl_add_u32 v42, v42, 23, 0x37800000
	v_cndmask_b32_e32 v2, v3, v2, vcc_lo
	v_and_b32_e32 v3, 0x80000000, v109
	v_lshlrev_b32_e32 v2, 21, v2
	v_or3_b32 v2, v3, v42, v2
.LBB6_7069:                             ;   in Loop: Header=BB6_5278 Depth=2
	s_or_b32 exec_lo, exec_lo, s28
	v_max_f32_e32 v2, v2, v2
	v_max_f32_e32 v3, v108, v108
	v_min_f32_e32 v109, v3, v2
.LBB6_7070:                             ;   in Loop: Header=BB6_5278 Depth=2
	v_and_b32_e32 v2, 0x7f800000, v109
	v_mov_b32_e32 v108, 0x8000
	s_mov_b32 s28, exec_lo
	v_cmpx_ne_u32_e32 0x7f800000, v2
	s_cbranch_execz .LBB6_7078
; %bb.7071:                             ;   in Loop: Header=BB6_5278 Depth=2
	v_mov_b32_e32 v108, 0
	s_mov_b32 s29, exec_lo
	v_cmpx_ne_u32_e32 0, v109
	s_cbranch_execz .LBB6_7077
; %bb.7072:                             ;   in Loop: Header=BB6_5278 Depth=2
	v_bfe_u32 v2, v109, 23, 8
	v_and_b32_e32 v3, 0x7fffff, v109
	v_sub_nc_u32_e32 v42, 0x70, v2
	v_cmp_gt_u32_e32 vcc_lo, 0x71, v2
	v_or_b32_e32 v108, 0x800000, v3
	v_cndmask_b32_e32 v42, 0, v42, vcc_lo
	v_cmp_eq_u32_e32 vcc_lo, 0, v2
	v_add_nc_u32_e32 v2, 0xffffff91, v2
	v_cndmask_b32_e64 v42, v42, 0x6f, vcc_lo
	v_cndmask_b32_e32 v3, v108, v3, vcc_lo
	v_cndmask_b32_e64 v2, v2, 0xffffff92, vcc_lo
	v_lshl_add_u32 v110, 0x200000, v42, -1
	v_lshrrev_b32_e32 v108, v42, v3
	v_lshlrev_b32_e64 v120, v42, 0x100000
	v_and_b32_e32 v3, v110, v3
	v_bfe_u32 v111, v108, 21, 1
	v_cmp_eq_u32_e64 s12, v3, v120
	v_add_nc_u32_e32 v110, -1, v111
	v_lshrrev_b32_e32 v111, 23, v108
	v_cndmask_b32_e64 v3, 0, v110, s12
	s_mov_b32 s12, exec_lo
	v_add_nc_u32_e32 v110, v3, v108
	v_add_nc_u32_e32 v3, v42, v2
	v_xor_b32_e32 v42, 1, v111
	v_and_b32_e32 v2, 0x1fffff, v110
	v_add_nc_u32_e32 v2, v2, v108
                                        ; implicit-def: $vgpr108
	v_cmpx_ne_u32_e64 v3, v42
	s_xor_b32 s12, exec_lo, s12
; %bb.7073:                             ;   in Loop: Header=BB6_5278 Depth=2
	v_cmp_lt_u32_e32 vcc_lo, 0xffffff, v2
	v_sub_nc_u32_e32 v3, v3, v42
	v_cndmask_b32_e64 v42, 0, 1, vcc_lo
	v_add_co_ci_u32_e64 v108, null, 0, v3, vcc_lo
	v_lshrrev_b32_e32 v2, v42, v2
; %bb.7074:                             ;   in Loop: Header=BB6_5278 Depth=2
	s_andn2_saveexec_b32 s12, s12
; %bb.7075:                             ;   in Loop: Header=BB6_5278 Depth=2
	v_bfe_u32 v108, v2, 23, 1
; %bb.7076:                             ;   in Loop: Header=BB6_5278 Depth=2
	s_or_b32 exec_lo, exec_lo, s12
	v_lshrrev_b32_e32 v2, 21, v2
	v_min_i32_e32 v3, 31, v108
	v_cmp_gt_i32_e32 vcc_lo, 32, v108
	v_and_b32_sdwa v42, v109, v44 dst_sel:DWORD dst_unused:UNUSED_PAD src0_sel:BYTE_3 src1_sel:DWORD
	v_lshlrev_b32_e32 v3, 2, v3
	v_cndmask_b32_e32 v2, 3, v2, vcc_lo
	v_and_b32_e32 v3, 0xfc, v3
	v_and_b32_e32 v109, 3, v2
	v_or_b32_e32 v2, v108, v2
	v_or3_b32 v3, v42, v3, v109
	v_cmp_ne_u32_e32 vcc_lo, 0, v2
	v_lshlrev_b32_e32 v3, 8, v3
	v_cndmask_b32_e32 v108, 0, v3, vcc_lo
.LBB6_7077:                             ;   in Loop: Header=BB6_5278 Depth=2
	s_or_b32 exec_lo, exec_lo, s29
.LBB6_7078:                             ;   in Loop: Header=BB6_5278 Depth=2
	s_or_b32 exec_lo, exec_lo, s28
	v_and_b32_sdwa v109, v14, v46 dst_sel:DWORD dst_unused:UNUSED_PAD src0_sel:WORD_1 src1_sel:DWORD
	s_andn2_b32 vcc_lo, exec_lo, s27
	s_mov_b32 s28, -1
                                        ; implicit-def: $vgpr110
	v_cmp_lt_i16_e64 s12, 0x7f, v109
	s_cbranch_vccnz .LBB6_7092
; %bb.7079:                             ;   in Loop: Header=BB6_5278 Depth=2
	s_mov_b32 s28, 0
	s_and_saveexec_b32 s29, s12
	s_xor_b32 s12, exec_lo, s29
	s_cbranch_execz .LBB6_7980
; %bb.7080:                             ;   in Loop: Header=BB6_5278 Depth=2
	s_mov_b32 s28, -1
	s_mov_b32 s29, exec_lo
	v_cmpx_eq_u16_e32 0x80, v109
; %bb.7081:                             ;   in Loop: Header=BB6_5278 Depth=2
	s_xor_b32 s28, exec_lo, -1
; %bb.7082:                             ;   in Loop: Header=BB6_5278 Depth=2
	s_or_b32 exec_lo, exec_lo, s29
	s_and_b32 s28, s28, exec_lo
	s_or_saveexec_b32 s12, s12
	v_mov_b32_e32 v110, 0x7f800001
	s_xor_b32 exec_lo, exec_lo, s12
	s_cbranch_execnz .LBB6_7981
.LBB6_7083:                             ;   in Loop: Header=BB6_5278 Depth=2
	s_or_b32 exec_lo, exec_lo, s12
	s_and_saveexec_b32 s12, s28
	s_cbranch_execz .LBB6_7085
.LBB6_7084:                             ;   in Loop: Header=BB6_5278 Depth=2
	v_bfe_u32 v2, v14, 16, 2
	v_bfe_u32 v110, v14, 18, 5
	v_lshlrev_b32_sdwa v111, v47, v14 dst_sel:DWORD dst_unused:UNUSED_PAD src0_sel:DWORD src1_sel:WORD_1
	v_ffbh_u32_e32 v3, v2
	v_cmp_eq_u32_e32 vcc_lo, 0, v110
	v_min_u32_e32 v3, 32, v3
	v_subrev_nc_u32_e32 v42, 29, v3
	v_sub_nc_u32_e32 v3, 30, v3
	v_lshlrev_b32_sdwa v42, v42, v14 dst_sel:DWORD dst_unused:UNUSED_PAD src0_sel:DWORD src1_sel:WORD_1
	v_cndmask_b32_e32 v3, v110, v3, vcc_lo
	v_and_b32_e32 v42, 3, v42
	v_lshl_add_u32 v3, v3, 23, 0x37800000
	v_cndmask_b32_e32 v2, v2, v42, vcc_lo
	v_and_b32_e32 v42, 0x80000000, v111
	v_lshlrev_b32_e32 v2, 21, v2
	v_or3_b32 v110, v42, v3, v2
.LBB6_7085:                             ;   in Loop: Header=BB6_5278 Depth=2
	s_or_b32 exec_lo, exec_lo, s12
	s_waitcnt vmcnt(0)
	v_and_b32_sdwa v3, v10, v46 dst_sel:DWORD dst_unused:UNUSED_PAD src0_sel:WORD_1 src1_sel:DWORD
	s_mov_b32 s12, 0
	s_mov_b32 s28, exec_lo
	v_cmpx_lt_i16_e32 0x7f, v3
	s_xor_b32 s28, exec_lo, s28
	s_cbranch_execz .LBB6_7982
; %bb.7086:                             ;   in Loop: Header=BB6_5278 Depth=2
	s_mov_b32 s12, -1
	s_mov_b32 s29, exec_lo
	v_cmpx_eq_u16_e32 0x80, v3
; %bb.7087:                             ;   in Loop: Header=BB6_5278 Depth=2
	s_xor_b32 s12, exec_lo, -1
; %bb.7088:                             ;   in Loop: Header=BB6_5278 Depth=2
	s_or_b32 exec_lo, exec_lo, s29
	s_and_b32 s12, s12, exec_lo
                                        ; implicit-def: $vgpr3
	s_or_saveexec_b32 s28, s28
	v_mov_b32_e32 v2, 0x7f800001
	s_xor_b32 exec_lo, exec_lo, s28
	s_cbranch_execnz .LBB6_7983
.LBB6_7089:                             ;   in Loop: Header=BB6_5278 Depth=2
	s_or_b32 exec_lo, exec_lo, s28
	s_and_saveexec_b32 s28, s12
	s_cbranch_execz .LBB6_7091
.LBB6_7090:                             ;   in Loop: Header=BB6_5278 Depth=2
	v_bfe_u32 v2, v10, 16, 2
	v_bfe_u32 v111, v10, 18, 5
	v_lshlrev_b32_sdwa v120, v47, v10 dst_sel:DWORD dst_unused:UNUSED_PAD src0_sel:DWORD src1_sel:WORD_1
	v_ffbh_u32_e32 v3, v2
	v_cmp_eq_u32_e32 vcc_lo, 0, v111
	v_min_u32_e32 v3, 32, v3
	v_subrev_nc_u32_e32 v42, 29, v3
	v_sub_nc_u32_e32 v3, 30, v3
	v_lshlrev_b32_sdwa v42, v42, v10 dst_sel:DWORD dst_unused:UNUSED_PAD src0_sel:DWORD src1_sel:WORD_1
	v_cndmask_b32_e32 v3, v111, v3, vcc_lo
	v_and_b32_e32 v42, 3, v42
	v_lshl_add_u32 v3, v3, 23, 0x37800000
	v_cndmask_b32_e32 v2, v2, v42, vcc_lo
	v_and_b32_e32 v42, 0x80000000, v120
	v_lshlrev_b32_e32 v2, 21, v2
	v_or3_b32 v2, v42, v3, v2
.LBB6_7091:                             ;   in Loop: Header=BB6_5278 Depth=2
	s_or_b32 exec_lo, exec_lo, s28
	v_max_f32_e32 v2, v2, v2
	v_max_f32_e32 v3, v110, v110
	s_mov_b32 s28, 0
	v_max_f32_e32 v110, v3, v2
.LBB6_7092:                             ;   in Loop: Header=BB6_5278 Depth=2
	s_and_b32 vcc_lo, exec_lo, s28
	s_cbranch_vccz .LBB6_7106
; %bb.7093:                             ;   in Loop: Header=BB6_5278 Depth=2
	s_mov_b32 s12, 0
	s_mov_b32 s28, exec_lo
	v_cmpx_lt_i16_e32 0x7f, v109
	s_xor_b32 s28, exec_lo, s28
	s_cbranch_execz .LBB6_7984
; %bb.7094:                             ;   in Loop: Header=BB6_5278 Depth=2
	s_mov_b32 s12, -1
	s_mov_b32 s29, exec_lo
	v_cmpx_eq_u16_e32 0x80, v109
; %bb.7095:                             ;   in Loop: Header=BB6_5278 Depth=2
	s_xor_b32 s12, exec_lo, -1
; %bb.7096:                             ;   in Loop: Header=BB6_5278 Depth=2
	s_or_b32 exec_lo, exec_lo, s29
	s_and_b32 s12, s12, exec_lo
                                        ; implicit-def: $vgpr109
	s_or_saveexec_b32 s28, s28
	v_mov_b32_e32 v110, 0x7f800001
	s_xor_b32 exec_lo, exec_lo, s28
	s_cbranch_execnz .LBB6_7985
.LBB6_7097:                             ;   in Loop: Header=BB6_5278 Depth=2
	s_or_b32 exec_lo, exec_lo, s28
	s_and_saveexec_b32 s28, s12
	s_cbranch_execz .LBB6_7099
.LBB6_7098:                             ;   in Loop: Header=BB6_5278 Depth=2
	v_bfe_u32 v2, v14, 16, 2
	v_bfe_u32 v109, v14, 18, 5
	v_lshlrev_b32_sdwa v110, v47, v14 dst_sel:DWORD dst_unused:UNUSED_PAD src0_sel:DWORD src1_sel:WORD_1
	v_ffbh_u32_e32 v3, v2
	v_cmp_eq_u32_e32 vcc_lo, 0, v109
	v_min_u32_e32 v3, 32, v3
	v_subrev_nc_u32_e32 v42, 29, v3
	v_sub_nc_u32_e32 v3, 30, v3
	v_lshlrev_b32_sdwa v42, v42, v14 dst_sel:DWORD dst_unused:UNUSED_PAD src0_sel:DWORD src1_sel:WORD_1
	v_cndmask_b32_e32 v3, v109, v3, vcc_lo
	v_and_b32_e32 v42, 3, v42
	v_lshl_add_u32 v3, v3, 23, 0x37800000
	v_cndmask_b32_e32 v2, v2, v42, vcc_lo
	v_and_b32_e32 v42, 0x80000000, v110
	v_lshlrev_b32_e32 v2, 21, v2
	v_or3_b32 v110, v42, v3, v2
.LBB6_7099:                             ;   in Loop: Header=BB6_5278 Depth=2
	s_or_b32 exec_lo, exec_lo, s28
	s_waitcnt vmcnt(0)
	v_and_b32_sdwa v3, v10, v46 dst_sel:DWORD dst_unused:UNUSED_PAD src0_sel:WORD_1 src1_sel:DWORD
	s_mov_b32 s12, 0
	s_mov_b32 s28, exec_lo
	v_cmpx_lt_i16_e32 0x7f, v3
	s_xor_b32 s28, exec_lo, s28
	s_cbranch_execz .LBB6_7986
; %bb.7100:                             ;   in Loop: Header=BB6_5278 Depth=2
	s_mov_b32 s12, -1
	s_mov_b32 s29, exec_lo
	v_cmpx_eq_u16_e32 0x80, v3
; %bb.7101:                             ;   in Loop: Header=BB6_5278 Depth=2
	s_xor_b32 s12, exec_lo, -1
; %bb.7102:                             ;   in Loop: Header=BB6_5278 Depth=2
	s_or_b32 exec_lo, exec_lo, s29
	s_and_b32 s12, s12, exec_lo
                                        ; implicit-def: $vgpr3
	s_or_saveexec_b32 s28, s28
	v_mov_b32_e32 v2, 0x7f800001
	s_xor_b32 exec_lo, exec_lo, s28
	s_cbranch_execnz .LBB6_7987
.LBB6_7103:                             ;   in Loop: Header=BB6_5278 Depth=2
	s_or_b32 exec_lo, exec_lo, s28
	s_and_saveexec_b32 s28, s12
	s_cbranch_execz .LBB6_7105
.LBB6_7104:                             ;   in Loop: Header=BB6_5278 Depth=2
	v_bfe_u32 v2, v10, 16, 2
	v_bfe_u32 v109, v10, 18, 5
	v_lshlrev_b32_sdwa v111, v47, v10 dst_sel:DWORD dst_unused:UNUSED_PAD src0_sel:DWORD src1_sel:WORD_1
	v_ffbh_u32_e32 v3, v2
	v_cmp_eq_u32_e32 vcc_lo, 0, v109
	v_min_u32_e32 v3, 32, v3
	v_subrev_nc_u32_e32 v42, 29, v3
	v_sub_nc_u32_e32 v3, 30, v3
	v_lshlrev_b32_sdwa v42, v42, v10 dst_sel:DWORD dst_unused:UNUSED_PAD src0_sel:DWORD src1_sel:WORD_1
	v_cndmask_b32_e32 v3, v109, v3, vcc_lo
	v_and_b32_e32 v42, 3, v42
	v_lshl_add_u32 v3, v3, 23, 0x37800000
	v_cndmask_b32_e32 v2, v2, v42, vcc_lo
	v_and_b32_e32 v42, 0x80000000, v111
	v_lshlrev_b32_e32 v2, 21, v2
	v_or3_b32 v2, v42, v3, v2
.LBB6_7105:                             ;   in Loop: Header=BB6_5278 Depth=2
	s_or_b32 exec_lo, exec_lo, s28
	v_max_f32_e32 v2, v2, v2
	v_max_f32_e32 v3, v110, v110
	v_min_f32_e32 v110, v3, v2
.LBB6_7106:                             ;   in Loop: Header=BB6_5278 Depth=2
	v_and_b32_e32 v2, 0x7f800000, v110
	v_mov_b32_e32 v109, 0x80
	s_mov_b32 s28, exec_lo
	v_cmpx_ne_u32_e32 0x7f800000, v2
	s_cbranch_execz .LBB6_7114
; %bb.7107:                             ;   in Loop: Header=BB6_5278 Depth=2
	v_mov_b32_e32 v109, 0
	s_mov_b32 s29, exec_lo
	v_cmpx_ne_u32_e32 0, v110
	s_cbranch_execz .LBB6_7113
; %bb.7108:                             ;   in Loop: Header=BB6_5278 Depth=2
	v_bfe_u32 v2, v110, 23, 8
	v_and_b32_e32 v3, 0x7fffff, v110
	v_sub_nc_u32_e32 v42, 0x70, v2
	v_cmp_gt_u32_e32 vcc_lo, 0x71, v2
	v_or_b32_e32 v109, 0x800000, v3
	v_cndmask_b32_e32 v42, 0, v42, vcc_lo
	v_cmp_eq_u32_e32 vcc_lo, 0, v2
	v_add_nc_u32_e32 v2, 0xffffff91, v2
	v_cndmask_b32_e64 v42, v42, 0x6f, vcc_lo
	v_cndmask_b32_e32 v3, v109, v3, vcc_lo
	v_cndmask_b32_e64 v2, v2, 0xffffff92, vcc_lo
	v_lshl_add_u32 v111, 0x200000, v42, -1
	v_lshrrev_b32_e32 v109, v42, v3
	v_lshlrev_b32_e64 v121, v42, 0x100000
	v_and_b32_e32 v3, v111, v3
	v_bfe_u32 v120, v109, 21, 1
	v_cmp_eq_u32_e64 s12, v3, v121
	v_add_nc_u32_e32 v111, -1, v120
	v_lshrrev_b32_e32 v120, 23, v109
	v_cndmask_b32_e64 v3, 0, v111, s12
	s_mov_b32 s12, exec_lo
	v_add_nc_u32_e32 v111, v3, v109
	v_add_nc_u32_e32 v3, v42, v2
	v_xor_b32_e32 v42, 1, v120
	v_and_b32_e32 v2, 0x1fffff, v111
	v_add_nc_u32_e32 v2, v2, v109
                                        ; implicit-def: $vgpr109
	v_cmpx_ne_u32_e64 v3, v42
	s_xor_b32 s12, exec_lo, s12
; %bb.7109:                             ;   in Loop: Header=BB6_5278 Depth=2
	v_cmp_lt_u32_e32 vcc_lo, 0xffffff, v2
	v_sub_nc_u32_e32 v3, v3, v42
	v_cndmask_b32_e64 v42, 0, 1, vcc_lo
	v_add_co_ci_u32_e64 v109, null, 0, v3, vcc_lo
	v_lshrrev_b32_e32 v2, v42, v2
; %bb.7110:                             ;   in Loop: Header=BB6_5278 Depth=2
	s_andn2_saveexec_b32 s12, s12
; %bb.7111:                             ;   in Loop: Header=BB6_5278 Depth=2
	v_bfe_u32 v109, v2, 23, 1
; %bb.7112:                             ;   in Loop: Header=BB6_5278 Depth=2
	s_or_b32 exec_lo, exec_lo, s12
	v_lshrrev_b32_e32 v2, 21, v2
	v_min_i32_e32 v3, 31, v109
	v_cmp_gt_i32_e32 vcc_lo, 32, v109
	v_and_b32_sdwa v42, v110, v44 dst_sel:DWORD dst_unused:UNUSED_PAD src0_sel:BYTE_3 src1_sel:DWORD
	v_lshlrev_b32_e32 v3, 2, v3
	v_cndmask_b32_e32 v2, 3, v2, vcc_lo
	v_and_b32_e32 v3, 0xfc, v3
	v_and_b32_e32 v110, 3, v2
	v_or_b32_e32 v2, v109, v2
	v_or3_b32 v3, v3, v42, v110
	v_cmp_ne_u32_e32 vcc_lo, 0, v2
	v_cndmask_b32_e32 v109, 0, v3, vcc_lo
.LBB6_7113:                             ;   in Loop: Header=BB6_5278 Depth=2
	s_or_b32 exec_lo, exec_lo, s29
.LBB6_7114:                             ;   in Loop: Header=BB6_5278 Depth=2
	s_or_b32 exec_lo, exec_lo, s28
	v_cmp_gt_i16_sdwa s28, v14, v43 src0_sel:BYTE_3 src1_sel:DWORD
	s_andn2_b32 vcc_lo, exec_lo, s27
	s_mov_b32 s12, -1
                                        ; implicit-def: $vgpr110
	s_cbranch_vccnz .LBB6_7128
; %bb.7115:                             ;   in Loop: Header=BB6_5278 Depth=2
	s_mov_b32 s12, 0
	s_and_saveexec_b32 s29, s28
	s_xor_b32 s28, exec_lo, s29
	s_cbranch_execz .LBB6_7988
; %bb.7116:                             ;   in Loop: Header=BB6_5278 Depth=2
	v_cmp_eq_u16_sdwa s40, v14, v44 src0_sel:BYTE_3 src1_sel:DWORD
	s_mov_b32 s12, -1
	s_and_saveexec_b32 s29, s40
; %bb.7117:                             ;   in Loop: Header=BB6_5278 Depth=2
	s_xor_b32 s12, exec_lo, -1
; %bb.7118:                             ;   in Loop: Header=BB6_5278 Depth=2
	s_or_b32 exec_lo, exec_lo, s29
	s_and_b32 s12, s12, exec_lo
	s_or_saveexec_b32 s28, s28
	v_mov_b32_e32 v110, 0x7f800001
	s_xor_b32 exec_lo, exec_lo, s28
	s_cbranch_execnz .LBB6_7989
.LBB6_7119:                             ;   in Loop: Header=BB6_5278 Depth=2
	s_or_b32 exec_lo, exec_lo, s28
	s_and_saveexec_b32 s28, s12
	s_cbranch_execz .LBB6_7121
.LBB6_7120:                             ;   in Loop: Header=BB6_5278 Depth=2
	v_bfe_u32 v2, v14, 24, 2
	v_bfe_u32 v110, v14, 26, 5
	v_ffbh_u32_e32 v3, v2
	v_cmp_eq_u32_e32 vcc_lo, 0, v110
	v_min_u32_e32 v3, 32, v3
	v_subrev_nc_u32_e32 v42, 29, v3
	v_sub_nc_u32_e32 v3, 30, v3
	v_lshlrev_b32_sdwa v42, v42, v14 dst_sel:DWORD dst_unused:UNUSED_PAD src0_sel:DWORD src1_sel:BYTE_3
	v_cndmask_b32_e32 v3, v110, v3, vcc_lo
	v_and_b32_e32 v42, 3, v42
	v_lshl_add_u32 v3, v3, 23, 0x37800000
	v_cndmask_b32_e32 v2, v2, v42, vcc_lo
	v_and_b32_e32 v42, 0x80000000, v14
	v_lshlrev_b32_e32 v2, 21, v2
	v_or3_b32 v110, v42, v3, v2
.LBB6_7121:                             ;   in Loop: Header=BB6_5278 Depth=2
	s_or_b32 exec_lo, exec_lo, s28
	s_waitcnt vmcnt(0)
	v_cmp_gt_i16_sdwa s28, v10, v43 src0_sel:BYTE_3 src1_sel:DWORD
	s_mov_b32 s12, 0
	s_and_saveexec_b32 s29, s28
	s_xor_b32 s28, exec_lo, s29
	s_cbranch_execz .LBB6_7990
; %bb.7122:                             ;   in Loop: Header=BB6_5278 Depth=2
	v_cmp_eq_u16_sdwa s40, v10, v44 src0_sel:BYTE_3 src1_sel:DWORD
	s_mov_b32 s12, -1
	s_and_saveexec_b32 s29, s40
; %bb.7123:                             ;   in Loop: Header=BB6_5278 Depth=2
	s_xor_b32 s12, exec_lo, -1
; %bb.7124:                             ;   in Loop: Header=BB6_5278 Depth=2
	s_or_b32 exec_lo, exec_lo, s29
	s_and_b32 s12, s12, exec_lo
	s_or_saveexec_b32 s28, s28
	v_mov_b32_e32 v2, 0x7f800001
	s_xor_b32 exec_lo, exec_lo, s28
	s_cbranch_execnz .LBB6_7991
.LBB6_7125:                             ;   in Loop: Header=BB6_5278 Depth=2
	s_or_b32 exec_lo, exec_lo, s28
	s_and_saveexec_b32 s28, s12
	s_cbranch_execz .LBB6_7127
.LBB6_7126:                             ;   in Loop: Header=BB6_5278 Depth=2
	v_bfe_u32 v2, v10, 24, 2
	v_bfe_u32 v111, v10, 26, 5
	v_ffbh_u32_e32 v3, v2
	v_cmp_eq_u32_e32 vcc_lo, 0, v111
	v_min_u32_e32 v3, 32, v3
	v_subrev_nc_u32_e32 v42, 29, v3
	v_sub_nc_u32_e32 v3, 30, v3
	v_lshlrev_b32_sdwa v42, v42, v10 dst_sel:DWORD dst_unused:UNUSED_PAD src0_sel:DWORD src1_sel:BYTE_3
	v_cndmask_b32_e32 v3, v111, v3, vcc_lo
	v_and_b32_e32 v42, 3, v42
	v_lshl_add_u32 v3, v3, 23, 0x37800000
	v_cndmask_b32_e32 v2, v2, v42, vcc_lo
	v_and_b32_e32 v42, 0x80000000, v10
	v_lshlrev_b32_e32 v2, 21, v2
	v_or3_b32 v2, v42, v3, v2
.LBB6_7127:                             ;   in Loop: Header=BB6_5278 Depth=2
	s_or_b32 exec_lo, exec_lo, s28
	v_max_f32_e32 v2, v2, v2
	v_max_f32_e32 v3, v110, v110
	s_mov_b32 s12, 0
	v_max_f32_e32 v110, v3, v2
.LBB6_7128:                             ;   in Loop: Header=BB6_5278 Depth=2
	s_and_b32 vcc_lo, exec_lo, s12
	s_cbranch_vccz .LBB6_7142
; %bb.7129:                             ;   in Loop: Header=BB6_5278 Depth=2
	v_cmp_gt_i16_sdwa s28, v14, v43 src0_sel:BYTE_3 src1_sel:DWORD
	s_mov_b32 s12, 0
	s_and_saveexec_b32 s29, s28
	s_xor_b32 s28, exec_lo, s29
	s_cbranch_execz .LBB6_7992
; %bb.7130:                             ;   in Loop: Header=BB6_5278 Depth=2
	v_cmp_eq_u16_sdwa s40, v14, v44 src0_sel:BYTE_3 src1_sel:DWORD
	s_mov_b32 s12, -1
	s_and_saveexec_b32 s29, s40
; %bb.7131:                             ;   in Loop: Header=BB6_5278 Depth=2
	s_xor_b32 s12, exec_lo, -1
; %bb.7132:                             ;   in Loop: Header=BB6_5278 Depth=2
	s_or_b32 exec_lo, exec_lo, s29
	s_and_b32 s12, s12, exec_lo
	s_or_saveexec_b32 s28, s28
	v_mov_b32_e32 v110, 0x7f800001
	s_xor_b32 exec_lo, exec_lo, s28
	s_cbranch_execnz .LBB6_7993
.LBB6_7133:                             ;   in Loop: Header=BB6_5278 Depth=2
	s_or_b32 exec_lo, exec_lo, s28
	s_and_saveexec_b32 s28, s12
	s_cbranch_execz .LBB6_7135
.LBB6_7134:                             ;   in Loop: Header=BB6_5278 Depth=2
	v_bfe_u32 v2, v14, 24, 2
	v_bfe_u32 v110, v14, 26, 5
	v_ffbh_u32_e32 v3, v2
	v_cmp_eq_u32_e32 vcc_lo, 0, v110
	v_min_u32_e32 v3, 32, v3
	v_subrev_nc_u32_e32 v42, 29, v3
	v_sub_nc_u32_e32 v3, 30, v3
	v_lshlrev_b32_sdwa v42, v42, v14 dst_sel:DWORD dst_unused:UNUSED_PAD src0_sel:DWORD src1_sel:BYTE_3
	v_cndmask_b32_e32 v3, v110, v3, vcc_lo
	v_and_b32_e32 v14, 0x80000000, v14
	v_and_b32_e32 v42, 3, v42
	v_lshl_add_u32 v3, v3, 23, 0x37800000
	v_cndmask_b32_e32 v2, v2, v42, vcc_lo
	v_lshlrev_b32_e32 v2, 21, v2
	v_or3_b32 v110, v14, v3, v2
.LBB6_7135:                             ;   in Loop: Header=BB6_5278 Depth=2
	s_or_b32 exec_lo, exec_lo, s28
	s_waitcnt vmcnt(0)
	v_cmp_gt_i16_sdwa s28, v10, v43 src0_sel:BYTE_3 src1_sel:DWORD
	s_mov_b32 s12, 0
	s_and_saveexec_b32 s29, s28
	s_xor_b32 s28, exec_lo, s29
	s_cbranch_execz .LBB6_7994
; %bb.7136:                             ;   in Loop: Header=BB6_5278 Depth=2
	v_cmp_eq_u16_sdwa s40, v10, v44 src0_sel:BYTE_3 src1_sel:DWORD
	s_mov_b32 s12, -1
	s_and_saveexec_b32 s29, s40
; %bb.7137:                             ;   in Loop: Header=BB6_5278 Depth=2
	s_xor_b32 s12, exec_lo, -1
; %bb.7138:                             ;   in Loop: Header=BB6_5278 Depth=2
	s_or_b32 exec_lo, exec_lo, s29
	s_and_b32 s12, s12, exec_lo
	s_or_saveexec_b32 s28, s28
	v_mov_b32_e32 v2, 0x7f800001
	s_xor_b32 exec_lo, exec_lo, s28
	s_cbranch_execnz .LBB6_7995
.LBB6_7139:                             ;   in Loop: Header=BB6_5278 Depth=2
	s_or_b32 exec_lo, exec_lo, s28
	s_and_saveexec_b32 s28, s12
	s_cbranch_execz .LBB6_7141
.LBB6_7140:                             ;   in Loop: Header=BB6_5278 Depth=2
	v_bfe_u32 v2, v10, 24, 2
	v_bfe_u32 v42, v10, 26, 5
	v_ffbh_u32_e32 v3, v2
	v_cmp_eq_u32_e32 vcc_lo, 0, v42
	v_min_u32_e32 v3, 32, v3
	v_subrev_nc_u32_e32 v14, 29, v3
	v_sub_nc_u32_e32 v3, 30, v3
	v_lshlrev_b32_sdwa v14, v14, v10 dst_sel:DWORD dst_unused:UNUSED_PAD src0_sel:DWORD src1_sel:BYTE_3
	v_cndmask_b32_e32 v3, v42, v3, vcc_lo
	v_and_b32_e32 v10, 0x80000000, v10
	v_and_b32_e32 v14, 3, v14
	v_lshl_add_u32 v3, v3, 23, 0x37800000
	v_cndmask_b32_e32 v2, v2, v14, vcc_lo
	v_lshlrev_b32_e32 v2, 21, v2
	v_or3_b32 v2, v10, v3, v2
.LBB6_7141:                             ;   in Loop: Header=BB6_5278 Depth=2
	s_or_b32 exec_lo, exec_lo, s28
	v_max_f32_e32 v2, v2, v2
	v_max_f32_e32 v3, v110, v110
	v_min_f32_e32 v110, v3, v2
.LBB6_7142:                             ;   in Loop: Header=BB6_5278 Depth=2
	v_and_b32_e32 v2, 0x7f800000, v110
	s_waitcnt vmcnt(0)
	v_mov_b32_e32 v10, 0x8000
	s_mov_b32 s28, exec_lo
	v_cmpx_ne_u32_e32 0x7f800000, v2
	s_cbranch_execz .LBB6_7150
; %bb.7143:                             ;   in Loop: Header=BB6_5278 Depth=2
	v_mov_b32_e32 v10, 0
	s_mov_b32 s29, exec_lo
	v_cmpx_ne_u32_e32 0, v110
	s_cbranch_execz .LBB6_7149
; %bb.7144:                             ;   in Loop: Header=BB6_5278 Depth=2
	v_bfe_u32 v2, v110, 23, 8
	v_and_b32_e32 v3, 0x7fffff, v110
	v_sub_nc_u32_e32 v10, 0x70, v2
	v_cmp_gt_u32_e32 vcc_lo, 0x71, v2
	v_or_b32_e32 v14, 0x800000, v3
	v_cndmask_b32_e32 v10, 0, v10, vcc_lo
	v_cmp_eq_u32_e32 vcc_lo, 0, v2
	v_add_nc_u32_e32 v2, 0xffffff91, v2
	v_cndmask_b32_e64 v10, v10, 0x6f, vcc_lo
	v_cndmask_b32_e32 v3, v14, v3, vcc_lo
	v_cndmask_b32_e64 v2, v2, 0xffffff92, vcc_lo
	v_lshl_add_u32 v14, 0x200000, v10, -1
	v_lshrrev_b32_e32 v42, v10, v3
	v_lshlrev_b32_e64 v120, v10, 0x100000
	v_and_b32_e32 v3, v14, v3
	v_bfe_u32 v111, v42, 21, 1
	v_cmp_eq_u32_e64 s12, v3, v120
	v_add_nc_u32_e32 v14, -1, v111
	v_lshrrev_b32_e32 v111, 23, v42
	v_cndmask_b32_e64 v3, 0, v14, s12
	s_mov_b32 s12, exec_lo
	v_add_nc_u32_e32 v14, v3, v42
	v_add_nc_u32_e32 v3, v10, v2
                                        ; implicit-def: $vgpr10
	v_and_b32_e32 v2, 0x1fffff, v14
	v_xor_b32_e32 v14, 1, v111
	v_add_nc_u32_e32 v2, v2, v42
	v_cmpx_ne_u32_e64 v3, v14
	s_xor_b32 s12, exec_lo, s12
; %bb.7145:                             ;   in Loop: Header=BB6_5278 Depth=2
	v_cmp_lt_u32_e32 vcc_lo, 0xffffff, v2
	v_sub_nc_u32_e32 v3, v3, v14
	v_cndmask_b32_e64 v14, 0, 1, vcc_lo
	v_add_co_ci_u32_e64 v10, null, 0, v3, vcc_lo
	v_lshrrev_b32_e32 v2, v14, v2
; %bb.7146:                             ;   in Loop: Header=BB6_5278 Depth=2
	s_andn2_saveexec_b32 s12, s12
; %bb.7147:                             ;   in Loop: Header=BB6_5278 Depth=2
	v_bfe_u32 v10, v2, 23, 1
; %bb.7148:                             ;   in Loop: Header=BB6_5278 Depth=2
	s_or_b32 exec_lo, exec_lo, s12
	v_lshrrev_b32_e32 v2, 21, v2
	v_min_i32_e32 v3, 31, v10
	v_cmp_gt_i32_e32 vcc_lo, 32, v10
	v_and_b32_sdwa v14, v110, v44 dst_sel:DWORD dst_unused:UNUSED_PAD src0_sel:BYTE_3 src1_sel:DWORD
	v_lshlrev_b32_e32 v3, 2, v3
	v_cndmask_b32_e32 v2, 3, v2, vcc_lo
	v_and_b32_e32 v3, 0xfc, v3
	v_and_b32_e32 v42, 3, v2
	v_or_b32_e32 v2, v10, v2
	v_or3_b32 v3, v14, v3, v42
	v_cmp_ne_u32_e32 vcc_lo, 0, v2
	v_lshlrev_b32_e32 v3, 8, v3
	v_cndmask_b32_e32 v10, 0, v3, vcc_lo
.LBB6_7149:                             ;   in Loop: Header=BB6_5278 Depth=2
	s_or_b32 exec_lo, exec_lo, s29
.LBB6_7150:                             ;   in Loop: Header=BB6_5278 Depth=2
	s_or_b32 exec_lo, exec_lo, s28
	v_cmp_gt_i16_sdwa s28, v15, v43 src0_sel:BYTE_0 src1_sel:DWORD
	s_andn2_b32 vcc_lo, exec_lo, s27
	s_mov_b32 s12, -1
                                        ; implicit-def: $vgpr110
	s_cbranch_vccnz .LBB6_7164
; %bb.7151:                             ;   in Loop: Header=BB6_5278 Depth=2
	s_mov_b32 s12, 0
	s_and_saveexec_b32 s29, s28
	s_xor_b32 s28, exec_lo, s29
	s_cbranch_execz .LBB6_7996
; %bb.7152:                             ;   in Loop: Header=BB6_5278 Depth=2
	v_cmp_eq_u16_sdwa s40, v15, v44 src0_sel:BYTE_0 src1_sel:DWORD
	s_mov_b32 s12, -1
	s_and_saveexec_b32 s29, s40
; %bb.7153:                             ;   in Loop: Header=BB6_5278 Depth=2
	s_xor_b32 s12, exec_lo, -1
; %bb.7154:                             ;   in Loop: Header=BB6_5278 Depth=2
	s_or_b32 exec_lo, exec_lo, s29
	s_and_b32 s12, s12, exec_lo
	s_or_saveexec_b32 s28, s28
	v_mov_b32_e32 v14, 0x7f800001
	s_xor_b32 exec_lo, exec_lo, s28
	s_cbranch_execnz .LBB6_7997
.LBB6_7155:                             ;   in Loop: Header=BB6_5278 Depth=2
	s_or_b32 exec_lo, exec_lo, s28
	s_and_saveexec_b32 s28, s12
	s_cbranch_execz .LBB6_7157
.LBB6_7156:                             ;   in Loop: Header=BB6_5278 Depth=2
	v_and_b32_e32 v2, 3, v15
	v_bfe_u32 v42, v15, 2, 5
	v_lshlrev_b32_e32 v110, 24, v15
	v_ffbh_u32_e32 v3, v2
	v_cmp_eq_u32_e32 vcc_lo, 0, v42
	v_min_u32_e32 v3, 32, v3
	v_subrev_nc_u32_e32 v14, 29, v3
	v_sub_nc_u32_e32 v3, 30, v3
	v_lshlrev_b32_e32 v14, v14, v15
	v_cndmask_b32_e32 v3, v42, v3, vcc_lo
	v_and_b32_e32 v14, 3, v14
	v_lshl_add_u32 v3, v3, 23, 0x37800000
	v_cndmask_b32_e32 v2, v2, v14, vcc_lo
	v_and_b32_e32 v14, 0x80000000, v110
	v_lshlrev_b32_e32 v2, 21, v2
	v_or3_b32 v14, v14, v3, v2
.LBB6_7157:                             ;   in Loop: Header=BB6_5278 Depth=2
	s_or_b32 exec_lo, exec_lo, s28
	v_cmp_gt_i16_sdwa s28, v11, v43 src0_sel:BYTE_0 src1_sel:DWORD
	s_mov_b32 s12, 0
	s_and_saveexec_b32 s29, s28
	s_xor_b32 s28, exec_lo, s29
	s_cbranch_execz .LBB6_7998
; %bb.7158:                             ;   in Loop: Header=BB6_5278 Depth=2
	v_cmp_eq_u16_sdwa s40, v11, v44 src0_sel:BYTE_0 src1_sel:DWORD
	s_mov_b32 s12, -1
	s_and_saveexec_b32 s29, s40
; %bb.7159:                             ;   in Loop: Header=BB6_5278 Depth=2
	s_xor_b32 s12, exec_lo, -1
; %bb.7160:                             ;   in Loop: Header=BB6_5278 Depth=2
	s_or_b32 exec_lo, exec_lo, s29
	s_and_b32 s12, s12, exec_lo
	s_or_saveexec_b32 s28, s28
	v_mov_b32_e32 v2, 0x7f800001
	s_xor_b32 exec_lo, exec_lo, s28
	s_cbranch_execnz .LBB6_7999
.LBB6_7161:                             ;   in Loop: Header=BB6_5278 Depth=2
	s_or_b32 exec_lo, exec_lo, s28
	s_and_saveexec_b32 s28, s12
	s_cbranch_execz .LBB6_7163
.LBB6_7162:                             ;   in Loop: Header=BB6_5278 Depth=2
	v_and_b32_e32 v2, 3, v11
	v_bfe_u32 v110, v11, 2, 5
	v_lshlrev_b32_e32 v111, 24, v11
	v_ffbh_u32_e32 v3, v2
	v_cmp_eq_u32_e32 vcc_lo, 0, v110
	v_min_u32_e32 v3, 32, v3
	v_subrev_nc_u32_e32 v42, 29, v3
	v_sub_nc_u32_e32 v3, 30, v3
	v_lshlrev_b32_e32 v42, v42, v11
	v_cndmask_b32_e32 v3, v110, v3, vcc_lo
	v_and_b32_e32 v42, 3, v42
	v_lshl_add_u32 v3, v3, 23, 0x37800000
	v_cndmask_b32_e32 v2, v2, v42, vcc_lo
	v_and_b32_e32 v42, 0x80000000, v111
	v_lshlrev_b32_e32 v2, 21, v2
	v_or3_b32 v2, v42, v3, v2
.LBB6_7163:                             ;   in Loop: Header=BB6_5278 Depth=2
	s_or_b32 exec_lo, exec_lo, s28
	v_max_f32_e32 v2, v2, v2
	v_max_f32_e32 v3, v14, v14
	s_mov_b32 s12, 0
	v_max_f32_e32 v110, v3, v2
.LBB6_7164:                             ;   in Loop: Header=BB6_5278 Depth=2
	s_and_b32 vcc_lo, exec_lo, s12
	s_cbranch_vccz .LBB6_7178
; %bb.7165:                             ;   in Loop: Header=BB6_5278 Depth=2
	v_cmp_gt_i16_sdwa s28, v15, v43 src0_sel:BYTE_0 src1_sel:DWORD
	s_mov_b32 s12, 0
	s_and_saveexec_b32 s29, s28
	s_xor_b32 s28, exec_lo, s29
	s_cbranch_execz .LBB6_8000
; %bb.7166:                             ;   in Loop: Header=BB6_5278 Depth=2
	v_cmp_eq_u16_sdwa s40, v15, v44 src0_sel:BYTE_0 src1_sel:DWORD
	s_mov_b32 s12, -1
	s_and_saveexec_b32 s29, s40
; %bb.7167:                             ;   in Loop: Header=BB6_5278 Depth=2
	s_xor_b32 s12, exec_lo, -1
; %bb.7168:                             ;   in Loop: Header=BB6_5278 Depth=2
	s_or_b32 exec_lo, exec_lo, s29
	s_and_b32 s12, s12, exec_lo
	s_or_saveexec_b32 s28, s28
	v_mov_b32_e32 v14, 0x7f800001
	s_xor_b32 exec_lo, exec_lo, s28
	s_cbranch_execnz .LBB6_8001
.LBB6_7169:                             ;   in Loop: Header=BB6_5278 Depth=2
	s_or_b32 exec_lo, exec_lo, s28
	s_and_saveexec_b32 s28, s12
	s_cbranch_execz .LBB6_7171
.LBB6_7170:                             ;   in Loop: Header=BB6_5278 Depth=2
	v_and_b32_e32 v2, 3, v15
	v_bfe_u32 v42, v15, 2, 5
	v_lshlrev_b32_e32 v110, 24, v15
	v_ffbh_u32_e32 v3, v2
	v_cmp_eq_u32_e32 vcc_lo, 0, v42
	v_min_u32_e32 v3, 32, v3
	v_subrev_nc_u32_e32 v14, 29, v3
	v_sub_nc_u32_e32 v3, 30, v3
	v_lshlrev_b32_e32 v14, v14, v15
	v_cndmask_b32_e32 v3, v42, v3, vcc_lo
	v_and_b32_e32 v14, 3, v14
	v_lshl_add_u32 v3, v3, 23, 0x37800000
	v_cndmask_b32_e32 v2, v2, v14, vcc_lo
	v_and_b32_e32 v14, 0x80000000, v110
	v_lshlrev_b32_e32 v2, 21, v2
	v_or3_b32 v14, v14, v3, v2
.LBB6_7171:                             ;   in Loop: Header=BB6_5278 Depth=2
	s_or_b32 exec_lo, exec_lo, s28
	v_cmp_gt_i16_sdwa s28, v11, v43 src0_sel:BYTE_0 src1_sel:DWORD
	s_mov_b32 s12, 0
	s_and_saveexec_b32 s29, s28
	s_xor_b32 s28, exec_lo, s29
	s_cbranch_execz .LBB6_8002
; %bb.7172:                             ;   in Loop: Header=BB6_5278 Depth=2
	v_cmp_eq_u16_sdwa s40, v11, v44 src0_sel:BYTE_0 src1_sel:DWORD
	s_mov_b32 s12, -1
	s_and_saveexec_b32 s29, s40
; %bb.7173:                             ;   in Loop: Header=BB6_5278 Depth=2
	s_xor_b32 s12, exec_lo, -1
; %bb.7174:                             ;   in Loop: Header=BB6_5278 Depth=2
	s_or_b32 exec_lo, exec_lo, s29
	s_and_b32 s12, s12, exec_lo
	s_or_saveexec_b32 s28, s28
	v_mov_b32_e32 v2, 0x7f800001
	s_xor_b32 exec_lo, exec_lo, s28
	s_cbranch_execnz .LBB6_8003
.LBB6_7175:                             ;   in Loop: Header=BB6_5278 Depth=2
	s_or_b32 exec_lo, exec_lo, s28
	s_and_saveexec_b32 s28, s12
	s_cbranch_execz .LBB6_7177
.LBB6_7176:                             ;   in Loop: Header=BB6_5278 Depth=2
	v_and_b32_e32 v2, 3, v11
	v_bfe_u32 v110, v11, 2, 5
	v_lshlrev_b32_e32 v111, 24, v11
	v_ffbh_u32_e32 v3, v2
	v_cmp_eq_u32_e32 vcc_lo, 0, v110
	v_min_u32_e32 v3, 32, v3
	v_subrev_nc_u32_e32 v42, 29, v3
	v_sub_nc_u32_e32 v3, 30, v3
	v_lshlrev_b32_e32 v42, v42, v11
	v_cndmask_b32_e32 v3, v110, v3, vcc_lo
	v_and_b32_e32 v42, 3, v42
	v_lshl_add_u32 v3, v3, 23, 0x37800000
	v_cndmask_b32_e32 v2, v2, v42, vcc_lo
	v_and_b32_e32 v42, 0x80000000, v111
	v_lshlrev_b32_e32 v2, 21, v2
	v_or3_b32 v2, v42, v3, v2
.LBB6_7177:                             ;   in Loop: Header=BB6_5278 Depth=2
	s_or_b32 exec_lo, exec_lo, s28
	v_max_f32_e32 v2, v2, v2
	v_max_f32_e32 v3, v14, v14
	v_min_f32_e32 v110, v3, v2
.LBB6_7178:                             ;   in Loop: Header=BB6_5278 Depth=2
	v_and_b32_e32 v2, 0x7f800000, v110
	v_mov_b32_e32 v14, 0x80
	s_mov_b32 s28, exec_lo
	v_cmpx_ne_u32_e32 0x7f800000, v2
	s_cbranch_execz .LBB6_7186
; %bb.7179:                             ;   in Loop: Header=BB6_5278 Depth=2
	v_mov_b32_e32 v14, 0
	s_mov_b32 s29, exec_lo
	v_cmpx_ne_u32_e32 0, v110
	s_cbranch_execz .LBB6_7185
; %bb.7180:                             ;   in Loop: Header=BB6_5278 Depth=2
	v_bfe_u32 v2, v110, 23, 8
	v_and_b32_e32 v3, 0x7fffff, v110
	v_sub_nc_u32_e32 v14, 0x70, v2
	v_cmp_gt_u32_e32 vcc_lo, 0x71, v2
	v_or_b32_e32 v42, 0x800000, v3
	v_cndmask_b32_e32 v14, 0, v14, vcc_lo
	v_cmp_eq_u32_e32 vcc_lo, 0, v2
	v_add_nc_u32_e32 v2, 0xffffff91, v2
	v_cndmask_b32_e64 v14, v14, 0x6f, vcc_lo
	v_cndmask_b32_e32 v3, v42, v3, vcc_lo
	v_cndmask_b32_e64 v2, v2, 0xffffff92, vcc_lo
	v_lshl_add_u32 v42, 0x200000, v14, -1
	v_lshrrev_b32_e32 v111, v14, v3
	v_lshlrev_b32_e64 v121, v14, 0x100000
	v_and_b32_e32 v3, v42, v3
	v_bfe_u32 v120, v111, 21, 1
	v_cmp_eq_u32_e64 s12, v3, v121
	v_add_nc_u32_e32 v42, -1, v120
	v_lshrrev_b32_e32 v120, 23, v111
	v_cndmask_b32_e64 v3, 0, v42, s12
	s_mov_b32 s12, exec_lo
	v_add_nc_u32_e32 v42, v3, v111
	v_add_nc_u32_e32 v3, v14, v2
                                        ; implicit-def: $vgpr14
	v_and_b32_e32 v2, 0x1fffff, v42
	v_xor_b32_e32 v42, 1, v120
	v_add_nc_u32_e32 v2, v2, v111
	v_cmpx_ne_u32_e64 v3, v42
	s_xor_b32 s12, exec_lo, s12
; %bb.7181:                             ;   in Loop: Header=BB6_5278 Depth=2
	v_cmp_lt_u32_e32 vcc_lo, 0xffffff, v2
	v_sub_nc_u32_e32 v3, v3, v42
	v_cndmask_b32_e64 v42, 0, 1, vcc_lo
	v_add_co_ci_u32_e64 v14, null, 0, v3, vcc_lo
	v_lshrrev_b32_e32 v2, v42, v2
; %bb.7182:                             ;   in Loop: Header=BB6_5278 Depth=2
	s_andn2_saveexec_b32 s12, s12
; %bb.7183:                             ;   in Loop: Header=BB6_5278 Depth=2
	v_bfe_u32 v14, v2, 23, 1
; %bb.7184:                             ;   in Loop: Header=BB6_5278 Depth=2
	s_or_b32 exec_lo, exec_lo, s12
	v_lshrrev_b32_e32 v2, 21, v2
	v_min_i32_e32 v3, 31, v14
	v_cmp_gt_i32_e32 vcc_lo, 32, v14
	v_and_b32_sdwa v42, v110, v44 dst_sel:DWORD dst_unused:UNUSED_PAD src0_sel:BYTE_3 src1_sel:DWORD
	v_lshlrev_b32_e32 v3, 2, v3
	v_cndmask_b32_e32 v2, 3, v2, vcc_lo
	v_and_b32_e32 v3, 0xfc, v3
	v_and_b32_e32 v110, 3, v2
	v_or_b32_e32 v2, v14, v2
	v_or3_b32 v3, v3, v42, v110
	v_cmp_ne_u32_e32 vcc_lo, 0, v2
	v_cndmask_b32_e32 v14, 0, v3, vcc_lo
.LBB6_7185:                             ;   in Loop: Header=BB6_5278 Depth=2
	s_or_b32 exec_lo, exec_lo, s29
.LBB6_7186:                             ;   in Loop: Header=BB6_5278 Depth=2
	s_or_b32 exec_lo, exec_lo, s28
	v_cmp_gt_i16_sdwa s28, v15, v43 src0_sel:BYTE_1 src1_sel:DWORD
	s_andn2_b32 vcc_lo, exec_lo, s27
	s_mov_b32 s12, -1
                                        ; implicit-def: $vgpr111
	s_cbranch_vccnz .LBB6_7200
; %bb.7187:                             ;   in Loop: Header=BB6_5278 Depth=2
	s_mov_b32 s12, 0
	s_and_saveexec_b32 s29, s28
	s_xor_b32 s28, exec_lo, s29
	s_cbranch_execz .LBB6_8004
; %bb.7188:                             ;   in Loop: Header=BB6_5278 Depth=2
	v_cmp_eq_u16_sdwa s40, v15, v44 src0_sel:BYTE_1 src1_sel:DWORD
	s_mov_b32 s12, -1
	s_and_saveexec_b32 s29, s40
; %bb.7189:                             ;   in Loop: Header=BB6_5278 Depth=2
	s_xor_b32 s12, exec_lo, -1
; %bb.7190:                             ;   in Loop: Header=BB6_5278 Depth=2
	s_or_b32 exec_lo, exec_lo, s29
	s_and_b32 s12, s12, exec_lo
	s_or_saveexec_b32 s28, s28
	v_mov_b32_e32 v110, 0x7f800001
	s_xor_b32 exec_lo, exec_lo, s28
	s_cbranch_execnz .LBB6_8005
.LBB6_7191:                             ;   in Loop: Header=BB6_5278 Depth=2
	s_or_b32 exec_lo, exec_lo, s28
	s_and_saveexec_b32 s28, s12
	s_cbranch_execz .LBB6_7193
.LBB6_7192:                             ;   in Loop: Header=BB6_5278 Depth=2
	v_and_b32_sdwa v2, v45, v15 dst_sel:DWORD dst_unused:UNUSED_PAD src0_sel:DWORD src1_sel:BYTE_1
	v_and_b32_e32 v3, 3, v2
	v_bfe_u32 v111, v2, 2, 5
	v_ffbh_u32_e32 v42, v3
	v_cmp_eq_u32_e32 vcc_lo, 0, v111
	v_min_u32_e32 v42, 32, v42
	v_subrev_nc_u32_e32 v110, 29, v42
	v_sub_nc_u32_e32 v42, 30, v42
	v_lshlrev_b32_e32 v2, v110, v2
	v_lshlrev_b32_e32 v110, 16, v15
	v_cndmask_b32_e32 v42, v111, v42, vcc_lo
	v_and_b32_e32 v2, 3, v2
	v_lshl_add_u32 v42, v42, 23, 0x37800000
	v_cndmask_b32_e32 v2, v3, v2, vcc_lo
	v_and_b32_e32 v3, 0x80000000, v110
	v_lshlrev_b32_e32 v2, 21, v2
	v_or3_b32 v110, v3, v42, v2
.LBB6_7193:                             ;   in Loop: Header=BB6_5278 Depth=2
	s_or_b32 exec_lo, exec_lo, s28
	v_cmp_gt_i16_sdwa s28, v11, v43 src0_sel:BYTE_1 src1_sel:DWORD
	s_mov_b32 s12, 0
	s_and_saveexec_b32 s29, s28
	s_xor_b32 s28, exec_lo, s29
	s_cbranch_execz .LBB6_8006
; %bb.7194:                             ;   in Loop: Header=BB6_5278 Depth=2
	v_cmp_eq_u16_sdwa s40, v11, v44 src0_sel:BYTE_1 src1_sel:DWORD
	s_mov_b32 s12, -1
	s_and_saveexec_b32 s29, s40
; %bb.7195:                             ;   in Loop: Header=BB6_5278 Depth=2
	s_xor_b32 s12, exec_lo, -1
; %bb.7196:                             ;   in Loop: Header=BB6_5278 Depth=2
	s_or_b32 exec_lo, exec_lo, s29
	s_and_b32 s12, s12, exec_lo
	s_or_saveexec_b32 s28, s28
	v_mov_b32_e32 v2, 0x7f800001
	s_xor_b32 exec_lo, exec_lo, s28
	s_cbranch_execnz .LBB6_8007
.LBB6_7197:                             ;   in Loop: Header=BB6_5278 Depth=2
	s_or_b32 exec_lo, exec_lo, s28
	s_and_saveexec_b32 s28, s12
	s_cbranch_execz .LBB6_7199
.LBB6_7198:                             ;   in Loop: Header=BB6_5278 Depth=2
	v_and_b32_sdwa v2, v45, v11 dst_sel:DWORD dst_unused:UNUSED_PAD src0_sel:DWORD src1_sel:BYTE_1
	v_and_b32_e32 v3, 3, v2
	v_bfe_u32 v120, v2, 2, 5
	v_ffbh_u32_e32 v42, v3
	v_cmp_eq_u32_e32 vcc_lo, 0, v120
	v_min_u32_e32 v42, 32, v42
	v_subrev_nc_u32_e32 v111, 29, v42
	v_sub_nc_u32_e32 v42, 30, v42
	v_lshlrev_b32_e32 v2, v111, v2
	v_lshlrev_b32_e32 v111, 16, v11
	v_cndmask_b32_e32 v42, v120, v42, vcc_lo
	v_and_b32_e32 v2, 3, v2
	v_lshl_add_u32 v42, v42, 23, 0x37800000
	v_cndmask_b32_e32 v2, v3, v2, vcc_lo
	v_and_b32_e32 v3, 0x80000000, v111
	v_lshlrev_b32_e32 v2, 21, v2
	v_or3_b32 v2, v3, v42, v2
.LBB6_7199:                             ;   in Loop: Header=BB6_5278 Depth=2
	s_or_b32 exec_lo, exec_lo, s28
	v_max_f32_e32 v2, v2, v2
	v_max_f32_e32 v3, v110, v110
	s_mov_b32 s12, 0
	v_max_f32_e32 v111, v3, v2
.LBB6_7200:                             ;   in Loop: Header=BB6_5278 Depth=2
	s_and_b32 vcc_lo, exec_lo, s12
	s_cbranch_vccz .LBB6_7214
; %bb.7201:                             ;   in Loop: Header=BB6_5278 Depth=2
	v_cmp_gt_i16_sdwa s28, v15, v43 src0_sel:BYTE_1 src1_sel:DWORD
	s_mov_b32 s12, 0
	s_and_saveexec_b32 s29, s28
	s_xor_b32 s28, exec_lo, s29
	s_cbranch_execz .LBB6_8008
; %bb.7202:                             ;   in Loop: Header=BB6_5278 Depth=2
	v_cmp_eq_u16_sdwa s40, v15, v44 src0_sel:BYTE_1 src1_sel:DWORD
	s_mov_b32 s12, -1
	s_and_saveexec_b32 s29, s40
; %bb.7203:                             ;   in Loop: Header=BB6_5278 Depth=2
	s_xor_b32 s12, exec_lo, -1
; %bb.7204:                             ;   in Loop: Header=BB6_5278 Depth=2
	s_or_b32 exec_lo, exec_lo, s29
	s_and_b32 s12, s12, exec_lo
	s_or_saveexec_b32 s28, s28
	v_mov_b32_e32 v110, 0x7f800001
	s_xor_b32 exec_lo, exec_lo, s28
	s_cbranch_execnz .LBB6_8009
.LBB6_7205:                             ;   in Loop: Header=BB6_5278 Depth=2
	s_or_b32 exec_lo, exec_lo, s28
	s_and_saveexec_b32 s28, s12
	s_cbranch_execz .LBB6_7207
.LBB6_7206:                             ;   in Loop: Header=BB6_5278 Depth=2
	v_and_b32_sdwa v2, v45, v15 dst_sel:DWORD dst_unused:UNUSED_PAD src0_sel:DWORD src1_sel:BYTE_1
	v_and_b32_e32 v3, 3, v2
	v_bfe_u32 v111, v2, 2, 5
	v_ffbh_u32_e32 v42, v3
	v_cmp_eq_u32_e32 vcc_lo, 0, v111
	v_min_u32_e32 v42, 32, v42
	v_subrev_nc_u32_e32 v110, 29, v42
	v_sub_nc_u32_e32 v42, 30, v42
	v_lshlrev_b32_e32 v2, v110, v2
	v_lshlrev_b32_e32 v110, 16, v15
	v_cndmask_b32_e32 v42, v111, v42, vcc_lo
	v_and_b32_e32 v2, 3, v2
	v_lshl_add_u32 v42, v42, 23, 0x37800000
	v_cndmask_b32_e32 v2, v3, v2, vcc_lo
	v_and_b32_e32 v3, 0x80000000, v110
	v_lshlrev_b32_e32 v2, 21, v2
	v_or3_b32 v110, v3, v42, v2
.LBB6_7207:                             ;   in Loop: Header=BB6_5278 Depth=2
	s_or_b32 exec_lo, exec_lo, s28
	v_cmp_gt_i16_sdwa s28, v11, v43 src0_sel:BYTE_1 src1_sel:DWORD
	s_mov_b32 s12, 0
	s_and_saveexec_b32 s29, s28
	s_xor_b32 s28, exec_lo, s29
	s_cbranch_execz .LBB6_8010
; %bb.7208:                             ;   in Loop: Header=BB6_5278 Depth=2
	v_cmp_eq_u16_sdwa s40, v11, v44 src0_sel:BYTE_1 src1_sel:DWORD
	s_mov_b32 s12, -1
	s_and_saveexec_b32 s29, s40
; %bb.7209:                             ;   in Loop: Header=BB6_5278 Depth=2
	s_xor_b32 s12, exec_lo, -1
; %bb.7210:                             ;   in Loop: Header=BB6_5278 Depth=2
	s_or_b32 exec_lo, exec_lo, s29
	s_and_b32 s12, s12, exec_lo
	s_or_saveexec_b32 s28, s28
	v_mov_b32_e32 v2, 0x7f800001
	s_xor_b32 exec_lo, exec_lo, s28
	s_cbranch_execnz .LBB6_8011
.LBB6_7211:                             ;   in Loop: Header=BB6_5278 Depth=2
	s_or_b32 exec_lo, exec_lo, s28
	s_and_saveexec_b32 s28, s12
	s_cbranch_execz .LBB6_7213
.LBB6_7212:                             ;   in Loop: Header=BB6_5278 Depth=2
	v_and_b32_sdwa v2, v45, v11 dst_sel:DWORD dst_unused:UNUSED_PAD src0_sel:DWORD src1_sel:BYTE_1
	v_and_b32_e32 v3, 3, v2
	v_bfe_u32 v120, v2, 2, 5
	v_ffbh_u32_e32 v42, v3
	v_cmp_eq_u32_e32 vcc_lo, 0, v120
	v_min_u32_e32 v42, 32, v42
	v_subrev_nc_u32_e32 v111, 29, v42
	v_sub_nc_u32_e32 v42, 30, v42
	v_lshlrev_b32_e32 v2, v111, v2
	v_lshlrev_b32_e32 v111, 16, v11
	v_cndmask_b32_e32 v42, v120, v42, vcc_lo
	v_and_b32_e32 v2, 3, v2
	v_lshl_add_u32 v42, v42, 23, 0x37800000
	v_cndmask_b32_e32 v2, v3, v2, vcc_lo
	v_and_b32_e32 v3, 0x80000000, v111
	v_lshlrev_b32_e32 v2, 21, v2
	v_or3_b32 v2, v3, v42, v2
.LBB6_7213:                             ;   in Loop: Header=BB6_5278 Depth=2
	s_or_b32 exec_lo, exec_lo, s28
	v_max_f32_e32 v2, v2, v2
	v_max_f32_e32 v3, v110, v110
	v_min_f32_e32 v111, v3, v2
.LBB6_7214:                             ;   in Loop: Header=BB6_5278 Depth=2
	v_and_b32_e32 v2, 0x7f800000, v111
	v_mov_b32_e32 v110, 0x8000
	s_mov_b32 s28, exec_lo
	v_cmpx_ne_u32_e32 0x7f800000, v2
	s_cbranch_execz .LBB6_7222
; %bb.7215:                             ;   in Loop: Header=BB6_5278 Depth=2
	v_mov_b32_e32 v110, 0
	s_mov_b32 s29, exec_lo
	v_cmpx_ne_u32_e32 0, v111
	s_cbranch_execz .LBB6_7221
; %bb.7216:                             ;   in Loop: Header=BB6_5278 Depth=2
	v_bfe_u32 v2, v111, 23, 8
	v_and_b32_e32 v3, 0x7fffff, v111
	v_sub_nc_u32_e32 v42, 0x70, v2
	v_cmp_gt_u32_e32 vcc_lo, 0x71, v2
	v_or_b32_e32 v110, 0x800000, v3
	v_cndmask_b32_e32 v42, 0, v42, vcc_lo
	v_cmp_eq_u32_e32 vcc_lo, 0, v2
	v_add_nc_u32_e32 v2, 0xffffff91, v2
	v_cndmask_b32_e64 v42, v42, 0x6f, vcc_lo
	v_cndmask_b32_e32 v3, v110, v3, vcc_lo
	v_cndmask_b32_e64 v2, v2, 0xffffff92, vcc_lo
	v_lshl_add_u32 v120, 0x200000, v42, -1
	v_lshrrev_b32_e32 v110, v42, v3
	v_lshlrev_b32_e64 v122, v42, 0x100000
	v_and_b32_e32 v3, v120, v3
	v_bfe_u32 v121, v110, 21, 1
	v_cmp_eq_u32_e64 s12, v3, v122
	v_add_nc_u32_e32 v120, -1, v121
	v_lshrrev_b32_e32 v121, 23, v110
	v_cndmask_b32_e64 v3, 0, v120, s12
	s_mov_b32 s12, exec_lo
	v_add_nc_u32_e32 v120, v3, v110
	v_add_nc_u32_e32 v3, v42, v2
	v_xor_b32_e32 v42, 1, v121
	v_and_b32_e32 v2, 0x1fffff, v120
	v_add_nc_u32_e32 v2, v2, v110
                                        ; implicit-def: $vgpr110
	v_cmpx_ne_u32_e64 v3, v42
	s_xor_b32 s12, exec_lo, s12
; %bb.7217:                             ;   in Loop: Header=BB6_5278 Depth=2
	v_cmp_lt_u32_e32 vcc_lo, 0xffffff, v2
	v_sub_nc_u32_e32 v3, v3, v42
	v_cndmask_b32_e64 v42, 0, 1, vcc_lo
	v_add_co_ci_u32_e64 v110, null, 0, v3, vcc_lo
	v_lshrrev_b32_e32 v2, v42, v2
; %bb.7218:                             ;   in Loop: Header=BB6_5278 Depth=2
	s_andn2_saveexec_b32 s12, s12
; %bb.7219:                             ;   in Loop: Header=BB6_5278 Depth=2
	v_bfe_u32 v110, v2, 23, 1
; %bb.7220:                             ;   in Loop: Header=BB6_5278 Depth=2
	s_or_b32 exec_lo, exec_lo, s12
	v_lshrrev_b32_e32 v2, 21, v2
	v_min_i32_e32 v3, 31, v110
	v_cmp_gt_i32_e32 vcc_lo, 32, v110
	v_and_b32_sdwa v42, v111, v44 dst_sel:DWORD dst_unused:UNUSED_PAD src0_sel:BYTE_3 src1_sel:DWORD
	v_lshlrev_b32_e32 v3, 2, v3
	v_cndmask_b32_e32 v2, 3, v2, vcc_lo
	v_and_b32_e32 v3, 0xfc, v3
	v_and_b32_e32 v111, 3, v2
	v_or_b32_e32 v2, v110, v2
	v_or3_b32 v3, v42, v3, v111
	v_cmp_ne_u32_e32 vcc_lo, 0, v2
	v_lshlrev_b32_e32 v3, 8, v3
	v_cndmask_b32_e32 v110, 0, v3, vcc_lo
.LBB6_7221:                             ;   in Loop: Header=BB6_5278 Depth=2
	s_or_b32 exec_lo, exec_lo, s29
.LBB6_7222:                             ;   in Loop: Header=BB6_5278 Depth=2
	s_or_b32 exec_lo, exec_lo, s28
	v_and_b32_sdwa v111, v15, v46 dst_sel:DWORD dst_unused:UNUSED_PAD src0_sel:WORD_1 src1_sel:DWORD
	s_andn2_b32 vcc_lo, exec_lo, s27
	s_mov_b32 s28, -1
                                        ; implicit-def: $vgpr120
	v_cmp_lt_i16_e64 s12, 0x7f, v111
	s_cbranch_vccnz .LBB6_7236
; %bb.7223:                             ;   in Loop: Header=BB6_5278 Depth=2
	s_mov_b32 s28, 0
	s_and_saveexec_b32 s29, s12
	s_xor_b32 s12, exec_lo, s29
	s_cbranch_execz .LBB6_8012
; %bb.7224:                             ;   in Loop: Header=BB6_5278 Depth=2
	s_mov_b32 s28, -1
	s_mov_b32 s29, exec_lo
	v_cmpx_eq_u16_e32 0x80, v111
; %bb.7225:                             ;   in Loop: Header=BB6_5278 Depth=2
	s_xor_b32 s28, exec_lo, -1
; %bb.7226:                             ;   in Loop: Header=BB6_5278 Depth=2
	s_or_b32 exec_lo, exec_lo, s29
	s_and_b32 s28, s28, exec_lo
	s_or_saveexec_b32 s12, s12
	v_mov_b32_e32 v120, 0x7f800001
	s_xor_b32 exec_lo, exec_lo, s12
	s_cbranch_execnz .LBB6_8013
.LBB6_7227:                             ;   in Loop: Header=BB6_5278 Depth=2
	s_or_b32 exec_lo, exec_lo, s12
	s_and_saveexec_b32 s12, s28
	s_cbranch_execz .LBB6_7229
.LBB6_7228:                             ;   in Loop: Header=BB6_5278 Depth=2
	v_bfe_u32 v2, v15, 16, 2
	v_bfe_u32 v120, v15, 18, 5
	v_lshlrev_b32_sdwa v121, v47, v15 dst_sel:DWORD dst_unused:UNUSED_PAD src0_sel:DWORD src1_sel:WORD_1
	v_ffbh_u32_e32 v3, v2
	v_cmp_eq_u32_e32 vcc_lo, 0, v120
	v_min_u32_e32 v3, 32, v3
	v_subrev_nc_u32_e32 v42, 29, v3
	v_sub_nc_u32_e32 v3, 30, v3
	v_lshlrev_b32_sdwa v42, v42, v15 dst_sel:DWORD dst_unused:UNUSED_PAD src0_sel:DWORD src1_sel:WORD_1
	v_cndmask_b32_e32 v3, v120, v3, vcc_lo
	v_and_b32_e32 v42, 3, v42
	v_lshl_add_u32 v3, v3, 23, 0x37800000
	v_cndmask_b32_e32 v2, v2, v42, vcc_lo
	v_and_b32_e32 v42, 0x80000000, v121
	v_lshlrev_b32_e32 v2, 21, v2
	v_or3_b32 v120, v42, v3, v2
.LBB6_7229:                             ;   in Loop: Header=BB6_5278 Depth=2
	s_or_b32 exec_lo, exec_lo, s12
	v_and_b32_sdwa v3, v11, v46 dst_sel:DWORD dst_unused:UNUSED_PAD src0_sel:WORD_1 src1_sel:DWORD
	s_mov_b32 s12, 0
	s_mov_b32 s28, exec_lo
	v_cmpx_lt_i16_e32 0x7f, v3
	s_xor_b32 s28, exec_lo, s28
	s_cbranch_execz .LBB6_8014
; %bb.7230:                             ;   in Loop: Header=BB6_5278 Depth=2
	s_mov_b32 s12, -1
	s_mov_b32 s29, exec_lo
	v_cmpx_eq_u16_e32 0x80, v3
; %bb.7231:                             ;   in Loop: Header=BB6_5278 Depth=2
	s_xor_b32 s12, exec_lo, -1
; %bb.7232:                             ;   in Loop: Header=BB6_5278 Depth=2
	s_or_b32 exec_lo, exec_lo, s29
	s_and_b32 s12, s12, exec_lo
                                        ; implicit-def: $vgpr3
	s_or_saveexec_b32 s28, s28
	v_mov_b32_e32 v2, 0x7f800001
	s_xor_b32 exec_lo, exec_lo, s28
	s_cbranch_execnz .LBB6_8015
.LBB6_7233:                             ;   in Loop: Header=BB6_5278 Depth=2
	s_or_b32 exec_lo, exec_lo, s28
	s_and_saveexec_b32 s28, s12
	s_cbranch_execz .LBB6_7235
.LBB6_7234:                             ;   in Loop: Header=BB6_5278 Depth=2
	v_bfe_u32 v2, v11, 16, 2
	v_bfe_u32 v121, v11, 18, 5
	v_lshlrev_b32_sdwa v122, v47, v11 dst_sel:DWORD dst_unused:UNUSED_PAD src0_sel:DWORD src1_sel:WORD_1
	v_ffbh_u32_e32 v3, v2
	v_cmp_eq_u32_e32 vcc_lo, 0, v121
	v_min_u32_e32 v3, 32, v3
	v_subrev_nc_u32_e32 v42, 29, v3
	v_sub_nc_u32_e32 v3, 30, v3
	v_lshlrev_b32_sdwa v42, v42, v11 dst_sel:DWORD dst_unused:UNUSED_PAD src0_sel:DWORD src1_sel:WORD_1
	v_cndmask_b32_e32 v3, v121, v3, vcc_lo
	v_and_b32_e32 v42, 3, v42
	v_lshl_add_u32 v3, v3, 23, 0x37800000
	v_cndmask_b32_e32 v2, v2, v42, vcc_lo
	v_and_b32_e32 v42, 0x80000000, v122
	v_lshlrev_b32_e32 v2, 21, v2
	v_or3_b32 v2, v42, v3, v2
.LBB6_7235:                             ;   in Loop: Header=BB6_5278 Depth=2
	s_or_b32 exec_lo, exec_lo, s28
	v_max_f32_e32 v2, v2, v2
	v_max_f32_e32 v3, v120, v120
	s_mov_b32 s28, 0
	v_max_f32_e32 v120, v3, v2
.LBB6_7236:                             ;   in Loop: Header=BB6_5278 Depth=2
	s_and_b32 vcc_lo, exec_lo, s28
	s_cbranch_vccz .LBB6_7250
; %bb.7237:                             ;   in Loop: Header=BB6_5278 Depth=2
	s_mov_b32 s12, 0
	s_mov_b32 s28, exec_lo
	v_cmpx_lt_i16_e32 0x7f, v111
	s_xor_b32 s28, exec_lo, s28
	s_cbranch_execz .LBB6_8016
; %bb.7238:                             ;   in Loop: Header=BB6_5278 Depth=2
	s_mov_b32 s12, -1
	s_mov_b32 s29, exec_lo
	v_cmpx_eq_u16_e32 0x80, v111
; %bb.7239:                             ;   in Loop: Header=BB6_5278 Depth=2
	s_xor_b32 s12, exec_lo, -1
; %bb.7240:                             ;   in Loop: Header=BB6_5278 Depth=2
	s_or_b32 exec_lo, exec_lo, s29
	s_and_b32 s12, s12, exec_lo
                                        ; implicit-def: $vgpr111
	s_or_saveexec_b32 s28, s28
	v_mov_b32_e32 v120, 0x7f800001
	s_xor_b32 exec_lo, exec_lo, s28
	s_cbranch_execnz .LBB6_8017
.LBB6_7241:                             ;   in Loop: Header=BB6_5278 Depth=2
	s_or_b32 exec_lo, exec_lo, s28
	s_and_saveexec_b32 s28, s12
	s_cbranch_execz .LBB6_7243
.LBB6_7242:                             ;   in Loop: Header=BB6_5278 Depth=2
	v_bfe_u32 v2, v15, 16, 2
	v_bfe_u32 v111, v15, 18, 5
	v_lshlrev_b32_sdwa v120, v47, v15 dst_sel:DWORD dst_unused:UNUSED_PAD src0_sel:DWORD src1_sel:WORD_1
	v_ffbh_u32_e32 v3, v2
	v_cmp_eq_u32_e32 vcc_lo, 0, v111
	v_min_u32_e32 v3, 32, v3
	v_subrev_nc_u32_e32 v42, 29, v3
	v_sub_nc_u32_e32 v3, 30, v3
	v_lshlrev_b32_sdwa v42, v42, v15 dst_sel:DWORD dst_unused:UNUSED_PAD src0_sel:DWORD src1_sel:WORD_1
	v_cndmask_b32_e32 v3, v111, v3, vcc_lo
	v_and_b32_e32 v42, 3, v42
	v_lshl_add_u32 v3, v3, 23, 0x37800000
	v_cndmask_b32_e32 v2, v2, v42, vcc_lo
	v_and_b32_e32 v42, 0x80000000, v120
	v_lshlrev_b32_e32 v2, 21, v2
	v_or3_b32 v120, v42, v3, v2
.LBB6_7243:                             ;   in Loop: Header=BB6_5278 Depth=2
	s_or_b32 exec_lo, exec_lo, s28
	v_and_b32_sdwa v3, v11, v46 dst_sel:DWORD dst_unused:UNUSED_PAD src0_sel:WORD_1 src1_sel:DWORD
	s_mov_b32 s12, 0
	s_mov_b32 s28, exec_lo
	v_cmpx_lt_i16_e32 0x7f, v3
	s_xor_b32 s28, exec_lo, s28
	s_cbranch_execz .LBB6_8018
; %bb.7244:                             ;   in Loop: Header=BB6_5278 Depth=2
	s_mov_b32 s12, -1
	s_mov_b32 s29, exec_lo
	v_cmpx_eq_u16_e32 0x80, v3
; %bb.7245:                             ;   in Loop: Header=BB6_5278 Depth=2
	s_xor_b32 s12, exec_lo, -1
; %bb.7246:                             ;   in Loop: Header=BB6_5278 Depth=2
	s_or_b32 exec_lo, exec_lo, s29
	s_and_b32 s12, s12, exec_lo
                                        ; implicit-def: $vgpr3
	s_or_saveexec_b32 s28, s28
	v_mov_b32_e32 v2, 0x7f800001
	s_xor_b32 exec_lo, exec_lo, s28
	s_cbranch_execnz .LBB6_8019
.LBB6_7247:                             ;   in Loop: Header=BB6_5278 Depth=2
	s_or_b32 exec_lo, exec_lo, s28
	s_and_saveexec_b32 s28, s12
	s_cbranch_execz .LBB6_7249
.LBB6_7248:                             ;   in Loop: Header=BB6_5278 Depth=2
	v_bfe_u32 v2, v11, 16, 2
	v_bfe_u32 v111, v11, 18, 5
	v_lshlrev_b32_sdwa v121, v47, v11 dst_sel:DWORD dst_unused:UNUSED_PAD src0_sel:DWORD src1_sel:WORD_1
	v_ffbh_u32_e32 v3, v2
	v_cmp_eq_u32_e32 vcc_lo, 0, v111
	v_min_u32_e32 v3, 32, v3
	v_subrev_nc_u32_e32 v42, 29, v3
	v_sub_nc_u32_e32 v3, 30, v3
	v_lshlrev_b32_sdwa v42, v42, v11 dst_sel:DWORD dst_unused:UNUSED_PAD src0_sel:DWORD src1_sel:WORD_1
	v_cndmask_b32_e32 v3, v111, v3, vcc_lo
	v_and_b32_e32 v42, 3, v42
	v_lshl_add_u32 v3, v3, 23, 0x37800000
	v_cndmask_b32_e32 v2, v2, v42, vcc_lo
	v_and_b32_e32 v42, 0x80000000, v121
	v_lshlrev_b32_e32 v2, 21, v2
	v_or3_b32 v2, v42, v3, v2
.LBB6_7249:                             ;   in Loop: Header=BB6_5278 Depth=2
	s_or_b32 exec_lo, exec_lo, s28
	v_max_f32_e32 v2, v2, v2
	v_max_f32_e32 v3, v120, v120
	v_min_f32_e32 v120, v3, v2
.LBB6_7250:                             ;   in Loop: Header=BB6_5278 Depth=2
	v_and_b32_e32 v2, 0x7f800000, v120
	v_mov_b32_e32 v111, 0x80
	s_mov_b32 s28, exec_lo
	v_cmpx_ne_u32_e32 0x7f800000, v2
	s_cbranch_execz .LBB6_7258
; %bb.7251:                             ;   in Loop: Header=BB6_5278 Depth=2
	v_mov_b32_e32 v111, 0
	s_mov_b32 s29, exec_lo
	v_cmpx_ne_u32_e32 0, v120
	s_cbranch_execz .LBB6_7257
; %bb.7252:                             ;   in Loop: Header=BB6_5278 Depth=2
	v_bfe_u32 v3, v120, 23, 8
	v_and_b32_e32 v2, 0x7fffff, v120
                                        ; implicit-def: $vgpr122
	v_cmp_gt_u32_e64 s12, 0x71, v3
	v_sub_nc_u32_e32 v42, 0x70, v3
	v_cmp_eq_u32_e32 vcc_lo, 0, v3
	v_or_b32_e32 v111, 0x800000, v2
	v_add_nc_u32_e32 v3, 0xffffff91, v3
	v_cndmask_b32_e64 v42, 0, v42, s12
	v_cndmask_b32_e32 v2, v111, v2, vcc_lo
	v_cndmask_b32_e64 v3, v3, 0xffffff92, vcc_lo
	v_cndmask_b32_e64 v42, v42, 0x6f, vcc_lo
	v_lshl_add_u32 v111, 0x200000, v42, -1
	v_lshlrev_b32_e64 v121, v42, 0x100000
	v_and_b32_e32 v111, v111, v2
	v_lshrrev_b32_e32 v2, v42, v2
	v_cmp_eq_u32_e64 s12, v111, v121
	v_add_nc_u32_e32 v111, v42, v3
	v_lshrrev_b32_e32 v3, 23, v2
	v_xor_b32_e32 v121, 1, v3
	v_bfe_u32 v3, v2, 21, 1
	v_add_nc_u32_e32 v3, -1, v3
	v_cndmask_b32_e64 v3, 0, v3, s12
	s_mov_b32 s12, exec_lo
	v_add_nc_u32_e32 v3, v3, v2
	v_and_b32_e32 v3, 0x1fffff, v3
	v_add_nc_u32_e32 v2, v3, v2
	v_cmpx_ne_u32_e64 v111, v121
	s_xor_b32 s12, exec_lo, s12
; %bb.7253:                             ;   in Loop: Header=BB6_5278 Depth=2
	v_cmp_lt_u32_e32 vcc_lo, 0xffffff, v2
	v_sub_nc_u32_e32 v3, v111, v121
	v_cndmask_b32_e64 v42, 0, 1, vcc_lo
	v_add_co_ci_u32_e64 v122, null, 0, v3, vcc_lo
	v_lshrrev_b32_e32 v2, v42, v2
; %bb.7254:                             ;   in Loop: Header=BB6_5278 Depth=2
	s_andn2_saveexec_b32 s12, s12
; %bb.7255:                             ;   in Loop: Header=BB6_5278 Depth=2
	v_bfe_u32 v122, v2, 23, 1
; %bb.7256:                             ;   in Loop: Header=BB6_5278 Depth=2
	s_or_b32 exec_lo, exec_lo, s12
	v_lshrrev_b32_e32 v2, 21, v2
	v_min_i32_e32 v3, 31, v122
	v_cmp_gt_i32_e32 vcc_lo, 32, v122
	v_and_b32_sdwa v42, v120, v44 dst_sel:DWORD dst_unused:UNUSED_PAD src0_sel:BYTE_3 src1_sel:DWORD
	v_lshlrev_b32_e32 v3, 2, v3
	v_cndmask_b32_e32 v2, 3, v2, vcc_lo
	v_and_b32_e32 v3, 0xfc, v3
	v_and_b32_e32 v111, 3, v2
	v_or_b32_e32 v2, v122, v2
	v_or3_b32 v3, v3, v42, v111
	v_cmp_ne_u32_e32 vcc_lo, 0, v2
	v_cndmask_b32_e32 v111, 0, v3, vcc_lo
.LBB6_7257:                             ;   in Loop: Header=BB6_5278 Depth=2
	s_or_b32 exec_lo, exec_lo, s29
.LBB6_7258:                             ;   in Loop: Header=BB6_5278 Depth=2
	s_or_b32 exec_lo, exec_lo, s28
	v_cmp_gt_i16_sdwa s28, v15, v43 src0_sel:BYTE_3 src1_sel:DWORD
	s_andn2_b32 vcc_lo, exec_lo, s27
	s_mov_b32 s12, -1
                                        ; implicit-def: $vgpr120
	s_cbranch_vccnz .LBB6_7272
; %bb.7259:                             ;   in Loop: Header=BB6_5278 Depth=2
	s_mov_b32 s12, 0
	s_and_saveexec_b32 s29, s28
	s_xor_b32 s28, exec_lo, s29
	s_cbranch_execz .LBB6_8020
; %bb.7260:                             ;   in Loop: Header=BB6_5278 Depth=2
	v_cmp_eq_u16_sdwa s40, v15, v44 src0_sel:BYTE_3 src1_sel:DWORD
	s_mov_b32 s12, -1
	s_and_saveexec_b32 s29, s40
; %bb.7261:                             ;   in Loop: Header=BB6_5278 Depth=2
	s_xor_b32 s12, exec_lo, -1
; %bb.7262:                             ;   in Loop: Header=BB6_5278 Depth=2
	s_or_b32 exec_lo, exec_lo, s29
	s_and_b32 s12, s12, exec_lo
	s_or_saveexec_b32 s28, s28
	v_mov_b32_e32 v120, 0x7f800001
	s_xor_b32 exec_lo, exec_lo, s28
	s_cbranch_execnz .LBB6_8021
.LBB6_7263:                             ;   in Loop: Header=BB6_5278 Depth=2
	s_or_b32 exec_lo, exec_lo, s28
	s_and_saveexec_b32 s28, s12
	s_cbranch_execz .LBB6_7265
.LBB6_7264:                             ;   in Loop: Header=BB6_5278 Depth=2
	v_bfe_u32 v2, v15, 24, 2
	v_bfe_u32 v120, v15, 26, 5
	v_ffbh_u32_e32 v3, v2
	v_cmp_eq_u32_e32 vcc_lo, 0, v120
	v_min_u32_e32 v3, 32, v3
	v_subrev_nc_u32_e32 v42, 29, v3
	v_sub_nc_u32_e32 v3, 30, v3
	v_lshlrev_b32_sdwa v42, v42, v15 dst_sel:DWORD dst_unused:UNUSED_PAD src0_sel:DWORD src1_sel:BYTE_3
	v_cndmask_b32_e32 v3, v120, v3, vcc_lo
	v_and_b32_e32 v42, 3, v42
	v_lshl_add_u32 v3, v3, 23, 0x37800000
	v_cndmask_b32_e32 v2, v2, v42, vcc_lo
	v_and_b32_e32 v42, 0x80000000, v15
	v_lshlrev_b32_e32 v2, 21, v2
	v_or3_b32 v120, v42, v3, v2
.LBB6_7265:                             ;   in Loop: Header=BB6_5278 Depth=2
	s_or_b32 exec_lo, exec_lo, s28
	v_cmp_gt_i16_sdwa s28, v11, v43 src0_sel:BYTE_3 src1_sel:DWORD
	s_mov_b32 s12, 0
	s_and_saveexec_b32 s29, s28
	s_xor_b32 s28, exec_lo, s29
	s_cbranch_execz .LBB6_8022
; %bb.7266:                             ;   in Loop: Header=BB6_5278 Depth=2
	v_cmp_eq_u16_sdwa s40, v11, v44 src0_sel:BYTE_3 src1_sel:DWORD
	s_mov_b32 s12, -1
	s_and_saveexec_b32 s29, s40
; %bb.7267:                             ;   in Loop: Header=BB6_5278 Depth=2
	s_xor_b32 s12, exec_lo, -1
; %bb.7268:                             ;   in Loop: Header=BB6_5278 Depth=2
	s_or_b32 exec_lo, exec_lo, s29
	s_and_b32 s12, s12, exec_lo
	s_or_saveexec_b32 s28, s28
	v_mov_b32_e32 v2, 0x7f800001
	s_xor_b32 exec_lo, exec_lo, s28
	s_cbranch_execnz .LBB6_8023
.LBB6_7269:                             ;   in Loop: Header=BB6_5278 Depth=2
	s_or_b32 exec_lo, exec_lo, s28
	s_and_saveexec_b32 s28, s12
	s_cbranch_execz .LBB6_7271
.LBB6_7270:                             ;   in Loop: Header=BB6_5278 Depth=2
	v_bfe_u32 v2, v11, 24, 2
	v_bfe_u32 v121, v11, 26, 5
	v_ffbh_u32_e32 v3, v2
	v_cmp_eq_u32_e32 vcc_lo, 0, v121
	v_min_u32_e32 v3, 32, v3
	v_subrev_nc_u32_e32 v42, 29, v3
	v_sub_nc_u32_e32 v3, 30, v3
	v_lshlrev_b32_sdwa v42, v42, v11 dst_sel:DWORD dst_unused:UNUSED_PAD src0_sel:DWORD src1_sel:BYTE_3
	v_cndmask_b32_e32 v3, v121, v3, vcc_lo
	v_and_b32_e32 v42, 3, v42
	v_lshl_add_u32 v3, v3, 23, 0x37800000
	v_cndmask_b32_e32 v2, v2, v42, vcc_lo
	v_and_b32_e32 v42, 0x80000000, v11
	v_lshlrev_b32_e32 v2, 21, v2
	v_or3_b32 v2, v42, v3, v2
.LBB6_7271:                             ;   in Loop: Header=BB6_5278 Depth=2
	s_or_b32 exec_lo, exec_lo, s28
	v_max_f32_e32 v2, v2, v2
	v_max_f32_e32 v3, v120, v120
	s_mov_b32 s12, 0
	v_max_f32_e32 v120, v3, v2
.LBB6_7272:                             ;   in Loop: Header=BB6_5278 Depth=2
	s_and_b32 vcc_lo, exec_lo, s12
	s_cbranch_vccz .LBB6_7286
; %bb.7273:                             ;   in Loop: Header=BB6_5278 Depth=2
	v_cmp_gt_i16_sdwa s28, v15, v43 src0_sel:BYTE_3 src1_sel:DWORD
	s_mov_b32 s12, 0
	s_and_saveexec_b32 s29, s28
	s_xor_b32 s28, exec_lo, s29
	s_cbranch_execz .LBB6_8024
; %bb.7274:                             ;   in Loop: Header=BB6_5278 Depth=2
	v_cmp_eq_u16_sdwa s40, v15, v44 src0_sel:BYTE_3 src1_sel:DWORD
	s_mov_b32 s12, -1
	s_and_saveexec_b32 s29, s40
; %bb.7275:                             ;   in Loop: Header=BB6_5278 Depth=2
	s_xor_b32 s12, exec_lo, -1
; %bb.7276:                             ;   in Loop: Header=BB6_5278 Depth=2
	s_or_b32 exec_lo, exec_lo, s29
	s_and_b32 s12, s12, exec_lo
	s_or_saveexec_b32 s28, s28
	v_mov_b32_e32 v120, 0x7f800001
	s_xor_b32 exec_lo, exec_lo, s28
	s_cbranch_execnz .LBB6_8025
.LBB6_7277:                             ;   in Loop: Header=BB6_5278 Depth=2
	s_or_b32 exec_lo, exec_lo, s28
	s_and_saveexec_b32 s28, s12
	s_cbranch_execz .LBB6_7279
.LBB6_7278:                             ;   in Loop: Header=BB6_5278 Depth=2
	v_bfe_u32 v2, v15, 24, 2
	v_bfe_u32 v120, v15, 26, 5
	v_ffbh_u32_e32 v3, v2
	v_cmp_eq_u32_e32 vcc_lo, 0, v120
	v_min_u32_e32 v3, 32, v3
	v_subrev_nc_u32_e32 v42, 29, v3
	v_sub_nc_u32_e32 v3, 30, v3
	v_lshlrev_b32_sdwa v42, v42, v15 dst_sel:DWORD dst_unused:UNUSED_PAD src0_sel:DWORD src1_sel:BYTE_3
	v_cndmask_b32_e32 v3, v120, v3, vcc_lo
	v_and_b32_e32 v15, 0x80000000, v15
	v_and_b32_e32 v42, 3, v42
	v_lshl_add_u32 v3, v3, 23, 0x37800000
	v_cndmask_b32_e32 v2, v2, v42, vcc_lo
	v_lshlrev_b32_e32 v2, 21, v2
	v_or3_b32 v120, v15, v3, v2
.LBB6_7279:                             ;   in Loop: Header=BB6_5278 Depth=2
	s_or_b32 exec_lo, exec_lo, s28
	v_cmp_gt_i16_sdwa s28, v11, v43 src0_sel:BYTE_3 src1_sel:DWORD
	s_mov_b32 s12, 0
	s_and_saveexec_b32 s29, s28
	s_xor_b32 s28, exec_lo, s29
	s_cbranch_execz .LBB6_8026
; %bb.7280:                             ;   in Loop: Header=BB6_5278 Depth=2
	v_cmp_eq_u16_sdwa s40, v11, v44 src0_sel:BYTE_3 src1_sel:DWORD
	s_mov_b32 s12, -1
	s_and_saveexec_b32 s29, s40
; %bb.7281:                             ;   in Loop: Header=BB6_5278 Depth=2
	s_xor_b32 s12, exec_lo, -1
; %bb.7282:                             ;   in Loop: Header=BB6_5278 Depth=2
	s_or_b32 exec_lo, exec_lo, s29
	s_and_b32 s12, s12, exec_lo
	s_or_saveexec_b32 s28, s28
	v_mov_b32_e32 v2, 0x7f800001
	s_xor_b32 exec_lo, exec_lo, s28
	s_cbranch_execnz .LBB6_8027
.LBB6_7283:                             ;   in Loop: Header=BB6_5278 Depth=2
	s_or_b32 exec_lo, exec_lo, s28
	s_and_saveexec_b32 s28, s12
	s_cbranch_execz .LBB6_7285
.LBB6_7284:                             ;   in Loop: Header=BB6_5278 Depth=2
	v_bfe_u32 v2, v11, 24, 2
	v_bfe_u32 v42, v11, 26, 5
	v_ffbh_u32_e32 v3, v2
	v_cmp_eq_u32_e32 vcc_lo, 0, v42
	v_min_u32_e32 v3, 32, v3
	v_subrev_nc_u32_e32 v15, 29, v3
	v_sub_nc_u32_e32 v3, 30, v3
	v_lshlrev_b32_sdwa v15, v15, v11 dst_sel:DWORD dst_unused:UNUSED_PAD src0_sel:DWORD src1_sel:BYTE_3
	v_cndmask_b32_e32 v3, v42, v3, vcc_lo
	v_and_b32_e32 v11, 0x80000000, v11
	v_and_b32_e32 v15, 3, v15
	v_lshl_add_u32 v3, v3, 23, 0x37800000
	v_cndmask_b32_e32 v2, v2, v15, vcc_lo
	v_lshlrev_b32_e32 v2, 21, v2
	v_or3_b32 v2, v11, v3, v2
.LBB6_7285:                             ;   in Loop: Header=BB6_5278 Depth=2
	s_or_b32 exec_lo, exec_lo, s28
	v_max_f32_e32 v2, v2, v2
	v_max_f32_e32 v3, v120, v120
	v_min_f32_e32 v120, v3, v2
.LBB6_7286:                             ;   in Loop: Header=BB6_5278 Depth=2
	v_and_b32_e32 v2, 0x7f800000, v120
	v_mov_b32_e32 v11, 0x8000
	s_mov_b32 s28, exec_lo
	v_cmpx_ne_u32_e32 0x7f800000, v2
	s_cbranch_execz .LBB6_7294
; %bb.7287:                             ;   in Loop: Header=BB6_5278 Depth=2
	v_mov_b32_e32 v11, 0
	s_mov_b32 s29, exec_lo
	v_cmpx_ne_u32_e32 0, v120
	s_cbranch_execz .LBB6_7293
; %bb.7288:                             ;   in Loop: Header=BB6_5278 Depth=2
	v_bfe_u32 v2, v120, 23, 8
	v_and_b32_e32 v3, 0x7fffff, v120
	v_sub_nc_u32_e32 v11, 0x70, v2
	v_cmp_gt_u32_e32 vcc_lo, 0x71, v2
	v_or_b32_e32 v15, 0x800000, v3
	v_cndmask_b32_e32 v11, 0, v11, vcc_lo
	v_cmp_eq_u32_e32 vcc_lo, 0, v2
	v_add_nc_u32_e32 v2, 0xffffff91, v2
	v_cndmask_b32_e64 v11, v11, 0x6f, vcc_lo
	v_cndmask_b32_e32 v3, v15, v3, vcc_lo
	v_cndmask_b32_e64 v2, v2, 0xffffff92, vcc_lo
	v_lshl_add_u32 v15, 0x200000, v11, -1
	v_lshrrev_b32_e32 v42, v11, v3
	v_lshlrev_b32_e64 v122, v11, 0x100000
	v_and_b32_e32 v3, v15, v3
	v_bfe_u32 v121, v42, 21, 1
	v_cmp_eq_u32_e64 s12, v3, v122
	v_add_nc_u32_e32 v15, -1, v121
	v_lshrrev_b32_e32 v121, 23, v42
	v_cndmask_b32_e64 v3, 0, v15, s12
	s_mov_b32 s12, exec_lo
	v_add_nc_u32_e32 v15, v3, v42
	v_add_nc_u32_e32 v3, v11, v2
                                        ; implicit-def: $vgpr11
	v_and_b32_e32 v2, 0x1fffff, v15
	v_xor_b32_e32 v15, 1, v121
	v_add_nc_u32_e32 v2, v2, v42
	v_cmpx_ne_u32_e64 v3, v15
	s_xor_b32 s12, exec_lo, s12
; %bb.7289:                             ;   in Loop: Header=BB6_5278 Depth=2
	v_cmp_lt_u32_e32 vcc_lo, 0xffffff, v2
	v_sub_nc_u32_e32 v3, v3, v15
	v_cndmask_b32_e64 v15, 0, 1, vcc_lo
	v_add_co_ci_u32_e64 v11, null, 0, v3, vcc_lo
	v_lshrrev_b32_e32 v2, v15, v2
; %bb.7290:                             ;   in Loop: Header=BB6_5278 Depth=2
	s_andn2_saveexec_b32 s12, s12
; %bb.7291:                             ;   in Loop: Header=BB6_5278 Depth=2
	v_bfe_u32 v11, v2, 23, 1
; %bb.7292:                             ;   in Loop: Header=BB6_5278 Depth=2
	s_or_b32 exec_lo, exec_lo, s12
	v_lshrrev_b32_e32 v2, 21, v2
	v_min_i32_e32 v3, 31, v11
	v_cmp_gt_i32_e32 vcc_lo, 32, v11
	v_and_b32_sdwa v15, v120, v44 dst_sel:DWORD dst_unused:UNUSED_PAD src0_sel:BYTE_3 src1_sel:DWORD
	v_lshlrev_b32_e32 v3, 2, v3
	v_cndmask_b32_e32 v2, 3, v2, vcc_lo
	v_and_b32_e32 v3, 0xfc, v3
	v_and_b32_e32 v42, 3, v2
	v_or_b32_e32 v2, v11, v2
	v_or3_b32 v3, v15, v3, v42
	v_cmp_ne_u32_e32 vcc_lo, 0, v2
	v_lshlrev_b32_e32 v3, 8, v3
	v_cndmask_b32_e32 v11, 0, v3, vcc_lo
.LBB6_7293:                             ;   in Loop: Header=BB6_5278 Depth=2
	s_or_b32 exec_lo, exec_lo, s29
.LBB6_7294:                             ;   in Loop: Header=BB6_5278 Depth=2
	s_or_b32 exec_lo, exec_lo, s28
	v_cmp_gt_i16_sdwa s28, v16, v43 src0_sel:BYTE_0 src1_sel:DWORD
	s_andn2_b32 vcc_lo, exec_lo, s27
	s_mov_b32 s12, -1
                                        ; implicit-def: $vgpr120
	s_cbranch_vccnz .LBB6_7308
; %bb.7295:                             ;   in Loop: Header=BB6_5278 Depth=2
	s_mov_b32 s12, 0
	s_and_saveexec_b32 s29, s28
	s_xor_b32 s28, exec_lo, s29
	s_cbranch_execz .LBB6_8028
; %bb.7296:                             ;   in Loop: Header=BB6_5278 Depth=2
	v_cmp_eq_u16_sdwa s40, v16, v44 src0_sel:BYTE_0 src1_sel:DWORD
	s_mov_b32 s12, -1
	s_and_saveexec_b32 s29, s40
; %bb.7297:                             ;   in Loop: Header=BB6_5278 Depth=2
	s_xor_b32 s12, exec_lo, -1
; %bb.7298:                             ;   in Loop: Header=BB6_5278 Depth=2
	s_or_b32 exec_lo, exec_lo, s29
	s_and_b32 s12, s12, exec_lo
	s_or_saveexec_b32 s28, s28
	v_mov_b32_e32 v15, 0x7f800001
	s_xor_b32 exec_lo, exec_lo, s28
	s_cbranch_execnz .LBB6_8029
.LBB6_7299:                             ;   in Loop: Header=BB6_5278 Depth=2
	s_or_b32 exec_lo, exec_lo, s28
	s_and_saveexec_b32 s28, s12
	s_cbranch_execz .LBB6_7301
.LBB6_7300:                             ;   in Loop: Header=BB6_5278 Depth=2
	v_and_b32_e32 v2, 3, v16
	v_bfe_u32 v42, v16, 2, 5
	v_lshlrev_b32_e32 v120, 24, v16
	v_ffbh_u32_e32 v3, v2
	v_cmp_eq_u32_e32 vcc_lo, 0, v42
	v_min_u32_e32 v3, 32, v3
	v_subrev_nc_u32_e32 v15, 29, v3
	v_sub_nc_u32_e32 v3, 30, v3
	v_lshlrev_b32_e32 v15, v15, v16
	v_cndmask_b32_e32 v3, v42, v3, vcc_lo
	v_and_b32_e32 v15, 3, v15
	v_lshl_add_u32 v3, v3, 23, 0x37800000
	v_cndmask_b32_e32 v2, v2, v15, vcc_lo
	v_and_b32_e32 v15, 0x80000000, v120
	v_lshlrev_b32_e32 v2, 21, v2
	v_or3_b32 v15, v15, v3, v2
.LBB6_7301:                             ;   in Loop: Header=BB6_5278 Depth=2
	s_or_b32 exec_lo, exec_lo, s28
	v_cmp_gt_i16_sdwa s28, v12, v43 src0_sel:BYTE_0 src1_sel:DWORD
	s_mov_b32 s12, 0
	s_and_saveexec_b32 s29, s28
	s_xor_b32 s28, exec_lo, s29
	s_cbranch_execz .LBB6_8030
; %bb.7302:                             ;   in Loop: Header=BB6_5278 Depth=2
	v_cmp_eq_u16_sdwa s40, v12, v44 src0_sel:BYTE_0 src1_sel:DWORD
	s_mov_b32 s12, -1
	s_and_saveexec_b32 s29, s40
; %bb.7303:                             ;   in Loop: Header=BB6_5278 Depth=2
	s_xor_b32 s12, exec_lo, -1
; %bb.7304:                             ;   in Loop: Header=BB6_5278 Depth=2
	s_or_b32 exec_lo, exec_lo, s29
	s_and_b32 s12, s12, exec_lo
	s_or_saveexec_b32 s28, s28
	v_mov_b32_e32 v2, 0x7f800001
	s_xor_b32 exec_lo, exec_lo, s28
	s_cbranch_execnz .LBB6_8031
.LBB6_7305:                             ;   in Loop: Header=BB6_5278 Depth=2
	s_or_b32 exec_lo, exec_lo, s28
	s_and_saveexec_b32 s28, s12
	s_cbranch_execz .LBB6_7307
.LBB6_7306:                             ;   in Loop: Header=BB6_5278 Depth=2
	v_and_b32_e32 v2, 3, v12
	v_bfe_u32 v120, v12, 2, 5
	v_lshlrev_b32_e32 v121, 24, v12
	v_ffbh_u32_e32 v3, v2
	v_cmp_eq_u32_e32 vcc_lo, 0, v120
	v_min_u32_e32 v3, 32, v3
	v_subrev_nc_u32_e32 v42, 29, v3
	v_sub_nc_u32_e32 v3, 30, v3
	v_lshlrev_b32_e32 v42, v42, v12
	v_cndmask_b32_e32 v3, v120, v3, vcc_lo
	v_and_b32_e32 v42, 3, v42
	v_lshl_add_u32 v3, v3, 23, 0x37800000
	v_cndmask_b32_e32 v2, v2, v42, vcc_lo
	v_and_b32_e32 v42, 0x80000000, v121
	v_lshlrev_b32_e32 v2, 21, v2
	v_or3_b32 v2, v42, v3, v2
.LBB6_7307:                             ;   in Loop: Header=BB6_5278 Depth=2
	s_or_b32 exec_lo, exec_lo, s28
	v_max_f32_e32 v2, v2, v2
	v_max_f32_e32 v3, v15, v15
	s_mov_b32 s12, 0
	v_max_f32_e32 v120, v3, v2
.LBB6_7308:                             ;   in Loop: Header=BB6_5278 Depth=2
	s_and_b32 vcc_lo, exec_lo, s12
	s_cbranch_vccz .LBB6_7322
; %bb.7309:                             ;   in Loop: Header=BB6_5278 Depth=2
	v_cmp_gt_i16_sdwa s28, v16, v43 src0_sel:BYTE_0 src1_sel:DWORD
	s_mov_b32 s12, 0
	s_and_saveexec_b32 s29, s28
	s_xor_b32 s28, exec_lo, s29
	s_cbranch_execz .LBB6_8032
; %bb.7310:                             ;   in Loop: Header=BB6_5278 Depth=2
	v_cmp_eq_u16_sdwa s40, v16, v44 src0_sel:BYTE_0 src1_sel:DWORD
	s_mov_b32 s12, -1
	s_and_saveexec_b32 s29, s40
; %bb.7311:                             ;   in Loop: Header=BB6_5278 Depth=2
	s_xor_b32 s12, exec_lo, -1
; %bb.7312:                             ;   in Loop: Header=BB6_5278 Depth=2
	s_or_b32 exec_lo, exec_lo, s29
	s_and_b32 s12, s12, exec_lo
	s_or_saveexec_b32 s28, s28
	v_mov_b32_e32 v15, 0x7f800001
	s_xor_b32 exec_lo, exec_lo, s28
	s_cbranch_execnz .LBB6_8033
.LBB6_7313:                             ;   in Loop: Header=BB6_5278 Depth=2
	s_or_b32 exec_lo, exec_lo, s28
	s_and_saveexec_b32 s28, s12
	s_cbranch_execz .LBB6_7315
.LBB6_7314:                             ;   in Loop: Header=BB6_5278 Depth=2
	v_and_b32_e32 v2, 3, v16
	v_bfe_u32 v42, v16, 2, 5
	v_lshlrev_b32_e32 v120, 24, v16
	v_ffbh_u32_e32 v3, v2
	v_cmp_eq_u32_e32 vcc_lo, 0, v42
	v_min_u32_e32 v3, 32, v3
	v_subrev_nc_u32_e32 v15, 29, v3
	v_sub_nc_u32_e32 v3, 30, v3
	v_lshlrev_b32_e32 v15, v15, v16
	v_cndmask_b32_e32 v3, v42, v3, vcc_lo
	v_and_b32_e32 v15, 3, v15
	v_lshl_add_u32 v3, v3, 23, 0x37800000
	v_cndmask_b32_e32 v2, v2, v15, vcc_lo
	v_and_b32_e32 v15, 0x80000000, v120
	v_lshlrev_b32_e32 v2, 21, v2
	v_or3_b32 v15, v15, v3, v2
.LBB6_7315:                             ;   in Loop: Header=BB6_5278 Depth=2
	s_or_b32 exec_lo, exec_lo, s28
	v_cmp_gt_i16_sdwa s28, v12, v43 src0_sel:BYTE_0 src1_sel:DWORD
	s_mov_b32 s12, 0
	s_and_saveexec_b32 s29, s28
	s_xor_b32 s28, exec_lo, s29
	s_cbranch_execz .LBB6_8034
; %bb.7316:                             ;   in Loop: Header=BB6_5278 Depth=2
	v_cmp_eq_u16_sdwa s40, v12, v44 src0_sel:BYTE_0 src1_sel:DWORD
	s_mov_b32 s12, -1
	s_and_saveexec_b32 s29, s40
; %bb.7317:                             ;   in Loop: Header=BB6_5278 Depth=2
	s_xor_b32 s12, exec_lo, -1
; %bb.7318:                             ;   in Loop: Header=BB6_5278 Depth=2
	s_or_b32 exec_lo, exec_lo, s29
	s_and_b32 s12, s12, exec_lo
	s_or_saveexec_b32 s28, s28
	v_mov_b32_e32 v2, 0x7f800001
	s_xor_b32 exec_lo, exec_lo, s28
	s_cbranch_execnz .LBB6_8035
.LBB6_7319:                             ;   in Loop: Header=BB6_5278 Depth=2
	s_or_b32 exec_lo, exec_lo, s28
	s_and_saveexec_b32 s28, s12
	s_cbranch_execz .LBB6_7321
.LBB6_7320:                             ;   in Loop: Header=BB6_5278 Depth=2
	v_and_b32_e32 v2, 3, v12
	v_bfe_u32 v120, v12, 2, 5
	v_lshlrev_b32_e32 v121, 24, v12
	v_ffbh_u32_e32 v3, v2
	v_cmp_eq_u32_e32 vcc_lo, 0, v120
	v_min_u32_e32 v3, 32, v3
	v_subrev_nc_u32_e32 v42, 29, v3
	v_sub_nc_u32_e32 v3, 30, v3
	v_lshlrev_b32_e32 v42, v42, v12
	v_cndmask_b32_e32 v3, v120, v3, vcc_lo
	v_and_b32_e32 v42, 3, v42
	v_lshl_add_u32 v3, v3, 23, 0x37800000
	v_cndmask_b32_e32 v2, v2, v42, vcc_lo
	v_and_b32_e32 v42, 0x80000000, v121
	v_lshlrev_b32_e32 v2, 21, v2
	v_or3_b32 v2, v42, v3, v2
.LBB6_7321:                             ;   in Loop: Header=BB6_5278 Depth=2
	s_or_b32 exec_lo, exec_lo, s28
	v_max_f32_e32 v2, v2, v2
	v_max_f32_e32 v3, v15, v15
	v_min_f32_e32 v120, v3, v2
.LBB6_7322:                             ;   in Loop: Header=BB6_5278 Depth=2
	v_and_b32_e32 v2, 0x7f800000, v120
	v_mov_b32_e32 v15, 0x80
	s_mov_b32 s28, exec_lo
	v_cmpx_ne_u32_e32 0x7f800000, v2
	s_cbranch_execz .LBB6_7330
; %bb.7323:                             ;   in Loop: Header=BB6_5278 Depth=2
	v_mov_b32_e32 v15, 0
	s_mov_b32 s29, exec_lo
	v_cmpx_ne_u32_e32 0, v120
	s_cbranch_execz .LBB6_7329
; %bb.7324:                             ;   in Loop: Header=BB6_5278 Depth=2
	v_bfe_u32 v3, v120, 23, 8
	v_and_b32_e32 v2, 0x7fffff, v120
                                        ; implicit-def: $vgpr122
	v_cmp_gt_u32_e64 s12, 0x71, v3
	v_sub_nc_u32_e32 v15, 0x70, v3
	v_cmp_eq_u32_e32 vcc_lo, 0, v3
	v_or_b32_e32 v42, 0x800000, v2
	v_add_nc_u32_e32 v3, 0xffffff91, v3
	v_cndmask_b32_e64 v15, 0, v15, s12
	v_cndmask_b32_e32 v2, v42, v2, vcc_lo
	v_cndmask_b32_e64 v3, v3, 0xffffff92, vcc_lo
	v_cndmask_b32_e64 v15, v15, 0x6f, vcc_lo
	v_lshl_add_u32 v42, 0x200000, v15, -1
	v_lshlrev_b32_e64 v121, v15, 0x100000
	v_and_b32_e32 v42, v42, v2
	v_lshrrev_b32_e32 v2, v15, v2
	v_add_nc_u32_e32 v15, v15, v3
	v_cmp_eq_u32_e64 s12, v42, v121
	v_lshrrev_b32_e32 v3, 23, v2
	v_xor_b32_e32 v121, 1, v3
	v_bfe_u32 v3, v2, 21, 1
	v_add_nc_u32_e32 v3, -1, v3
	v_cndmask_b32_e64 v3, 0, v3, s12
	s_mov_b32 s12, exec_lo
	v_add_nc_u32_e32 v3, v3, v2
	v_and_b32_e32 v3, 0x1fffff, v3
	v_add_nc_u32_e32 v2, v3, v2
	v_cmpx_ne_u32_e64 v15, v121
	s_xor_b32 s12, exec_lo, s12
; %bb.7325:                             ;   in Loop: Header=BB6_5278 Depth=2
	v_cmp_lt_u32_e32 vcc_lo, 0xffffff, v2
	v_sub_nc_u32_e32 v3, v15, v121
	v_cndmask_b32_e64 v15, 0, 1, vcc_lo
	v_add_co_ci_u32_e64 v122, null, 0, v3, vcc_lo
	v_lshrrev_b32_e32 v2, v15, v2
; %bb.7326:                             ;   in Loop: Header=BB6_5278 Depth=2
	s_andn2_saveexec_b32 s12, s12
; %bb.7327:                             ;   in Loop: Header=BB6_5278 Depth=2
	v_bfe_u32 v122, v2, 23, 1
; %bb.7328:                             ;   in Loop: Header=BB6_5278 Depth=2
	s_or_b32 exec_lo, exec_lo, s12
	v_lshrrev_b32_e32 v2, 21, v2
	v_min_i32_e32 v3, 31, v122
	v_cmp_gt_i32_e32 vcc_lo, 32, v122
	v_and_b32_sdwa v15, v120, v44 dst_sel:DWORD dst_unused:UNUSED_PAD src0_sel:BYTE_3 src1_sel:DWORD
	v_lshlrev_b32_e32 v3, 2, v3
	v_cndmask_b32_e32 v2, 3, v2, vcc_lo
	v_and_b32_e32 v3, 0xfc, v3
	v_and_b32_e32 v42, 3, v2
	v_or_b32_e32 v2, v122, v2
	v_or3_b32 v3, v3, v15, v42
	v_cmp_ne_u32_e32 vcc_lo, 0, v2
	v_cndmask_b32_e32 v15, 0, v3, vcc_lo
.LBB6_7329:                             ;   in Loop: Header=BB6_5278 Depth=2
	s_or_b32 exec_lo, exec_lo, s29
.LBB6_7330:                             ;   in Loop: Header=BB6_5278 Depth=2
	s_or_b32 exec_lo, exec_lo, s28
	v_cmp_gt_i16_sdwa s28, v16, v43 src0_sel:BYTE_1 src1_sel:DWORD
	s_andn2_b32 vcc_lo, exec_lo, s27
	s_mov_b32 s12, -1
                                        ; implicit-def: $vgpr121
	s_cbranch_vccnz .LBB6_7344
; %bb.7331:                             ;   in Loop: Header=BB6_5278 Depth=2
	s_mov_b32 s12, 0
	s_and_saveexec_b32 s29, s28
	s_xor_b32 s28, exec_lo, s29
	s_cbranch_execz .LBB6_8036
; %bb.7332:                             ;   in Loop: Header=BB6_5278 Depth=2
	v_cmp_eq_u16_sdwa s40, v16, v44 src0_sel:BYTE_1 src1_sel:DWORD
	s_mov_b32 s12, -1
	s_and_saveexec_b32 s29, s40
; %bb.7333:                             ;   in Loop: Header=BB6_5278 Depth=2
	s_xor_b32 s12, exec_lo, -1
; %bb.7334:                             ;   in Loop: Header=BB6_5278 Depth=2
	s_or_b32 exec_lo, exec_lo, s29
	s_and_b32 s12, s12, exec_lo
	s_or_saveexec_b32 s28, s28
	v_mov_b32_e32 v120, 0x7f800001
	s_xor_b32 exec_lo, exec_lo, s28
	s_cbranch_execnz .LBB6_8037
.LBB6_7335:                             ;   in Loop: Header=BB6_5278 Depth=2
	s_or_b32 exec_lo, exec_lo, s28
	s_and_saveexec_b32 s28, s12
	s_cbranch_execz .LBB6_7337
.LBB6_7336:                             ;   in Loop: Header=BB6_5278 Depth=2
	v_and_b32_sdwa v2, v45, v16 dst_sel:DWORD dst_unused:UNUSED_PAD src0_sel:DWORD src1_sel:BYTE_1
	v_and_b32_e32 v3, 3, v2
	v_bfe_u32 v121, v2, 2, 5
	v_ffbh_u32_e32 v42, v3
	v_cmp_eq_u32_e32 vcc_lo, 0, v121
	v_min_u32_e32 v42, 32, v42
	v_subrev_nc_u32_e32 v120, 29, v42
	v_sub_nc_u32_e32 v42, 30, v42
	v_lshlrev_b32_e32 v2, v120, v2
	v_lshlrev_b32_e32 v120, 16, v16
	v_cndmask_b32_e32 v42, v121, v42, vcc_lo
	v_and_b32_e32 v2, 3, v2
	v_lshl_add_u32 v42, v42, 23, 0x37800000
	v_cndmask_b32_e32 v2, v3, v2, vcc_lo
	v_and_b32_e32 v3, 0x80000000, v120
	v_lshlrev_b32_e32 v2, 21, v2
	v_or3_b32 v120, v3, v42, v2
.LBB6_7337:                             ;   in Loop: Header=BB6_5278 Depth=2
	s_or_b32 exec_lo, exec_lo, s28
	v_cmp_gt_i16_sdwa s28, v12, v43 src0_sel:BYTE_1 src1_sel:DWORD
	s_mov_b32 s12, 0
	s_and_saveexec_b32 s29, s28
	s_xor_b32 s28, exec_lo, s29
	s_cbranch_execz .LBB6_8038
; %bb.7338:                             ;   in Loop: Header=BB6_5278 Depth=2
	v_cmp_eq_u16_sdwa s40, v12, v44 src0_sel:BYTE_1 src1_sel:DWORD
	s_mov_b32 s12, -1
	s_and_saveexec_b32 s29, s40
; %bb.7339:                             ;   in Loop: Header=BB6_5278 Depth=2
	s_xor_b32 s12, exec_lo, -1
; %bb.7340:                             ;   in Loop: Header=BB6_5278 Depth=2
	s_or_b32 exec_lo, exec_lo, s29
	s_and_b32 s12, s12, exec_lo
	s_or_saveexec_b32 s28, s28
	v_mov_b32_e32 v2, 0x7f800001
	s_xor_b32 exec_lo, exec_lo, s28
	s_cbranch_execnz .LBB6_8039
.LBB6_7341:                             ;   in Loop: Header=BB6_5278 Depth=2
	s_or_b32 exec_lo, exec_lo, s28
	s_and_saveexec_b32 s28, s12
	s_cbranch_execz .LBB6_7343
.LBB6_7342:                             ;   in Loop: Header=BB6_5278 Depth=2
	v_and_b32_sdwa v2, v45, v12 dst_sel:DWORD dst_unused:UNUSED_PAD src0_sel:DWORD src1_sel:BYTE_1
	v_and_b32_e32 v3, 3, v2
	v_bfe_u32 v122, v2, 2, 5
	v_ffbh_u32_e32 v42, v3
	v_cmp_eq_u32_e32 vcc_lo, 0, v122
	v_min_u32_e32 v42, 32, v42
	v_subrev_nc_u32_e32 v121, 29, v42
	v_sub_nc_u32_e32 v42, 30, v42
	v_lshlrev_b32_e32 v2, v121, v2
	v_lshlrev_b32_e32 v121, 16, v12
	v_cndmask_b32_e32 v42, v122, v42, vcc_lo
	v_and_b32_e32 v2, 3, v2
	v_lshl_add_u32 v42, v42, 23, 0x37800000
	v_cndmask_b32_e32 v2, v3, v2, vcc_lo
	v_and_b32_e32 v3, 0x80000000, v121
	v_lshlrev_b32_e32 v2, 21, v2
	v_or3_b32 v2, v3, v42, v2
.LBB6_7343:                             ;   in Loop: Header=BB6_5278 Depth=2
	s_or_b32 exec_lo, exec_lo, s28
	v_max_f32_e32 v2, v2, v2
	v_max_f32_e32 v3, v120, v120
	s_mov_b32 s12, 0
	v_max_f32_e32 v121, v3, v2
.LBB6_7344:                             ;   in Loop: Header=BB6_5278 Depth=2
	s_and_b32 vcc_lo, exec_lo, s12
	s_cbranch_vccz .LBB6_7358
; %bb.7345:                             ;   in Loop: Header=BB6_5278 Depth=2
	v_cmp_gt_i16_sdwa s28, v16, v43 src0_sel:BYTE_1 src1_sel:DWORD
	s_mov_b32 s12, 0
	s_and_saveexec_b32 s29, s28
	s_xor_b32 s28, exec_lo, s29
	s_cbranch_execz .LBB6_8040
; %bb.7346:                             ;   in Loop: Header=BB6_5278 Depth=2
	v_cmp_eq_u16_sdwa s40, v16, v44 src0_sel:BYTE_1 src1_sel:DWORD
	s_mov_b32 s12, -1
	s_and_saveexec_b32 s29, s40
; %bb.7347:                             ;   in Loop: Header=BB6_5278 Depth=2
	s_xor_b32 s12, exec_lo, -1
; %bb.7348:                             ;   in Loop: Header=BB6_5278 Depth=2
	s_or_b32 exec_lo, exec_lo, s29
	s_and_b32 s12, s12, exec_lo
	s_or_saveexec_b32 s28, s28
	v_mov_b32_e32 v120, 0x7f800001
	s_xor_b32 exec_lo, exec_lo, s28
	s_cbranch_execnz .LBB6_8041
.LBB6_7349:                             ;   in Loop: Header=BB6_5278 Depth=2
	s_or_b32 exec_lo, exec_lo, s28
	s_and_saveexec_b32 s28, s12
	s_cbranch_execz .LBB6_7351
.LBB6_7350:                             ;   in Loop: Header=BB6_5278 Depth=2
	v_and_b32_sdwa v2, v45, v16 dst_sel:DWORD dst_unused:UNUSED_PAD src0_sel:DWORD src1_sel:BYTE_1
	v_and_b32_e32 v3, 3, v2
	v_bfe_u32 v121, v2, 2, 5
	v_ffbh_u32_e32 v42, v3
	v_cmp_eq_u32_e32 vcc_lo, 0, v121
	v_min_u32_e32 v42, 32, v42
	v_subrev_nc_u32_e32 v120, 29, v42
	v_sub_nc_u32_e32 v42, 30, v42
	v_lshlrev_b32_e32 v2, v120, v2
	v_lshlrev_b32_e32 v120, 16, v16
	v_cndmask_b32_e32 v42, v121, v42, vcc_lo
	v_and_b32_e32 v2, 3, v2
	v_lshl_add_u32 v42, v42, 23, 0x37800000
	v_cndmask_b32_e32 v2, v3, v2, vcc_lo
	v_and_b32_e32 v3, 0x80000000, v120
	v_lshlrev_b32_e32 v2, 21, v2
	v_or3_b32 v120, v3, v42, v2
.LBB6_7351:                             ;   in Loop: Header=BB6_5278 Depth=2
	s_or_b32 exec_lo, exec_lo, s28
	v_cmp_gt_i16_sdwa s28, v12, v43 src0_sel:BYTE_1 src1_sel:DWORD
	s_mov_b32 s12, 0
	s_and_saveexec_b32 s29, s28
	s_xor_b32 s28, exec_lo, s29
	s_cbranch_execz .LBB6_8042
; %bb.7352:                             ;   in Loop: Header=BB6_5278 Depth=2
	v_cmp_eq_u16_sdwa s40, v12, v44 src0_sel:BYTE_1 src1_sel:DWORD
	s_mov_b32 s12, -1
	s_and_saveexec_b32 s29, s40
; %bb.7353:                             ;   in Loop: Header=BB6_5278 Depth=2
	s_xor_b32 s12, exec_lo, -1
; %bb.7354:                             ;   in Loop: Header=BB6_5278 Depth=2
	s_or_b32 exec_lo, exec_lo, s29
	s_and_b32 s12, s12, exec_lo
	s_or_saveexec_b32 s28, s28
	v_mov_b32_e32 v2, 0x7f800001
	s_xor_b32 exec_lo, exec_lo, s28
	s_cbranch_execnz .LBB6_8043
.LBB6_7355:                             ;   in Loop: Header=BB6_5278 Depth=2
	s_or_b32 exec_lo, exec_lo, s28
	s_and_saveexec_b32 s28, s12
	s_cbranch_execz .LBB6_7357
.LBB6_7356:                             ;   in Loop: Header=BB6_5278 Depth=2
	v_and_b32_sdwa v2, v45, v12 dst_sel:DWORD dst_unused:UNUSED_PAD src0_sel:DWORD src1_sel:BYTE_1
	v_and_b32_e32 v3, 3, v2
	v_bfe_u32 v122, v2, 2, 5
	v_ffbh_u32_e32 v42, v3
	v_cmp_eq_u32_e32 vcc_lo, 0, v122
	v_min_u32_e32 v42, 32, v42
	v_subrev_nc_u32_e32 v121, 29, v42
	v_sub_nc_u32_e32 v42, 30, v42
	v_lshlrev_b32_e32 v2, v121, v2
	v_lshlrev_b32_e32 v121, 16, v12
	v_cndmask_b32_e32 v42, v122, v42, vcc_lo
	v_and_b32_e32 v2, 3, v2
	v_lshl_add_u32 v42, v42, 23, 0x37800000
	v_cndmask_b32_e32 v2, v3, v2, vcc_lo
	v_and_b32_e32 v3, 0x80000000, v121
	v_lshlrev_b32_e32 v2, 21, v2
	v_or3_b32 v2, v3, v42, v2
.LBB6_7357:                             ;   in Loop: Header=BB6_5278 Depth=2
	s_or_b32 exec_lo, exec_lo, s28
	v_max_f32_e32 v2, v2, v2
	v_max_f32_e32 v3, v120, v120
	v_min_f32_e32 v121, v3, v2
.LBB6_7358:                             ;   in Loop: Header=BB6_5278 Depth=2
	v_and_b32_e32 v2, 0x7f800000, v121
	v_mov_b32_e32 v120, 0x8000
	s_mov_b32 s28, exec_lo
	v_cmpx_ne_u32_e32 0x7f800000, v2
	s_cbranch_execz .LBB6_7366
; %bb.7359:                             ;   in Loop: Header=BB6_5278 Depth=2
	v_mov_b32_e32 v120, 0
	s_mov_b32 s29, exec_lo
	v_cmpx_ne_u32_e32 0, v121
	s_cbranch_execz .LBB6_7365
; %bb.7360:                             ;   in Loop: Header=BB6_5278 Depth=2
	v_bfe_u32 v3, v121, 23, 8
	v_and_b32_e32 v2, 0x7fffff, v121
                                        ; implicit-def: $vgpr123
	v_cmp_gt_u32_e64 s12, 0x71, v3
	v_sub_nc_u32_e32 v42, 0x70, v3
	v_cmp_eq_u32_e32 vcc_lo, 0, v3
	v_or_b32_e32 v120, 0x800000, v2
	v_add_nc_u32_e32 v3, 0xffffff91, v3
	v_cndmask_b32_e64 v42, 0, v42, s12
	v_cndmask_b32_e32 v2, v120, v2, vcc_lo
	v_cndmask_b32_e64 v3, v3, 0xffffff92, vcc_lo
	v_cndmask_b32_e64 v42, v42, 0x6f, vcc_lo
	v_lshl_add_u32 v120, 0x200000, v42, -1
	v_lshlrev_b32_e64 v122, v42, 0x100000
	v_and_b32_e32 v120, v120, v2
	v_lshrrev_b32_e32 v2, v42, v2
	v_cmp_eq_u32_e64 s12, v120, v122
	v_add_nc_u32_e32 v120, v42, v3
	v_lshrrev_b32_e32 v3, 23, v2
	v_xor_b32_e32 v122, 1, v3
	v_bfe_u32 v3, v2, 21, 1
	v_add_nc_u32_e32 v3, -1, v3
	v_cndmask_b32_e64 v3, 0, v3, s12
	s_mov_b32 s12, exec_lo
	v_add_nc_u32_e32 v3, v3, v2
	v_and_b32_e32 v3, 0x1fffff, v3
	v_add_nc_u32_e32 v2, v3, v2
	v_cmpx_ne_u32_e64 v120, v122
	s_xor_b32 s12, exec_lo, s12
; %bb.7361:                             ;   in Loop: Header=BB6_5278 Depth=2
	v_cmp_lt_u32_e32 vcc_lo, 0xffffff, v2
	v_sub_nc_u32_e32 v3, v120, v122
	v_cndmask_b32_e64 v42, 0, 1, vcc_lo
	v_add_co_ci_u32_e64 v123, null, 0, v3, vcc_lo
	v_lshrrev_b32_e32 v2, v42, v2
; %bb.7362:                             ;   in Loop: Header=BB6_5278 Depth=2
	s_andn2_saveexec_b32 s12, s12
; %bb.7363:                             ;   in Loop: Header=BB6_5278 Depth=2
	v_bfe_u32 v123, v2, 23, 1
; %bb.7364:                             ;   in Loop: Header=BB6_5278 Depth=2
	s_or_b32 exec_lo, exec_lo, s12
	v_lshrrev_b32_e32 v2, 21, v2
	v_min_i32_e32 v3, 31, v123
	v_cmp_gt_i32_e32 vcc_lo, 32, v123
	v_and_b32_sdwa v42, v121, v44 dst_sel:DWORD dst_unused:UNUSED_PAD src0_sel:BYTE_3 src1_sel:DWORD
	v_lshlrev_b32_e32 v3, 2, v3
	v_cndmask_b32_e32 v2, 3, v2, vcc_lo
	v_and_b32_e32 v3, 0xfc, v3
	v_and_b32_e32 v120, 3, v2
	v_or_b32_e32 v2, v123, v2
	v_or3_b32 v3, v42, v3, v120
	v_cmp_ne_u32_e32 vcc_lo, 0, v2
	v_lshlrev_b32_e32 v3, 8, v3
	v_cndmask_b32_e32 v120, 0, v3, vcc_lo
.LBB6_7365:                             ;   in Loop: Header=BB6_5278 Depth=2
	s_or_b32 exec_lo, exec_lo, s29
.LBB6_7366:                             ;   in Loop: Header=BB6_5278 Depth=2
	s_or_b32 exec_lo, exec_lo, s28
	v_and_b32_sdwa v121, v16, v46 dst_sel:DWORD dst_unused:UNUSED_PAD src0_sel:WORD_1 src1_sel:DWORD
	s_andn2_b32 vcc_lo, exec_lo, s27
	s_mov_b32 s28, -1
                                        ; implicit-def: $vgpr122
	v_cmp_lt_i16_e64 s12, 0x7f, v121
	s_cbranch_vccnz .LBB6_7380
; %bb.7367:                             ;   in Loop: Header=BB6_5278 Depth=2
	s_mov_b32 s28, 0
	s_and_saveexec_b32 s29, s12
	s_xor_b32 s12, exec_lo, s29
	s_cbranch_execz .LBB6_8044
; %bb.7368:                             ;   in Loop: Header=BB6_5278 Depth=2
	s_mov_b32 s28, -1
	s_mov_b32 s29, exec_lo
	v_cmpx_eq_u16_e32 0x80, v121
; %bb.7369:                             ;   in Loop: Header=BB6_5278 Depth=2
	s_xor_b32 s28, exec_lo, -1
; %bb.7370:                             ;   in Loop: Header=BB6_5278 Depth=2
	s_or_b32 exec_lo, exec_lo, s29
	s_and_b32 s28, s28, exec_lo
	s_or_saveexec_b32 s12, s12
	v_mov_b32_e32 v122, 0x7f800001
	s_xor_b32 exec_lo, exec_lo, s12
	s_cbranch_execnz .LBB6_8045
.LBB6_7371:                             ;   in Loop: Header=BB6_5278 Depth=2
	s_or_b32 exec_lo, exec_lo, s12
	s_and_saveexec_b32 s12, s28
	s_cbranch_execz .LBB6_7373
.LBB6_7372:                             ;   in Loop: Header=BB6_5278 Depth=2
	v_bfe_u32 v2, v16, 16, 2
	v_bfe_u32 v3, v16, 18, 5
	v_ffbh_u32_e32 v42, v2
	v_cmp_eq_u32_e32 vcc_lo, 0, v3
	v_min_u32_e32 v42, 32, v42
	v_subrev_nc_u32_e32 v122, 29, v42
	v_sub_nc_u32_e32 v42, 30, v42
	v_lshlrev_b32_sdwa v122, v122, v16 dst_sel:DWORD dst_unused:UNUSED_PAD src0_sel:DWORD src1_sel:WORD_1
	v_cndmask_b32_e32 v3, v3, v42, vcc_lo
	v_lshlrev_b32_sdwa v42, v47, v16 dst_sel:DWORD dst_unused:UNUSED_PAD src0_sel:DWORD src1_sel:WORD_1
	v_and_b32_e32 v122, 3, v122
	v_lshl_add_u32 v3, v3, 23, 0x37800000
	v_and_b32_e32 v42, 0x80000000, v42
	v_cndmask_b32_e32 v2, v2, v122, vcc_lo
	v_lshlrev_b32_e32 v2, 21, v2
	v_or3_b32 v122, v42, v3, v2
.LBB6_7373:                             ;   in Loop: Header=BB6_5278 Depth=2
	s_or_b32 exec_lo, exec_lo, s12
	v_and_b32_sdwa v3, v12, v46 dst_sel:DWORD dst_unused:UNUSED_PAD src0_sel:WORD_1 src1_sel:DWORD
	s_mov_b32 s28, 0
	s_mov_b32 s12, exec_lo
	v_cmpx_lt_i16_e32 0x7f, v3
	s_xor_b32 s12, exec_lo, s12
	s_cbranch_execz .LBB6_8046
; %bb.7374:                             ;   in Loop: Header=BB6_5278 Depth=2
	s_mov_b32 s28, -1
	s_mov_b32 s29, exec_lo
	v_cmpx_eq_u16_e32 0x80, v3
; %bb.7375:                             ;   in Loop: Header=BB6_5278 Depth=2
	s_xor_b32 s28, exec_lo, -1
; %bb.7376:                             ;   in Loop: Header=BB6_5278 Depth=2
	s_or_b32 exec_lo, exec_lo, s29
	s_and_b32 s28, s28, exec_lo
                                        ; implicit-def: $vgpr3
	s_or_saveexec_b32 s12, s12
	v_mov_b32_e32 v2, 0x7f800001
	s_xor_b32 exec_lo, exec_lo, s12
	s_cbranch_execnz .LBB6_8047
.LBB6_7377:                             ;   in Loop: Header=BB6_5278 Depth=2
	s_or_b32 exec_lo, exec_lo, s12
	s_and_saveexec_b32 s12, s28
	s_cbranch_execz .LBB6_7379
.LBB6_7378:                             ;   in Loop: Header=BB6_5278 Depth=2
	v_bfe_u32 v2, v12, 16, 2
	v_bfe_u32 v3, v12, 18, 5
	v_ffbh_u32_e32 v42, v2
	v_cmp_eq_u32_e32 vcc_lo, 0, v3
	v_min_u32_e32 v42, 32, v42
	v_subrev_nc_u32_e32 v123, 29, v42
	v_sub_nc_u32_e32 v42, 30, v42
	v_lshlrev_b32_sdwa v123, v123, v12 dst_sel:DWORD dst_unused:UNUSED_PAD src0_sel:DWORD src1_sel:WORD_1
	v_cndmask_b32_e32 v3, v3, v42, vcc_lo
	v_lshlrev_b32_sdwa v42, v47, v12 dst_sel:DWORD dst_unused:UNUSED_PAD src0_sel:DWORD src1_sel:WORD_1
	v_and_b32_e32 v123, 3, v123
	v_lshl_add_u32 v3, v3, 23, 0x37800000
	v_and_b32_e32 v42, 0x80000000, v42
	v_cndmask_b32_e32 v2, v2, v123, vcc_lo
	v_lshlrev_b32_e32 v2, 21, v2
	v_or3_b32 v2, v42, v3, v2
.LBB6_7379:                             ;   in Loop: Header=BB6_5278 Depth=2
	s_or_b32 exec_lo, exec_lo, s12
	v_max_f32_e32 v2, v2, v2
	v_max_f32_e32 v3, v122, v122
	s_mov_b32 s28, 0
	v_max_f32_e32 v122, v3, v2
.LBB6_7380:                             ;   in Loop: Header=BB6_5278 Depth=2
	s_and_b32 vcc_lo, exec_lo, s28
	s_cbranch_vccz .LBB6_7394
; %bb.7381:                             ;   in Loop: Header=BB6_5278 Depth=2
	s_mov_b32 s12, 0
	s_mov_b32 s28, exec_lo
	v_cmpx_lt_i16_e32 0x7f, v121
	s_xor_b32 s28, exec_lo, s28
	s_cbranch_execz .LBB6_8048
; %bb.7382:                             ;   in Loop: Header=BB6_5278 Depth=2
	s_mov_b32 s12, -1
	s_mov_b32 s29, exec_lo
	v_cmpx_eq_u16_e32 0x80, v121
; %bb.7383:                             ;   in Loop: Header=BB6_5278 Depth=2
	s_xor_b32 s12, exec_lo, -1
; %bb.7384:                             ;   in Loop: Header=BB6_5278 Depth=2
	s_or_b32 exec_lo, exec_lo, s29
	s_and_b32 s12, s12, exec_lo
                                        ; implicit-def: $vgpr121
	s_or_saveexec_b32 s28, s28
	v_mov_b32_e32 v122, 0x7f800001
	s_xor_b32 exec_lo, exec_lo, s28
	s_cbranch_execnz .LBB6_8049
.LBB6_7385:                             ;   in Loop: Header=BB6_5278 Depth=2
	s_or_b32 exec_lo, exec_lo, s28
	s_and_saveexec_b32 s28, s12
	s_cbranch_execz .LBB6_7387
.LBB6_7386:                             ;   in Loop: Header=BB6_5278 Depth=2
	v_bfe_u32 v2, v16, 16, 2
	v_bfe_u32 v121, v16, 18, 5
	v_lshlrev_b32_sdwa v122, v47, v16 dst_sel:DWORD dst_unused:UNUSED_PAD src0_sel:DWORD src1_sel:WORD_1
	v_ffbh_u32_e32 v3, v2
	v_cmp_eq_u32_e32 vcc_lo, 0, v121
	v_min_u32_e32 v3, 32, v3
	v_subrev_nc_u32_e32 v42, 29, v3
	v_sub_nc_u32_e32 v3, 30, v3
	v_lshlrev_b32_sdwa v42, v42, v16 dst_sel:DWORD dst_unused:UNUSED_PAD src0_sel:DWORD src1_sel:WORD_1
	v_cndmask_b32_e32 v3, v121, v3, vcc_lo
	v_and_b32_e32 v42, 3, v42
	v_lshl_add_u32 v3, v3, 23, 0x37800000
	v_cndmask_b32_e32 v2, v2, v42, vcc_lo
	v_and_b32_e32 v42, 0x80000000, v122
	v_lshlrev_b32_e32 v2, 21, v2
	v_or3_b32 v122, v42, v3, v2
.LBB6_7387:                             ;   in Loop: Header=BB6_5278 Depth=2
	s_or_b32 exec_lo, exec_lo, s28
	v_and_b32_sdwa v3, v12, v46 dst_sel:DWORD dst_unused:UNUSED_PAD src0_sel:WORD_1 src1_sel:DWORD
	s_mov_b32 s28, 0
	s_mov_b32 s12, exec_lo
	v_cmpx_lt_i16_e32 0x7f, v3
	s_xor_b32 s12, exec_lo, s12
	s_cbranch_execz .LBB6_8050
; %bb.7388:                             ;   in Loop: Header=BB6_5278 Depth=2
	s_mov_b32 s28, -1
	s_mov_b32 s29, exec_lo
	v_cmpx_eq_u16_e32 0x80, v3
; %bb.7389:                             ;   in Loop: Header=BB6_5278 Depth=2
	s_xor_b32 s28, exec_lo, -1
; %bb.7390:                             ;   in Loop: Header=BB6_5278 Depth=2
	s_or_b32 exec_lo, exec_lo, s29
	s_and_b32 s28, s28, exec_lo
                                        ; implicit-def: $vgpr3
	s_or_saveexec_b32 s12, s12
	v_mov_b32_e32 v2, 0x7f800001
	s_xor_b32 exec_lo, exec_lo, s12
	s_cbranch_execnz .LBB6_8051
.LBB6_7391:                             ;   in Loop: Header=BB6_5278 Depth=2
	s_or_b32 exec_lo, exec_lo, s12
	s_and_saveexec_b32 s12, s28
	s_cbranch_execz .LBB6_7393
.LBB6_7392:                             ;   in Loop: Header=BB6_5278 Depth=2
	v_bfe_u32 v2, v12, 16, 2
	v_bfe_u32 v3, v12, 18, 5
	v_ffbh_u32_e32 v42, v2
	v_cmp_eq_u32_e32 vcc_lo, 0, v3
	v_min_u32_e32 v42, 32, v42
	v_subrev_nc_u32_e32 v121, 29, v42
	v_sub_nc_u32_e32 v42, 30, v42
	v_lshlrev_b32_sdwa v121, v121, v12 dst_sel:DWORD dst_unused:UNUSED_PAD src0_sel:DWORD src1_sel:WORD_1
	v_cndmask_b32_e32 v3, v3, v42, vcc_lo
	v_lshlrev_b32_sdwa v42, v47, v12 dst_sel:DWORD dst_unused:UNUSED_PAD src0_sel:DWORD src1_sel:WORD_1
	v_and_b32_e32 v121, 3, v121
	v_lshl_add_u32 v3, v3, 23, 0x37800000
	v_and_b32_e32 v42, 0x80000000, v42
	v_cndmask_b32_e32 v2, v2, v121, vcc_lo
	v_lshlrev_b32_e32 v2, 21, v2
	v_or3_b32 v2, v42, v3, v2
.LBB6_7393:                             ;   in Loop: Header=BB6_5278 Depth=2
	s_or_b32 exec_lo, exec_lo, s12
	v_max_f32_e32 v2, v2, v2
	v_max_f32_e32 v3, v122, v122
	v_min_f32_e32 v122, v3, v2
.LBB6_7394:                             ;   in Loop: Header=BB6_5278 Depth=2
	v_and_b32_e32 v2, 0x7f800000, v122
	v_mov_b32_e32 v121, 0x80
	s_mov_b32 s28, exec_lo
	v_cmpx_ne_u32_e32 0x7f800000, v2
	s_cbranch_execz .LBB6_7402
; %bb.7395:                             ;   in Loop: Header=BB6_5278 Depth=2
	v_mov_b32_e32 v121, 0
	s_mov_b32 s29, exec_lo
	v_cmpx_ne_u32_e32 0, v122
	s_cbranch_execz .LBB6_7401
; %bb.7396:                             ;   in Loop: Header=BB6_5278 Depth=2
	v_bfe_u32 v3, v122, 23, 8
	v_and_b32_e32 v2, 0x7fffff, v122
                                        ; implicit-def: $vgpr124
	v_cmp_gt_u32_e64 s12, 0x71, v3
	v_sub_nc_u32_e32 v42, 0x70, v3
	v_cmp_eq_u32_e32 vcc_lo, 0, v3
	v_or_b32_e32 v121, 0x800000, v2
	v_add_nc_u32_e32 v3, 0xffffff91, v3
	v_cndmask_b32_e64 v42, 0, v42, s12
	v_cndmask_b32_e32 v2, v121, v2, vcc_lo
	v_cndmask_b32_e64 v3, v3, 0xffffff92, vcc_lo
	v_cndmask_b32_e64 v42, v42, 0x6f, vcc_lo
	v_lshl_add_u32 v121, 0x200000, v42, -1
	v_lshlrev_b32_e64 v123, v42, 0x100000
	v_and_b32_e32 v121, v121, v2
	v_lshrrev_b32_e32 v2, v42, v2
	v_cmp_eq_u32_e64 s12, v121, v123
	v_add_nc_u32_e32 v121, v42, v3
	v_lshrrev_b32_e32 v3, 23, v2
	v_xor_b32_e32 v123, 1, v3
	v_bfe_u32 v3, v2, 21, 1
	v_add_nc_u32_e32 v3, -1, v3
	v_cndmask_b32_e64 v3, 0, v3, s12
	s_mov_b32 s12, exec_lo
	v_add_nc_u32_e32 v3, v3, v2
	v_and_b32_e32 v3, 0x1fffff, v3
	v_add_nc_u32_e32 v2, v3, v2
	v_cmpx_ne_u32_e64 v121, v123
	s_xor_b32 s12, exec_lo, s12
; %bb.7397:                             ;   in Loop: Header=BB6_5278 Depth=2
	v_cmp_lt_u32_e32 vcc_lo, 0xffffff, v2
	v_sub_nc_u32_e32 v3, v121, v123
	v_cndmask_b32_e64 v42, 0, 1, vcc_lo
	v_add_co_ci_u32_e64 v124, null, 0, v3, vcc_lo
	v_lshrrev_b32_e32 v2, v42, v2
; %bb.7398:                             ;   in Loop: Header=BB6_5278 Depth=2
	s_andn2_saveexec_b32 s12, s12
; %bb.7399:                             ;   in Loop: Header=BB6_5278 Depth=2
	v_bfe_u32 v124, v2, 23, 1
; %bb.7400:                             ;   in Loop: Header=BB6_5278 Depth=2
	s_or_b32 exec_lo, exec_lo, s12
	v_lshrrev_b32_e32 v2, 21, v2
	v_min_i32_e32 v3, 31, v124
	v_cmp_gt_i32_e32 vcc_lo, 32, v124
	v_and_b32_sdwa v42, v122, v44 dst_sel:DWORD dst_unused:UNUSED_PAD src0_sel:BYTE_3 src1_sel:DWORD
	v_lshlrev_b32_e32 v3, 2, v3
	v_cndmask_b32_e32 v2, 3, v2, vcc_lo
	v_and_b32_e32 v3, 0xfc, v3
	v_and_b32_e32 v121, 3, v2
	v_or_b32_e32 v2, v124, v2
	v_or3_b32 v3, v3, v42, v121
	v_cmp_ne_u32_e32 vcc_lo, 0, v2
	v_cndmask_b32_e32 v121, 0, v3, vcc_lo
.LBB6_7401:                             ;   in Loop: Header=BB6_5278 Depth=2
	s_or_b32 exec_lo, exec_lo, s29
.LBB6_7402:                             ;   in Loop: Header=BB6_5278 Depth=2
	s_or_b32 exec_lo, exec_lo, s28
	v_cmp_gt_i16_sdwa s28, v16, v43 src0_sel:BYTE_3 src1_sel:DWORD
	s_andn2_b32 vcc_lo, exec_lo, s27
	s_mov_b32 s12, -1
                                        ; implicit-def: $vgpr122
	s_cbranch_vccnz .LBB6_7416
; %bb.7403:                             ;   in Loop: Header=BB6_5278 Depth=2
	s_mov_b32 s12, 0
	s_and_saveexec_b32 s29, s28
	s_xor_b32 s28, exec_lo, s29
	s_cbranch_execz .LBB6_8052
; %bb.7404:                             ;   in Loop: Header=BB6_5278 Depth=2
	v_cmp_eq_u16_sdwa s40, v16, v44 src0_sel:BYTE_3 src1_sel:DWORD
	s_mov_b32 s12, -1
	s_and_saveexec_b32 s29, s40
; %bb.7405:                             ;   in Loop: Header=BB6_5278 Depth=2
	s_xor_b32 s12, exec_lo, -1
; %bb.7406:                             ;   in Loop: Header=BB6_5278 Depth=2
	s_or_b32 exec_lo, exec_lo, s29
	s_and_b32 s12, s12, exec_lo
	s_or_saveexec_b32 s28, s28
	v_mov_b32_e32 v122, 0x7f800001
	s_xor_b32 exec_lo, exec_lo, s28
	s_cbranch_execnz .LBB6_8053
.LBB6_7407:                             ;   in Loop: Header=BB6_5278 Depth=2
	s_or_b32 exec_lo, exec_lo, s28
	s_and_saveexec_b32 s28, s12
	s_cbranch_execz .LBB6_7409
.LBB6_7408:                             ;   in Loop: Header=BB6_5278 Depth=2
	v_bfe_u32 v2, v16, 24, 2
	v_bfe_u32 v122, v16, 26, 5
	v_ffbh_u32_e32 v3, v2
	v_cmp_eq_u32_e32 vcc_lo, 0, v122
	v_min_u32_e32 v3, 32, v3
	v_subrev_nc_u32_e32 v42, 29, v3
	v_sub_nc_u32_e32 v3, 30, v3
	v_lshlrev_b32_sdwa v42, v42, v16 dst_sel:DWORD dst_unused:UNUSED_PAD src0_sel:DWORD src1_sel:BYTE_3
	v_cndmask_b32_e32 v3, v122, v3, vcc_lo
	v_and_b32_e32 v42, 3, v42
	v_lshl_add_u32 v3, v3, 23, 0x37800000
	v_cndmask_b32_e32 v2, v2, v42, vcc_lo
	v_and_b32_e32 v42, 0x80000000, v16
	v_lshlrev_b32_e32 v2, 21, v2
	v_or3_b32 v122, v42, v3, v2
.LBB6_7409:                             ;   in Loop: Header=BB6_5278 Depth=2
	s_or_b32 exec_lo, exec_lo, s28
	v_cmp_gt_i16_sdwa s28, v12, v43 src0_sel:BYTE_3 src1_sel:DWORD
	s_mov_b32 s12, 0
	s_and_saveexec_b32 s29, s28
	s_xor_b32 s28, exec_lo, s29
	s_cbranch_execz .LBB6_8054
; %bb.7410:                             ;   in Loop: Header=BB6_5278 Depth=2
	v_cmp_eq_u16_sdwa s40, v12, v44 src0_sel:BYTE_3 src1_sel:DWORD
	s_mov_b32 s12, -1
	s_and_saveexec_b32 s29, s40
; %bb.7411:                             ;   in Loop: Header=BB6_5278 Depth=2
	s_xor_b32 s12, exec_lo, -1
; %bb.7412:                             ;   in Loop: Header=BB6_5278 Depth=2
	s_or_b32 exec_lo, exec_lo, s29
	s_and_b32 s12, s12, exec_lo
	s_or_saveexec_b32 s28, s28
	v_mov_b32_e32 v2, 0x7f800001
	s_xor_b32 exec_lo, exec_lo, s28
	s_cbranch_execnz .LBB6_8055
.LBB6_7413:                             ;   in Loop: Header=BB6_5278 Depth=2
	s_or_b32 exec_lo, exec_lo, s28
	s_and_saveexec_b32 s28, s12
	s_cbranch_execz .LBB6_7415
.LBB6_7414:                             ;   in Loop: Header=BB6_5278 Depth=2
	v_bfe_u32 v2, v12, 24, 2
	v_bfe_u32 v123, v12, 26, 5
	v_ffbh_u32_e32 v3, v2
	v_cmp_eq_u32_e32 vcc_lo, 0, v123
	v_min_u32_e32 v3, 32, v3
	v_subrev_nc_u32_e32 v42, 29, v3
	v_sub_nc_u32_e32 v3, 30, v3
	v_lshlrev_b32_sdwa v42, v42, v12 dst_sel:DWORD dst_unused:UNUSED_PAD src0_sel:DWORD src1_sel:BYTE_3
	v_cndmask_b32_e32 v3, v123, v3, vcc_lo
	v_and_b32_e32 v42, 3, v42
	v_lshl_add_u32 v3, v3, 23, 0x37800000
	v_cndmask_b32_e32 v2, v2, v42, vcc_lo
	v_and_b32_e32 v42, 0x80000000, v12
	v_lshlrev_b32_e32 v2, 21, v2
	v_or3_b32 v2, v42, v3, v2
.LBB6_7415:                             ;   in Loop: Header=BB6_5278 Depth=2
	s_or_b32 exec_lo, exec_lo, s28
	v_max_f32_e32 v2, v2, v2
	v_max_f32_e32 v3, v122, v122
	s_mov_b32 s12, 0
	v_max_f32_e32 v122, v3, v2
.LBB6_7416:                             ;   in Loop: Header=BB6_5278 Depth=2
	s_and_b32 vcc_lo, exec_lo, s12
	s_cbranch_vccz .LBB6_7430
; %bb.7417:                             ;   in Loop: Header=BB6_5278 Depth=2
	v_cmp_gt_i16_sdwa s28, v16, v43 src0_sel:BYTE_3 src1_sel:DWORD
	s_mov_b32 s12, 0
	s_and_saveexec_b32 s29, s28
	s_xor_b32 s28, exec_lo, s29
	s_cbranch_execz .LBB6_8056
; %bb.7418:                             ;   in Loop: Header=BB6_5278 Depth=2
	v_cmp_eq_u16_sdwa s40, v16, v44 src0_sel:BYTE_3 src1_sel:DWORD
	s_mov_b32 s12, -1
	s_and_saveexec_b32 s29, s40
; %bb.7419:                             ;   in Loop: Header=BB6_5278 Depth=2
	s_xor_b32 s12, exec_lo, -1
; %bb.7420:                             ;   in Loop: Header=BB6_5278 Depth=2
	s_or_b32 exec_lo, exec_lo, s29
	s_and_b32 s12, s12, exec_lo
	s_or_saveexec_b32 s28, s28
	v_mov_b32_e32 v122, 0x7f800001
	s_xor_b32 exec_lo, exec_lo, s28
	s_cbranch_execnz .LBB6_8057
.LBB6_7421:                             ;   in Loop: Header=BB6_5278 Depth=2
	s_or_b32 exec_lo, exec_lo, s28
	s_and_saveexec_b32 s28, s12
	s_cbranch_execz .LBB6_7423
.LBB6_7422:                             ;   in Loop: Header=BB6_5278 Depth=2
	v_bfe_u32 v2, v16, 24, 2
	v_bfe_u32 v122, v16, 26, 5
	v_ffbh_u32_e32 v3, v2
	v_cmp_eq_u32_e32 vcc_lo, 0, v122
	v_min_u32_e32 v3, 32, v3
	v_subrev_nc_u32_e32 v42, 29, v3
	v_sub_nc_u32_e32 v3, 30, v3
	v_lshlrev_b32_sdwa v42, v42, v16 dst_sel:DWORD dst_unused:UNUSED_PAD src0_sel:DWORD src1_sel:BYTE_3
	v_cndmask_b32_e32 v3, v122, v3, vcc_lo
	v_and_b32_e32 v16, 0x80000000, v16
	v_and_b32_e32 v42, 3, v42
	v_lshl_add_u32 v3, v3, 23, 0x37800000
	v_cndmask_b32_e32 v2, v2, v42, vcc_lo
	v_lshlrev_b32_e32 v2, 21, v2
	v_or3_b32 v122, v16, v3, v2
.LBB6_7423:                             ;   in Loop: Header=BB6_5278 Depth=2
	s_or_b32 exec_lo, exec_lo, s28
	v_cmp_gt_i16_sdwa s28, v12, v43 src0_sel:BYTE_3 src1_sel:DWORD
	s_mov_b32 s12, 0
	s_and_saveexec_b32 s29, s28
	s_xor_b32 s28, exec_lo, s29
	s_cbranch_execz .LBB6_8058
; %bb.7424:                             ;   in Loop: Header=BB6_5278 Depth=2
	v_cmp_eq_u16_sdwa s40, v12, v44 src0_sel:BYTE_3 src1_sel:DWORD
	s_mov_b32 s12, -1
	s_and_saveexec_b32 s29, s40
; %bb.7425:                             ;   in Loop: Header=BB6_5278 Depth=2
	s_xor_b32 s12, exec_lo, -1
; %bb.7426:                             ;   in Loop: Header=BB6_5278 Depth=2
	s_or_b32 exec_lo, exec_lo, s29
	s_and_b32 s12, s12, exec_lo
	s_or_saveexec_b32 s28, s28
	v_mov_b32_e32 v2, 0x7f800001
	s_xor_b32 exec_lo, exec_lo, s28
	s_cbranch_execnz .LBB6_8059
.LBB6_7427:                             ;   in Loop: Header=BB6_5278 Depth=2
	s_or_b32 exec_lo, exec_lo, s28
	s_and_saveexec_b32 s28, s12
	s_cbranch_execz .LBB6_7429
.LBB6_7428:                             ;   in Loop: Header=BB6_5278 Depth=2
	v_bfe_u32 v2, v12, 24, 2
	v_bfe_u32 v42, v12, 26, 5
	v_ffbh_u32_e32 v3, v2
	v_cmp_eq_u32_e32 vcc_lo, 0, v42
	v_min_u32_e32 v3, 32, v3
	v_subrev_nc_u32_e32 v16, 29, v3
	v_sub_nc_u32_e32 v3, 30, v3
	v_lshlrev_b32_sdwa v16, v16, v12 dst_sel:DWORD dst_unused:UNUSED_PAD src0_sel:DWORD src1_sel:BYTE_3
	v_cndmask_b32_e32 v3, v42, v3, vcc_lo
	v_and_b32_e32 v12, 0x80000000, v12
	v_and_b32_e32 v16, 3, v16
	v_lshl_add_u32 v3, v3, 23, 0x37800000
	v_cndmask_b32_e32 v2, v2, v16, vcc_lo
	v_lshlrev_b32_e32 v2, 21, v2
	v_or3_b32 v2, v12, v3, v2
.LBB6_7429:                             ;   in Loop: Header=BB6_5278 Depth=2
	s_or_b32 exec_lo, exec_lo, s28
	v_max_f32_e32 v2, v2, v2
	v_max_f32_e32 v3, v122, v122
	v_min_f32_e32 v122, v3, v2
.LBB6_7430:                             ;   in Loop: Header=BB6_5278 Depth=2
	v_and_b32_e32 v2, 0x7f800000, v122
	v_mov_b32_e32 v12, 0x8000
	s_mov_b32 s28, exec_lo
	v_cmpx_ne_u32_e32 0x7f800000, v2
	s_cbranch_execz .LBB6_7438
; %bb.7431:                             ;   in Loop: Header=BB6_5278 Depth=2
	v_mov_b32_e32 v12, 0
	s_mov_b32 s29, exec_lo
	v_cmpx_ne_u32_e32 0, v122
	s_cbranch_execz .LBB6_7437
; %bb.7432:                             ;   in Loop: Header=BB6_5278 Depth=2
	v_bfe_u32 v3, v122, 23, 8
	v_and_b32_e32 v2, 0x7fffff, v122
                                        ; implicit-def: $vgpr123
	v_cmp_gt_u32_e64 s12, 0x71, v3
	v_sub_nc_u32_e32 v12, 0x70, v3
	v_cmp_eq_u32_e32 vcc_lo, 0, v3
	v_or_b32_e32 v16, 0x800000, v2
	v_add_nc_u32_e32 v3, 0xffffff91, v3
	v_cndmask_b32_e64 v12, 0, v12, s12
	v_cndmask_b32_e32 v2, v16, v2, vcc_lo
	v_cndmask_b32_e64 v3, v3, 0xffffff92, vcc_lo
	v_cndmask_b32_e64 v12, v12, 0x6f, vcc_lo
	v_lshl_add_u32 v16, 0x200000, v12, -1
	v_lshlrev_b32_e64 v42, v12, 0x100000
	v_and_b32_e32 v16, v16, v2
	v_lshrrev_b32_e32 v2, v12, v2
	v_add_nc_u32_e32 v12, v12, v3
	v_cmp_eq_u32_e64 s12, v16, v42
	v_lshrrev_b32_e32 v3, 23, v2
	v_xor_b32_e32 v16, 1, v3
	v_bfe_u32 v3, v2, 21, 1
	v_add_nc_u32_e32 v3, -1, v3
	v_cndmask_b32_e64 v3, 0, v3, s12
	s_mov_b32 s12, exec_lo
	v_add_nc_u32_e32 v3, v3, v2
	v_and_b32_e32 v3, 0x1fffff, v3
	v_add_nc_u32_e32 v2, v3, v2
	v_cmpx_ne_u32_e64 v12, v16
	s_xor_b32 s12, exec_lo, s12
; %bb.7433:                             ;   in Loop: Header=BB6_5278 Depth=2
	v_cmp_lt_u32_e32 vcc_lo, 0xffffff, v2
	v_sub_nc_u32_e32 v3, v12, v16
	v_cndmask_b32_e64 v12, 0, 1, vcc_lo
	v_add_co_ci_u32_e64 v123, null, 0, v3, vcc_lo
	v_lshrrev_b32_e32 v2, v12, v2
; %bb.7434:                             ;   in Loop: Header=BB6_5278 Depth=2
	s_andn2_saveexec_b32 s12, s12
; %bb.7435:                             ;   in Loop: Header=BB6_5278 Depth=2
	v_bfe_u32 v123, v2, 23, 1
; %bb.7436:                             ;   in Loop: Header=BB6_5278 Depth=2
	s_or_b32 exec_lo, exec_lo, s12
	v_lshrrev_b32_e32 v2, 21, v2
	v_min_i32_e32 v3, 31, v123
	v_cmp_gt_i32_e32 vcc_lo, 32, v123
	v_and_b32_sdwa v12, v122, v44 dst_sel:DWORD dst_unused:UNUSED_PAD src0_sel:BYTE_3 src1_sel:DWORD
	v_lshlrev_b32_e32 v3, 2, v3
	v_cndmask_b32_e32 v2, 3, v2, vcc_lo
	v_and_b32_e32 v3, 0xfc, v3
	v_and_b32_e32 v16, 3, v2
	v_or_b32_e32 v2, v123, v2
	v_or3_b32 v3, v12, v3, v16
	v_cmp_ne_u32_e32 vcc_lo, 0, v2
	v_lshlrev_b32_e32 v3, 8, v3
	v_cndmask_b32_e32 v12, 0, v3, vcc_lo
.LBB6_7437:                             ;   in Loop: Header=BB6_5278 Depth=2
	s_or_b32 exec_lo, exec_lo, s29
.LBB6_7438:                             ;   in Loop: Header=BB6_5278 Depth=2
	s_or_b32 exec_lo, exec_lo, s28
	v_cmp_gt_i16_sdwa s28, v17, v43 src0_sel:BYTE_0 src1_sel:DWORD
	s_andn2_b32 vcc_lo, exec_lo, s27
	s_mov_b32 s12, -1
                                        ; implicit-def: $vgpr122
	s_cbranch_vccnz .LBB6_7452
; %bb.7439:                             ;   in Loop: Header=BB6_5278 Depth=2
	s_mov_b32 s12, 0
	s_and_saveexec_b32 s29, s28
	s_xor_b32 s28, exec_lo, s29
	s_cbranch_execz .LBB6_8060
; %bb.7440:                             ;   in Loop: Header=BB6_5278 Depth=2
	v_cmp_eq_u16_sdwa s40, v17, v44 src0_sel:BYTE_0 src1_sel:DWORD
	s_mov_b32 s12, -1
	s_and_saveexec_b32 s29, s40
; %bb.7441:                             ;   in Loop: Header=BB6_5278 Depth=2
	s_xor_b32 s12, exec_lo, -1
; %bb.7442:                             ;   in Loop: Header=BB6_5278 Depth=2
	s_or_b32 exec_lo, exec_lo, s29
	s_and_b32 s12, s12, exec_lo
	s_or_saveexec_b32 s28, s28
	v_mov_b32_e32 v16, 0x7f800001
	s_xor_b32 exec_lo, exec_lo, s28
	s_cbranch_execnz .LBB6_8061
.LBB6_7443:                             ;   in Loop: Header=BB6_5278 Depth=2
	s_or_b32 exec_lo, exec_lo, s28
	s_and_saveexec_b32 s28, s12
	s_cbranch_execz .LBB6_7445
.LBB6_7444:                             ;   in Loop: Header=BB6_5278 Depth=2
	v_and_b32_e32 v2, 3, v17
	v_bfe_u32 v42, v17, 2, 5
	v_lshlrev_b32_e32 v122, 24, v17
	v_ffbh_u32_e32 v3, v2
	v_cmp_eq_u32_e32 vcc_lo, 0, v42
	v_min_u32_e32 v3, 32, v3
	v_subrev_nc_u32_e32 v16, 29, v3
	v_sub_nc_u32_e32 v3, 30, v3
	v_lshlrev_b32_e32 v16, v16, v17
	v_cndmask_b32_e32 v3, v42, v3, vcc_lo
	v_and_b32_e32 v16, 3, v16
	v_lshl_add_u32 v3, v3, 23, 0x37800000
	v_cndmask_b32_e32 v2, v2, v16, vcc_lo
	v_and_b32_e32 v16, 0x80000000, v122
	v_lshlrev_b32_e32 v2, 21, v2
	v_or3_b32 v16, v16, v3, v2
.LBB6_7445:                             ;   in Loop: Header=BB6_5278 Depth=2
	s_or_b32 exec_lo, exec_lo, s28
	v_cmp_gt_i16_sdwa s12, v13, v43 src0_sel:BYTE_0 src1_sel:DWORD
	s_mov_b32 s28, 0
	s_and_saveexec_b32 s29, s12
	s_xor_b32 s12, exec_lo, s29
	s_cbranch_execz .LBB6_8062
; %bb.7446:                             ;   in Loop: Header=BB6_5278 Depth=2
	v_cmp_eq_u16_sdwa s40, v13, v44 src0_sel:BYTE_0 src1_sel:DWORD
	s_mov_b32 s28, -1
	s_and_saveexec_b32 s29, s40
; %bb.7447:                             ;   in Loop: Header=BB6_5278 Depth=2
	s_xor_b32 s28, exec_lo, -1
; %bb.7448:                             ;   in Loop: Header=BB6_5278 Depth=2
	s_or_b32 exec_lo, exec_lo, s29
	s_and_b32 s28, s28, exec_lo
	s_or_saveexec_b32 s12, s12
	v_mov_b32_e32 v2, 0x7f800001
	s_xor_b32 exec_lo, exec_lo, s12
	s_cbranch_execnz .LBB6_8063
.LBB6_7449:                             ;   in Loop: Header=BB6_5278 Depth=2
	s_or_b32 exec_lo, exec_lo, s12
	s_and_saveexec_b32 s12, s28
	s_cbranch_execz .LBB6_7451
.LBB6_7450:                             ;   in Loop: Header=BB6_5278 Depth=2
	v_and_b32_e32 v2, 3, v13
	v_bfe_u32 v3, v13, 2, 5
	v_ffbh_u32_e32 v42, v2
	v_cmp_eq_u32_e32 vcc_lo, 0, v3
	v_min_u32_e32 v42, 32, v42
	v_subrev_nc_u32_e32 v122, 29, v42
	v_sub_nc_u32_e32 v42, 30, v42
	v_lshlrev_b32_e32 v122, v122, v13
	v_cndmask_b32_e32 v3, v3, v42, vcc_lo
	v_lshlrev_b32_e32 v42, 24, v13
	v_and_b32_e32 v122, 3, v122
	v_lshl_add_u32 v3, v3, 23, 0x37800000
	v_and_b32_e32 v42, 0x80000000, v42
	v_cndmask_b32_e32 v2, v2, v122, vcc_lo
	v_lshlrev_b32_e32 v2, 21, v2
	v_or3_b32 v2, v42, v3, v2
.LBB6_7451:                             ;   in Loop: Header=BB6_5278 Depth=2
	s_or_b32 exec_lo, exec_lo, s12
	v_max_f32_e32 v2, v2, v2
	v_max_f32_e32 v3, v16, v16
	s_mov_b32 s12, 0
	v_max_f32_e32 v122, v3, v2
.LBB6_7452:                             ;   in Loop: Header=BB6_5278 Depth=2
	s_and_b32 vcc_lo, exec_lo, s12
	s_cbranch_vccz .LBB6_7466
; %bb.7453:                             ;   in Loop: Header=BB6_5278 Depth=2
	v_cmp_gt_i16_sdwa s28, v17, v43 src0_sel:BYTE_0 src1_sel:DWORD
	s_mov_b32 s12, 0
	s_and_saveexec_b32 s29, s28
	s_xor_b32 s28, exec_lo, s29
	s_cbranch_execz .LBB6_8064
; %bb.7454:                             ;   in Loop: Header=BB6_5278 Depth=2
	v_cmp_eq_u16_sdwa s40, v17, v44 src0_sel:BYTE_0 src1_sel:DWORD
	s_mov_b32 s12, -1
	s_and_saveexec_b32 s29, s40
; %bb.7455:                             ;   in Loop: Header=BB6_5278 Depth=2
	s_xor_b32 s12, exec_lo, -1
; %bb.7456:                             ;   in Loop: Header=BB6_5278 Depth=2
	s_or_b32 exec_lo, exec_lo, s29
	s_and_b32 s12, s12, exec_lo
	s_or_saveexec_b32 s28, s28
	v_mov_b32_e32 v16, 0x7f800001
	s_xor_b32 exec_lo, exec_lo, s28
	s_cbranch_execnz .LBB6_8065
.LBB6_7457:                             ;   in Loop: Header=BB6_5278 Depth=2
	s_or_b32 exec_lo, exec_lo, s28
	s_and_saveexec_b32 s28, s12
	s_cbranch_execz .LBB6_7459
.LBB6_7458:                             ;   in Loop: Header=BB6_5278 Depth=2
	v_and_b32_e32 v2, 3, v17
	v_bfe_u32 v42, v17, 2, 5
	v_lshlrev_b32_e32 v122, 24, v17
	v_ffbh_u32_e32 v3, v2
	v_cmp_eq_u32_e32 vcc_lo, 0, v42
	v_min_u32_e32 v3, 32, v3
	v_subrev_nc_u32_e32 v16, 29, v3
	v_sub_nc_u32_e32 v3, 30, v3
	v_lshlrev_b32_e32 v16, v16, v17
	v_cndmask_b32_e32 v3, v42, v3, vcc_lo
	v_and_b32_e32 v16, 3, v16
	v_lshl_add_u32 v3, v3, 23, 0x37800000
	v_cndmask_b32_e32 v2, v2, v16, vcc_lo
	v_and_b32_e32 v16, 0x80000000, v122
	v_lshlrev_b32_e32 v2, 21, v2
	v_or3_b32 v16, v16, v3, v2
.LBB6_7459:                             ;   in Loop: Header=BB6_5278 Depth=2
	s_or_b32 exec_lo, exec_lo, s28
	v_cmp_gt_i16_sdwa s12, v13, v43 src0_sel:BYTE_0 src1_sel:DWORD
	s_mov_b32 s28, 0
	s_and_saveexec_b32 s29, s12
	s_xor_b32 s12, exec_lo, s29
	s_cbranch_execz .LBB6_8066
; %bb.7460:                             ;   in Loop: Header=BB6_5278 Depth=2
	v_cmp_eq_u16_sdwa s40, v13, v44 src0_sel:BYTE_0 src1_sel:DWORD
	s_mov_b32 s28, -1
	s_and_saveexec_b32 s29, s40
; %bb.7461:                             ;   in Loop: Header=BB6_5278 Depth=2
	s_xor_b32 s28, exec_lo, -1
; %bb.7462:                             ;   in Loop: Header=BB6_5278 Depth=2
	s_or_b32 exec_lo, exec_lo, s29
	s_and_b32 s28, s28, exec_lo
	s_or_saveexec_b32 s12, s12
	v_mov_b32_e32 v2, 0x7f800001
	s_xor_b32 exec_lo, exec_lo, s12
	s_cbranch_execnz .LBB6_8067
.LBB6_7463:                             ;   in Loop: Header=BB6_5278 Depth=2
	s_or_b32 exec_lo, exec_lo, s12
	s_and_saveexec_b32 s12, s28
	s_cbranch_execz .LBB6_7465
.LBB6_7464:                             ;   in Loop: Header=BB6_5278 Depth=2
	v_and_b32_e32 v2, 3, v13
	v_bfe_u32 v3, v13, 2, 5
	v_ffbh_u32_e32 v42, v2
	v_cmp_eq_u32_e32 vcc_lo, 0, v3
	v_min_u32_e32 v42, 32, v42
	v_subrev_nc_u32_e32 v122, 29, v42
	v_sub_nc_u32_e32 v42, 30, v42
	v_lshlrev_b32_e32 v122, v122, v13
	v_cndmask_b32_e32 v3, v3, v42, vcc_lo
	v_lshlrev_b32_e32 v42, 24, v13
	v_and_b32_e32 v122, 3, v122
	v_lshl_add_u32 v3, v3, 23, 0x37800000
	v_and_b32_e32 v42, 0x80000000, v42
	v_cndmask_b32_e32 v2, v2, v122, vcc_lo
	v_lshlrev_b32_e32 v2, 21, v2
	v_or3_b32 v2, v42, v3, v2
.LBB6_7465:                             ;   in Loop: Header=BB6_5278 Depth=2
	s_or_b32 exec_lo, exec_lo, s12
	v_max_f32_e32 v2, v2, v2
	v_max_f32_e32 v3, v16, v16
	v_min_f32_e32 v122, v3, v2
.LBB6_7466:                             ;   in Loop: Header=BB6_5278 Depth=2
	v_and_b32_e32 v2, 0x7f800000, v122
	v_mov_b32_e32 v16, 0x80
	s_mov_b32 s28, exec_lo
	v_cmpx_ne_u32_e32 0x7f800000, v2
	s_cbranch_execz .LBB6_7474
; %bb.7467:                             ;   in Loop: Header=BB6_5278 Depth=2
	v_mov_b32_e32 v16, 0
	s_mov_b32 s29, exec_lo
	v_cmpx_ne_u32_e32 0, v122
	s_cbranch_execz .LBB6_7473
; %bb.7468:                             ;   in Loop: Header=BB6_5278 Depth=2
	v_bfe_u32 v3, v122, 23, 8
	v_and_b32_e32 v2, 0x7fffff, v122
                                        ; implicit-def: $vgpr124
	v_cmp_gt_u32_e64 s12, 0x71, v3
	v_sub_nc_u32_e32 v16, 0x70, v3
	v_cmp_eq_u32_e32 vcc_lo, 0, v3
	v_or_b32_e32 v42, 0x800000, v2
	v_add_nc_u32_e32 v3, 0xffffff91, v3
	v_cndmask_b32_e64 v16, 0, v16, s12
	v_cndmask_b32_e32 v2, v42, v2, vcc_lo
	v_cndmask_b32_e64 v3, v3, 0xffffff92, vcc_lo
	v_cndmask_b32_e64 v16, v16, 0x6f, vcc_lo
	v_lshl_add_u32 v42, 0x200000, v16, -1
	v_lshlrev_b32_e64 v123, v16, 0x100000
	v_and_b32_e32 v42, v42, v2
	v_lshrrev_b32_e32 v2, v16, v2
	v_add_nc_u32_e32 v16, v16, v3
	v_cmp_eq_u32_e64 s12, v42, v123
	v_lshrrev_b32_e32 v3, 23, v2
	v_xor_b32_e32 v123, 1, v3
	v_bfe_u32 v3, v2, 21, 1
	v_add_nc_u32_e32 v3, -1, v3
	v_cndmask_b32_e64 v3, 0, v3, s12
	s_mov_b32 s12, exec_lo
	v_add_nc_u32_e32 v3, v3, v2
	v_and_b32_e32 v3, 0x1fffff, v3
	v_add_nc_u32_e32 v2, v3, v2
	v_cmpx_ne_u32_e64 v16, v123
	s_xor_b32 s12, exec_lo, s12
; %bb.7469:                             ;   in Loop: Header=BB6_5278 Depth=2
	v_cmp_lt_u32_e32 vcc_lo, 0xffffff, v2
	v_sub_nc_u32_e32 v3, v16, v123
	v_cndmask_b32_e64 v16, 0, 1, vcc_lo
	v_add_co_ci_u32_e64 v124, null, 0, v3, vcc_lo
	v_lshrrev_b32_e32 v2, v16, v2
; %bb.7470:                             ;   in Loop: Header=BB6_5278 Depth=2
	s_andn2_saveexec_b32 s12, s12
; %bb.7471:                             ;   in Loop: Header=BB6_5278 Depth=2
	v_bfe_u32 v124, v2, 23, 1
; %bb.7472:                             ;   in Loop: Header=BB6_5278 Depth=2
	s_or_b32 exec_lo, exec_lo, s12
	v_lshrrev_b32_e32 v2, 21, v2
	v_min_i32_e32 v3, 31, v124
	v_cmp_gt_i32_e32 vcc_lo, 32, v124
	v_and_b32_sdwa v16, v122, v44 dst_sel:DWORD dst_unused:UNUSED_PAD src0_sel:BYTE_3 src1_sel:DWORD
	v_lshlrev_b32_e32 v3, 2, v3
	v_cndmask_b32_e32 v2, 3, v2, vcc_lo
	v_and_b32_e32 v3, 0xfc, v3
	v_and_b32_e32 v42, 3, v2
	v_or_b32_e32 v2, v124, v2
	v_or3_b32 v3, v3, v16, v42
	v_cmp_ne_u32_e32 vcc_lo, 0, v2
	v_cndmask_b32_e32 v16, 0, v3, vcc_lo
.LBB6_7473:                             ;   in Loop: Header=BB6_5278 Depth=2
	s_or_b32 exec_lo, exec_lo, s29
.LBB6_7474:                             ;   in Loop: Header=BB6_5278 Depth=2
	s_or_b32 exec_lo, exec_lo, s28
	v_cmp_gt_i16_sdwa s28, v17, v43 src0_sel:BYTE_1 src1_sel:DWORD
	s_andn2_b32 vcc_lo, exec_lo, s27
	s_mov_b32 s12, -1
                                        ; implicit-def: $vgpr123
	s_cbranch_vccnz .LBB6_7488
; %bb.7475:                             ;   in Loop: Header=BB6_5278 Depth=2
	s_mov_b32 s12, 0
	s_and_saveexec_b32 s29, s28
	s_xor_b32 s28, exec_lo, s29
	s_cbranch_execz .LBB6_8068
; %bb.7476:                             ;   in Loop: Header=BB6_5278 Depth=2
	v_cmp_eq_u16_sdwa s40, v17, v44 src0_sel:BYTE_1 src1_sel:DWORD
	s_mov_b32 s12, -1
	s_and_saveexec_b32 s29, s40
; %bb.7477:                             ;   in Loop: Header=BB6_5278 Depth=2
	s_xor_b32 s12, exec_lo, -1
; %bb.7478:                             ;   in Loop: Header=BB6_5278 Depth=2
	s_or_b32 exec_lo, exec_lo, s29
	s_and_b32 s12, s12, exec_lo
	s_or_saveexec_b32 s28, s28
	v_mov_b32_e32 v122, 0x7f800001
	s_xor_b32 exec_lo, exec_lo, s28
	s_cbranch_execnz .LBB6_8069
.LBB6_7479:                             ;   in Loop: Header=BB6_5278 Depth=2
	s_or_b32 exec_lo, exec_lo, s28
	s_and_saveexec_b32 s28, s12
	s_cbranch_execz .LBB6_7481
.LBB6_7480:                             ;   in Loop: Header=BB6_5278 Depth=2
	v_and_b32_sdwa v2, v45, v17 dst_sel:DWORD dst_unused:UNUSED_PAD src0_sel:DWORD src1_sel:BYTE_1
	v_and_b32_e32 v3, 3, v2
	v_bfe_u32 v123, v2, 2, 5
	v_ffbh_u32_e32 v42, v3
	v_cmp_eq_u32_e32 vcc_lo, 0, v123
	v_min_u32_e32 v42, 32, v42
	v_subrev_nc_u32_e32 v122, 29, v42
	v_sub_nc_u32_e32 v42, 30, v42
	v_lshlrev_b32_e32 v2, v122, v2
	v_lshlrev_b32_e32 v122, 16, v17
	v_cndmask_b32_e32 v42, v123, v42, vcc_lo
	v_and_b32_e32 v2, 3, v2
	v_lshl_add_u32 v42, v42, 23, 0x37800000
	v_cndmask_b32_e32 v2, v3, v2, vcc_lo
	v_and_b32_e32 v3, 0x80000000, v122
	v_lshlrev_b32_e32 v2, 21, v2
	v_or3_b32 v122, v3, v42, v2
.LBB6_7481:                             ;   in Loop: Header=BB6_5278 Depth=2
	s_or_b32 exec_lo, exec_lo, s28
	v_cmp_gt_i16_sdwa s28, v13, v43 src0_sel:BYTE_1 src1_sel:DWORD
	s_mov_b32 s12, 0
	s_and_saveexec_b32 s29, s28
	s_xor_b32 s28, exec_lo, s29
	s_cbranch_execz .LBB6_8070
; %bb.7482:                             ;   in Loop: Header=BB6_5278 Depth=2
	v_cmp_eq_u16_sdwa s40, v13, v44 src0_sel:BYTE_1 src1_sel:DWORD
	s_mov_b32 s12, -1
	s_and_saveexec_b32 s29, s40
; %bb.7483:                             ;   in Loop: Header=BB6_5278 Depth=2
	s_xor_b32 s12, exec_lo, -1
; %bb.7484:                             ;   in Loop: Header=BB6_5278 Depth=2
	s_or_b32 exec_lo, exec_lo, s29
	s_and_b32 s12, s12, exec_lo
	s_or_saveexec_b32 s28, s28
	v_mov_b32_e32 v2, 0x7f800001
	s_xor_b32 exec_lo, exec_lo, s28
	s_cbranch_execnz .LBB6_8071
.LBB6_7485:                             ;   in Loop: Header=BB6_5278 Depth=2
	s_or_b32 exec_lo, exec_lo, s28
	s_and_saveexec_b32 s28, s12
	s_cbranch_execz .LBB6_7487
.LBB6_7486:                             ;   in Loop: Header=BB6_5278 Depth=2
	v_and_b32_sdwa v2, v45, v13 dst_sel:DWORD dst_unused:UNUSED_PAD src0_sel:DWORD src1_sel:BYTE_1
	v_and_b32_e32 v3, 3, v2
	v_bfe_u32 v124, v2, 2, 5
	v_ffbh_u32_e32 v42, v3
	v_cmp_eq_u32_e32 vcc_lo, 0, v124
	v_min_u32_e32 v42, 32, v42
	v_subrev_nc_u32_e32 v123, 29, v42
	v_sub_nc_u32_e32 v42, 30, v42
	v_lshlrev_b32_e32 v2, v123, v2
	v_lshlrev_b32_e32 v123, 16, v13
	v_cndmask_b32_e32 v42, v124, v42, vcc_lo
	v_and_b32_e32 v2, 3, v2
	v_lshl_add_u32 v42, v42, 23, 0x37800000
	v_cndmask_b32_e32 v2, v3, v2, vcc_lo
	v_and_b32_e32 v3, 0x80000000, v123
	v_lshlrev_b32_e32 v2, 21, v2
	v_or3_b32 v2, v3, v42, v2
.LBB6_7487:                             ;   in Loop: Header=BB6_5278 Depth=2
	s_or_b32 exec_lo, exec_lo, s28
	v_max_f32_e32 v2, v2, v2
	v_max_f32_e32 v3, v122, v122
	s_mov_b32 s12, 0
	v_max_f32_e32 v123, v3, v2
.LBB6_7488:                             ;   in Loop: Header=BB6_5278 Depth=2
	s_and_b32 vcc_lo, exec_lo, s12
	s_cbranch_vccz .LBB6_7502
; %bb.7489:                             ;   in Loop: Header=BB6_5278 Depth=2
	v_cmp_gt_i16_sdwa s28, v17, v43 src0_sel:BYTE_1 src1_sel:DWORD
	s_mov_b32 s12, 0
	s_and_saveexec_b32 s29, s28
	s_xor_b32 s28, exec_lo, s29
	s_cbranch_execz .LBB6_8072
; %bb.7490:                             ;   in Loop: Header=BB6_5278 Depth=2
	v_cmp_eq_u16_sdwa s40, v17, v44 src0_sel:BYTE_1 src1_sel:DWORD
	s_mov_b32 s12, -1
	s_and_saveexec_b32 s29, s40
; %bb.7491:                             ;   in Loop: Header=BB6_5278 Depth=2
	s_xor_b32 s12, exec_lo, -1
; %bb.7492:                             ;   in Loop: Header=BB6_5278 Depth=2
	s_or_b32 exec_lo, exec_lo, s29
	s_and_b32 s12, s12, exec_lo
	s_or_saveexec_b32 s28, s28
	v_mov_b32_e32 v122, 0x7f800001
	s_xor_b32 exec_lo, exec_lo, s28
	s_cbranch_execnz .LBB6_8073
.LBB6_7493:                             ;   in Loop: Header=BB6_5278 Depth=2
	s_or_b32 exec_lo, exec_lo, s28
	s_and_saveexec_b32 s28, s12
	s_cbranch_execz .LBB6_7495
.LBB6_7494:                             ;   in Loop: Header=BB6_5278 Depth=2
	v_and_b32_sdwa v2, v45, v17 dst_sel:DWORD dst_unused:UNUSED_PAD src0_sel:DWORD src1_sel:BYTE_1
	v_and_b32_e32 v3, 3, v2
	v_bfe_u32 v123, v2, 2, 5
	v_ffbh_u32_e32 v42, v3
	v_cmp_eq_u32_e32 vcc_lo, 0, v123
	v_min_u32_e32 v42, 32, v42
	v_subrev_nc_u32_e32 v122, 29, v42
	v_sub_nc_u32_e32 v42, 30, v42
	v_lshlrev_b32_e32 v2, v122, v2
	v_lshlrev_b32_e32 v122, 16, v17
	v_cndmask_b32_e32 v42, v123, v42, vcc_lo
	v_and_b32_e32 v2, 3, v2
	v_lshl_add_u32 v42, v42, 23, 0x37800000
	v_cndmask_b32_e32 v2, v3, v2, vcc_lo
	v_and_b32_e32 v3, 0x80000000, v122
	v_lshlrev_b32_e32 v2, 21, v2
	v_or3_b32 v122, v3, v42, v2
.LBB6_7495:                             ;   in Loop: Header=BB6_5278 Depth=2
	s_or_b32 exec_lo, exec_lo, s28
	v_cmp_gt_i16_sdwa s28, v13, v43 src0_sel:BYTE_1 src1_sel:DWORD
	s_mov_b32 s12, 0
	s_and_saveexec_b32 s29, s28
	s_xor_b32 s28, exec_lo, s29
	s_cbranch_execz .LBB6_8074
; %bb.7496:                             ;   in Loop: Header=BB6_5278 Depth=2
	v_cmp_eq_u16_sdwa s40, v13, v44 src0_sel:BYTE_1 src1_sel:DWORD
	s_mov_b32 s12, -1
	s_and_saveexec_b32 s29, s40
; %bb.7497:                             ;   in Loop: Header=BB6_5278 Depth=2
	s_xor_b32 s12, exec_lo, -1
; %bb.7498:                             ;   in Loop: Header=BB6_5278 Depth=2
	s_or_b32 exec_lo, exec_lo, s29
	s_and_b32 s12, s12, exec_lo
	s_or_saveexec_b32 s28, s28
	v_mov_b32_e32 v2, 0x7f800001
	s_xor_b32 exec_lo, exec_lo, s28
	s_cbranch_execnz .LBB6_8075
.LBB6_7499:                             ;   in Loop: Header=BB6_5278 Depth=2
	s_or_b32 exec_lo, exec_lo, s28
	s_and_saveexec_b32 s28, s12
	s_cbranch_execz .LBB6_7501
.LBB6_7500:                             ;   in Loop: Header=BB6_5278 Depth=2
	v_and_b32_sdwa v2, v45, v13 dst_sel:DWORD dst_unused:UNUSED_PAD src0_sel:DWORD src1_sel:BYTE_1
	v_and_b32_e32 v3, 3, v2
	v_bfe_u32 v124, v2, 2, 5
	v_ffbh_u32_e32 v42, v3
	v_cmp_eq_u32_e32 vcc_lo, 0, v124
	v_min_u32_e32 v42, 32, v42
	v_subrev_nc_u32_e32 v123, 29, v42
	v_sub_nc_u32_e32 v42, 30, v42
	v_lshlrev_b32_e32 v2, v123, v2
	v_lshlrev_b32_e32 v123, 16, v13
	v_cndmask_b32_e32 v42, v124, v42, vcc_lo
	v_and_b32_e32 v2, 3, v2
	v_lshl_add_u32 v42, v42, 23, 0x37800000
	v_cndmask_b32_e32 v2, v3, v2, vcc_lo
	v_and_b32_e32 v3, 0x80000000, v123
	v_lshlrev_b32_e32 v2, 21, v2
	v_or3_b32 v2, v3, v42, v2
.LBB6_7501:                             ;   in Loop: Header=BB6_5278 Depth=2
	s_or_b32 exec_lo, exec_lo, s28
	v_max_f32_e32 v2, v2, v2
	v_max_f32_e32 v3, v122, v122
	v_min_f32_e32 v123, v3, v2
.LBB6_7502:                             ;   in Loop: Header=BB6_5278 Depth=2
	v_and_b32_e32 v2, 0x7f800000, v123
	v_mov_b32_e32 v122, 0x8000
	s_mov_b32 s28, exec_lo
	v_cmpx_ne_u32_e32 0x7f800000, v2
	s_cbranch_execz .LBB6_7510
; %bb.7503:                             ;   in Loop: Header=BB6_5278 Depth=2
	v_mov_b32_e32 v122, 0
	s_mov_b32 s29, exec_lo
	v_cmpx_ne_u32_e32 0, v123
	s_cbranch_execz .LBB6_7509
; %bb.7504:                             ;   in Loop: Header=BB6_5278 Depth=2
	v_bfe_u32 v3, v123, 23, 8
	v_and_b32_e32 v2, 0x7fffff, v123
                                        ; implicit-def: $vgpr126
	v_cmp_gt_u32_e64 s12, 0x71, v3
	v_sub_nc_u32_e32 v42, 0x70, v3
	v_cmp_eq_u32_e32 vcc_lo, 0, v3
	v_or_b32_e32 v122, 0x800000, v2
	v_add_nc_u32_e32 v3, 0xffffff91, v3
	v_cndmask_b32_e64 v42, 0, v42, s12
	v_cndmask_b32_e32 v2, v122, v2, vcc_lo
	v_cndmask_b32_e64 v3, v3, 0xffffff92, vcc_lo
	v_cndmask_b32_e64 v42, v42, 0x6f, vcc_lo
	v_lshl_add_u32 v122, 0x200000, v42, -1
	v_lshlrev_b32_e64 v124, v42, 0x100000
	v_and_b32_e32 v122, v122, v2
	v_lshrrev_b32_e32 v2, v42, v2
	v_cmp_eq_u32_e64 s12, v122, v124
	v_add_nc_u32_e32 v122, v42, v3
	v_lshrrev_b32_e32 v3, 23, v2
	v_xor_b32_e32 v124, 1, v3
	v_bfe_u32 v3, v2, 21, 1
	v_add_nc_u32_e32 v3, -1, v3
	v_cndmask_b32_e64 v3, 0, v3, s12
	s_mov_b32 s12, exec_lo
	v_add_nc_u32_e32 v3, v3, v2
	v_and_b32_e32 v3, 0x1fffff, v3
	v_add_nc_u32_e32 v125, v3, v2
	v_cmpx_ne_u32_e64 v122, v124
	s_xor_b32 s12, exec_lo, s12
; %bb.7505:                             ;   in Loop: Header=BB6_5278 Depth=2
	v_cmp_lt_u32_e32 vcc_lo, 0xffffff, v125
	v_sub_nc_u32_e32 v2, v122, v124
	v_cndmask_b32_e64 v3, 0, 1, vcc_lo
	v_add_co_ci_u32_e64 v126, null, 0, v2, vcc_lo
	v_lshrrev_b32_e32 v125, v3, v125
; %bb.7506:                             ;   in Loop: Header=BB6_5278 Depth=2
	s_andn2_saveexec_b32 s12, s12
; %bb.7507:                             ;   in Loop: Header=BB6_5278 Depth=2
	v_bfe_u32 v126, v125, 23, 1
; %bb.7508:                             ;   in Loop: Header=BB6_5278 Depth=2
	s_or_b32 exec_lo, exec_lo, s12
	v_lshrrev_b32_e32 v3, 21, v125
	v_min_i32_e32 v42, 31, v126
	v_cmp_gt_i32_e32 vcc_lo, 32, v126
	v_and_b32_sdwa v2, v123, v44 dst_sel:DWORD dst_unused:UNUSED_PAD src0_sel:BYTE_3 src1_sel:DWORD
	v_lshlrev_b32_e32 v42, 2, v42
	v_cndmask_b32_e32 v3, 3, v3, vcc_lo
	v_and_b32_e32 v42, 0xfc, v42
	v_or_b32_e32 v122, v126, v3
	v_and_b32_e32 v3, 3, v3
	v_cmp_ne_u32_e32 vcc_lo, 0, v122
	v_or3_b32 v2, v2, v42, v3
	v_lshlrev_b32_e32 v2, 8, v2
	v_cndmask_b32_e32 v122, 0, v2, vcc_lo
.LBB6_7509:                             ;   in Loop: Header=BB6_5278 Depth=2
	s_or_b32 exec_lo, exec_lo, s29
.LBB6_7510:                             ;   in Loop: Header=BB6_5278 Depth=2
	s_or_b32 exec_lo, exec_lo, s28
	v_and_b32_sdwa v123, v17, v46 dst_sel:DWORD dst_unused:UNUSED_PAD src0_sel:WORD_1 src1_sel:DWORD
	s_andn2_b32 vcc_lo, exec_lo, s27
	s_mov_b32 s28, -1
                                        ; implicit-def: $vgpr124
	v_cmp_lt_i16_e64 s12, 0x7f, v123
	s_cbranch_vccnz .LBB6_7524
; %bb.7511:                             ;   in Loop: Header=BB6_5278 Depth=2
	s_mov_b32 s28, 0
	s_and_saveexec_b32 s29, s12
	s_xor_b32 s12, exec_lo, s29
	s_cbranch_execz .LBB6_8076
; %bb.7512:                             ;   in Loop: Header=BB6_5278 Depth=2
	s_mov_b32 s28, -1
	s_mov_b32 s29, exec_lo
	v_cmpx_eq_u16_e32 0x80, v123
; %bb.7513:                             ;   in Loop: Header=BB6_5278 Depth=2
	s_xor_b32 s28, exec_lo, -1
; %bb.7514:                             ;   in Loop: Header=BB6_5278 Depth=2
	s_or_b32 exec_lo, exec_lo, s29
	s_and_b32 s28, s28, exec_lo
	s_or_saveexec_b32 s12, s12
	v_mov_b32_e32 v124, 0x7f800001
	s_xor_b32 exec_lo, exec_lo, s12
	s_cbranch_execnz .LBB6_8077
.LBB6_7515:                             ;   in Loop: Header=BB6_5278 Depth=2
	s_or_b32 exec_lo, exec_lo, s12
	s_and_saveexec_b32 s12, s28
	s_cbranch_execz .LBB6_7517
.LBB6_7516:                             ;   in Loop: Header=BB6_5278 Depth=2
	v_bfe_u32 v2, v17, 16, 2
	v_bfe_u32 v3, v17, 18, 5
	v_ffbh_u32_e32 v42, v2
	v_cmp_eq_u32_e32 vcc_lo, 0, v3
	v_min_u32_e32 v42, 32, v42
	v_subrev_nc_u32_e32 v124, 29, v42
	v_sub_nc_u32_e32 v42, 30, v42
	v_lshlrev_b32_sdwa v124, v124, v17 dst_sel:DWORD dst_unused:UNUSED_PAD src0_sel:DWORD src1_sel:WORD_1
	v_cndmask_b32_e32 v3, v3, v42, vcc_lo
	v_lshlrev_b32_sdwa v42, v47, v17 dst_sel:DWORD dst_unused:UNUSED_PAD src0_sel:DWORD src1_sel:WORD_1
	v_and_b32_e32 v124, 3, v124
	v_lshl_add_u32 v3, v3, 23, 0x37800000
	v_and_b32_e32 v42, 0x80000000, v42
	v_cndmask_b32_e32 v2, v2, v124, vcc_lo
	v_lshlrev_b32_e32 v2, 21, v2
	v_or3_b32 v124, v42, v3, v2
.LBB6_7517:                             ;   in Loop: Header=BB6_5278 Depth=2
	s_or_b32 exec_lo, exec_lo, s12
	v_and_b32_sdwa v3, v13, v46 dst_sel:DWORD dst_unused:UNUSED_PAD src0_sel:WORD_1 src1_sel:DWORD
	s_mov_b32 s28, 0
	s_mov_b32 s12, exec_lo
	v_cmpx_lt_i16_e32 0x7f, v3
	s_xor_b32 s12, exec_lo, s12
	s_cbranch_execz .LBB6_8078
; %bb.7518:                             ;   in Loop: Header=BB6_5278 Depth=2
	s_mov_b32 s28, -1
	s_mov_b32 s29, exec_lo
	v_cmpx_eq_u16_e32 0x80, v3
; %bb.7519:                             ;   in Loop: Header=BB6_5278 Depth=2
	s_xor_b32 s28, exec_lo, -1
; %bb.7520:                             ;   in Loop: Header=BB6_5278 Depth=2
	s_or_b32 exec_lo, exec_lo, s29
	s_and_b32 s28, s28, exec_lo
                                        ; implicit-def: $vgpr3
	s_or_saveexec_b32 s12, s12
	v_mov_b32_e32 v2, 0x7f800001
	s_xor_b32 exec_lo, exec_lo, s12
	s_cbranch_execnz .LBB6_8079
.LBB6_7521:                             ;   in Loop: Header=BB6_5278 Depth=2
	s_or_b32 exec_lo, exec_lo, s12
	s_and_saveexec_b32 s12, s28
	s_cbranch_execz .LBB6_7523
.LBB6_7522:                             ;   in Loop: Header=BB6_5278 Depth=2
	v_bfe_u32 v2, v13, 16, 2
	v_bfe_u32 v3, v13, 18, 5
	v_ffbh_u32_e32 v42, v2
	v_cmp_eq_u32_e32 vcc_lo, 0, v3
	v_min_u32_e32 v42, 32, v42
	v_subrev_nc_u32_e32 v125, 29, v42
	v_sub_nc_u32_e32 v42, 30, v42
	v_lshlrev_b32_sdwa v125, v125, v13 dst_sel:DWORD dst_unused:UNUSED_PAD src0_sel:DWORD src1_sel:WORD_1
	v_cndmask_b32_e32 v3, v3, v42, vcc_lo
	v_lshlrev_b32_sdwa v42, v47, v13 dst_sel:DWORD dst_unused:UNUSED_PAD src0_sel:DWORD src1_sel:WORD_1
	v_and_b32_e32 v125, 3, v125
	v_lshl_add_u32 v3, v3, 23, 0x37800000
	v_and_b32_e32 v42, 0x80000000, v42
	v_cndmask_b32_e32 v2, v2, v125, vcc_lo
	v_lshlrev_b32_e32 v2, 21, v2
	v_or3_b32 v2, v42, v3, v2
.LBB6_7523:                             ;   in Loop: Header=BB6_5278 Depth=2
	s_or_b32 exec_lo, exec_lo, s12
	v_max_f32_e32 v2, v2, v2
	v_max_f32_e32 v3, v124, v124
	s_mov_b32 s28, 0
	v_max_f32_e32 v124, v3, v2
.LBB6_7524:                             ;   in Loop: Header=BB6_5278 Depth=2
	s_and_b32 vcc_lo, exec_lo, s28
	s_cbranch_vccz .LBB6_7538
; %bb.7525:                             ;   in Loop: Header=BB6_5278 Depth=2
	s_mov_b32 s28, 0
	s_mov_b32 s12, exec_lo
	v_cmpx_lt_i16_e32 0x7f, v123
	s_xor_b32 s12, exec_lo, s12
	s_cbranch_execz .LBB6_8080
; %bb.7526:                             ;   in Loop: Header=BB6_5278 Depth=2
	s_mov_b32 s28, -1
	s_mov_b32 s29, exec_lo
	v_cmpx_eq_u16_e32 0x80, v123
; %bb.7527:                             ;   in Loop: Header=BB6_5278 Depth=2
	s_xor_b32 s28, exec_lo, -1
; %bb.7528:                             ;   in Loop: Header=BB6_5278 Depth=2
	s_or_b32 exec_lo, exec_lo, s29
	s_and_b32 s28, s28, exec_lo
                                        ; implicit-def: $vgpr123
	s_or_saveexec_b32 s12, s12
	v_mov_b32_e32 v124, 0x7f800001
	s_xor_b32 exec_lo, exec_lo, s12
	s_cbranch_execnz .LBB6_8081
.LBB6_7529:                             ;   in Loop: Header=BB6_5278 Depth=2
	s_or_b32 exec_lo, exec_lo, s12
	s_and_saveexec_b32 s12, s28
	s_cbranch_execz .LBB6_7531
.LBB6_7530:                             ;   in Loop: Header=BB6_5278 Depth=2
	v_bfe_u32 v2, v17, 16, 2
	v_bfe_u32 v3, v17, 18, 5
	v_ffbh_u32_e32 v42, v2
	v_cmp_eq_u32_e32 vcc_lo, 0, v3
	v_min_u32_e32 v42, 32, v42
	v_subrev_nc_u32_e32 v123, 29, v42
	v_sub_nc_u32_e32 v42, 30, v42
	v_lshlrev_b32_sdwa v123, v123, v17 dst_sel:DWORD dst_unused:UNUSED_PAD src0_sel:DWORD src1_sel:WORD_1
	v_cndmask_b32_e32 v3, v3, v42, vcc_lo
	v_lshlrev_b32_sdwa v42, v47, v17 dst_sel:DWORD dst_unused:UNUSED_PAD src0_sel:DWORD src1_sel:WORD_1
	v_and_b32_e32 v123, 3, v123
	v_lshl_add_u32 v3, v3, 23, 0x37800000
	v_and_b32_e32 v42, 0x80000000, v42
	v_cndmask_b32_e32 v2, v2, v123, vcc_lo
	v_lshlrev_b32_e32 v2, 21, v2
	v_or3_b32 v124, v42, v3, v2
.LBB6_7531:                             ;   in Loop: Header=BB6_5278 Depth=2
	s_or_b32 exec_lo, exec_lo, s12
	v_and_b32_sdwa v3, v13, v46 dst_sel:DWORD dst_unused:UNUSED_PAD src0_sel:WORD_1 src1_sel:DWORD
	s_mov_b32 s28, 0
	s_mov_b32 s12, exec_lo
	v_cmpx_lt_i16_e32 0x7f, v3
	s_xor_b32 s12, exec_lo, s12
	s_cbranch_execz .LBB6_8082
; %bb.7532:                             ;   in Loop: Header=BB6_5278 Depth=2
	s_mov_b32 s28, -1
	s_mov_b32 s29, exec_lo
	v_cmpx_eq_u16_e32 0x80, v3
; %bb.7533:                             ;   in Loop: Header=BB6_5278 Depth=2
	s_xor_b32 s28, exec_lo, -1
; %bb.7534:                             ;   in Loop: Header=BB6_5278 Depth=2
	s_or_b32 exec_lo, exec_lo, s29
	s_and_b32 s28, s28, exec_lo
                                        ; implicit-def: $vgpr3
	s_or_saveexec_b32 s12, s12
	v_mov_b32_e32 v2, 0x7f800001
	s_xor_b32 exec_lo, exec_lo, s12
	s_cbranch_execnz .LBB6_8083
.LBB6_7535:                             ;   in Loop: Header=BB6_5278 Depth=2
	s_or_b32 exec_lo, exec_lo, s12
	s_and_saveexec_b32 s12, s28
	s_cbranch_execz .LBB6_7537
.LBB6_7536:                             ;   in Loop: Header=BB6_5278 Depth=2
	v_bfe_u32 v2, v13, 16, 2
	v_bfe_u32 v3, v13, 18, 5
	v_ffbh_u32_e32 v42, v2
	v_cmp_eq_u32_e32 vcc_lo, 0, v3
	v_min_u32_e32 v42, 32, v42
	v_subrev_nc_u32_e32 v123, 29, v42
	v_sub_nc_u32_e32 v42, 30, v42
	v_lshlrev_b32_sdwa v123, v123, v13 dst_sel:DWORD dst_unused:UNUSED_PAD src0_sel:DWORD src1_sel:WORD_1
	v_cndmask_b32_e32 v3, v3, v42, vcc_lo
	v_lshlrev_b32_sdwa v42, v47, v13 dst_sel:DWORD dst_unused:UNUSED_PAD src0_sel:DWORD src1_sel:WORD_1
	v_and_b32_e32 v123, 3, v123
	v_lshl_add_u32 v3, v3, 23, 0x37800000
	v_and_b32_e32 v42, 0x80000000, v42
	v_cndmask_b32_e32 v2, v2, v123, vcc_lo
	v_lshlrev_b32_e32 v2, 21, v2
	v_or3_b32 v2, v42, v3, v2
.LBB6_7537:                             ;   in Loop: Header=BB6_5278 Depth=2
	s_or_b32 exec_lo, exec_lo, s12
	v_max_f32_e32 v2, v2, v2
	v_max_f32_e32 v3, v124, v124
	v_min_f32_e32 v124, v3, v2
.LBB6_7538:                             ;   in Loop: Header=BB6_5278 Depth=2
	v_and_b32_e32 v2, 0x7f800000, v124
	v_mov_b32_e32 v123, 0x80
	s_mov_b32 s28, exec_lo
	v_cmpx_ne_u32_e32 0x7f800000, v2
	s_cbranch_execz .LBB6_7546
; %bb.7539:                             ;   in Loop: Header=BB6_5278 Depth=2
	v_mov_b32_e32 v123, 0
	s_mov_b32 s29, exec_lo
	v_cmpx_ne_u32_e32 0, v124
	s_cbranch_execz .LBB6_7545
; %bb.7540:                             ;   in Loop: Header=BB6_5278 Depth=2
	v_bfe_u32 v3, v124, 23, 8
	v_and_b32_e32 v2, 0x7fffff, v124
	v_cmp_gt_u32_e64 s12, 0x71, v3
	v_sub_nc_u32_e32 v42, 0x70, v3
	v_cmp_eq_u32_e32 vcc_lo, 0, v3
	v_or_b32_e32 v123, 0x800000, v2
	v_add_nc_u32_e32 v3, 0xffffff91, v3
	v_cndmask_b32_e64 v42, 0, v42, s12
	v_cndmask_b32_e32 v2, v123, v2, vcc_lo
	v_cndmask_b32_e64 v3, v3, 0xffffff92, vcc_lo
	v_cndmask_b32_e64 v42, v42, 0x6f, vcc_lo
	v_lshl_add_u32 v123, 0x200000, v42, -1
	v_lshlrev_b32_e64 v125, v42, 0x100000
	v_and_b32_e32 v123, v123, v2
	v_lshrrev_b32_e32 v2, v42, v2
	v_cmp_eq_u32_e64 s12, v123, v125
	v_add_nc_u32_e32 v123, v42, v3
	v_lshrrev_b32_e32 v3, 23, v2
                                        ; implicit-def: $vgpr42
	v_xor_b32_e32 v125, 1, v3
	v_bfe_u32 v3, v2, 21, 1
	v_add_nc_u32_e32 v3, -1, v3
	v_cndmask_b32_e64 v3, 0, v3, s12
	s_mov_b32 s12, exec_lo
	v_add_nc_u32_e32 v3, v3, v2
	v_and_b32_e32 v3, 0x1fffff, v3
	v_add_nc_u32_e32 v126, v3, v2
	v_cmpx_ne_u32_e64 v123, v125
	s_xor_b32 s12, exec_lo, s12
; %bb.7541:                             ;   in Loop: Header=BB6_5278 Depth=2
	v_cmp_lt_u32_e32 vcc_lo, 0xffffff, v126
	v_sub_nc_u32_e32 v2, v123, v125
	v_cndmask_b32_e64 v3, 0, 1, vcc_lo
	v_add_co_ci_u32_e64 v42, null, 0, v2, vcc_lo
	v_lshrrev_b32_e32 v126, v3, v126
; %bb.7542:                             ;   in Loop: Header=BB6_5278 Depth=2
	s_andn2_saveexec_b32 s12, s12
; %bb.7543:                             ;   in Loop: Header=BB6_5278 Depth=2
	v_bfe_u32 v42, v126, 23, 1
; %bb.7544:                             ;   in Loop: Header=BB6_5278 Depth=2
	s_or_b32 exec_lo, exec_lo, s12
	v_lshrrev_b32_e32 v3, 21, v126
	v_min_i32_e32 v123, 31, v42
	v_cmp_gt_i32_e32 vcc_lo, 32, v42
	v_and_b32_sdwa v2, v124, v44 dst_sel:DWORD dst_unused:UNUSED_PAD src0_sel:BYTE_3 src1_sel:DWORD
	v_lshlrev_b32_e32 v123, 2, v123
	v_cndmask_b32_e32 v3, 3, v3, vcc_lo
	v_and_b32_e32 v123, 0xfc, v123
	v_or_b32_e32 v42, v42, v3
	v_and_b32_e32 v3, 3, v3
	v_cmp_ne_u32_e32 vcc_lo, 0, v42
	v_or3_b32 v2, v123, v2, v3
	v_cndmask_b32_e32 v123, 0, v2, vcc_lo
.LBB6_7545:                             ;   in Loop: Header=BB6_5278 Depth=2
	s_or_b32 exec_lo, exec_lo, s29
.LBB6_7546:                             ;   in Loop: Header=BB6_5278 Depth=2
	s_or_b32 exec_lo, exec_lo, s28
	v_cmp_gt_i16_sdwa s28, v17, v43 src0_sel:BYTE_3 src1_sel:DWORD
	s_andn2_b32 vcc_lo, exec_lo, s27
	s_mov_b32 s12, -1
                                        ; implicit-def: $vgpr124
	s_cbranch_vccnz .LBB6_7560
; %bb.7547:                             ;   in Loop: Header=BB6_5278 Depth=2
	s_mov_b32 s12, 0
	s_and_saveexec_b32 s29, s28
	s_xor_b32 s28, exec_lo, s29
	s_cbranch_execz .LBB6_8084
; %bb.7548:                             ;   in Loop: Header=BB6_5278 Depth=2
	v_cmp_eq_u16_sdwa s40, v17, v44 src0_sel:BYTE_3 src1_sel:DWORD
	s_mov_b32 s12, -1
	s_and_saveexec_b32 s29, s40
; %bb.7549:                             ;   in Loop: Header=BB6_5278 Depth=2
	s_xor_b32 s12, exec_lo, -1
; %bb.7550:                             ;   in Loop: Header=BB6_5278 Depth=2
	s_or_b32 exec_lo, exec_lo, s29
	s_and_b32 s12, s12, exec_lo
	s_or_saveexec_b32 s28, s28
	v_mov_b32_e32 v124, 0x7f800001
	s_xor_b32 exec_lo, exec_lo, s28
	s_cbranch_execnz .LBB6_8085
.LBB6_7551:                             ;   in Loop: Header=BB6_5278 Depth=2
	s_or_b32 exec_lo, exec_lo, s28
	s_and_saveexec_b32 s28, s12
	s_cbranch_execz .LBB6_7553
.LBB6_7552:                             ;   in Loop: Header=BB6_5278 Depth=2
	v_bfe_u32 v2, v17, 24, 2
	v_bfe_u32 v124, v17, 26, 5
	v_ffbh_u32_e32 v3, v2
	v_cmp_eq_u32_e32 vcc_lo, 0, v124
	v_min_u32_e32 v3, 32, v3
	v_subrev_nc_u32_e32 v42, 29, v3
	v_sub_nc_u32_e32 v3, 30, v3
	v_lshlrev_b32_sdwa v42, v42, v17 dst_sel:DWORD dst_unused:UNUSED_PAD src0_sel:DWORD src1_sel:BYTE_3
	v_cndmask_b32_e32 v3, v124, v3, vcc_lo
	v_and_b32_e32 v42, 3, v42
	v_lshl_add_u32 v3, v3, 23, 0x37800000
	v_cndmask_b32_e32 v2, v2, v42, vcc_lo
	v_and_b32_e32 v42, 0x80000000, v17
	v_lshlrev_b32_e32 v2, 21, v2
	v_or3_b32 v124, v42, v3, v2
.LBB6_7553:                             ;   in Loop: Header=BB6_5278 Depth=2
	s_or_b32 exec_lo, exec_lo, s28
	v_cmp_gt_i16_sdwa s28, v13, v43 src0_sel:BYTE_3 src1_sel:DWORD
	s_mov_b32 s12, 0
	s_and_saveexec_b32 s29, s28
	s_xor_b32 s28, exec_lo, s29
	s_cbranch_execz .LBB6_8086
; %bb.7554:                             ;   in Loop: Header=BB6_5278 Depth=2
	v_cmp_eq_u16_sdwa s40, v13, v44 src0_sel:BYTE_3 src1_sel:DWORD
	s_mov_b32 s12, -1
	s_and_saveexec_b32 s29, s40
; %bb.7555:                             ;   in Loop: Header=BB6_5278 Depth=2
	s_xor_b32 s12, exec_lo, -1
; %bb.7556:                             ;   in Loop: Header=BB6_5278 Depth=2
	s_or_b32 exec_lo, exec_lo, s29
	s_and_b32 s12, s12, exec_lo
	s_or_saveexec_b32 s28, s28
	v_mov_b32_e32 v2, 0x7f800001
	s_xor_b32 exec_lo, exec_lo, s28
	s_cbranch_execnz .LBB6_8087
.LBB6_7557:                             ;   in Loop: Header=BB6_5278 Depth=2
	s_or_b32 exec_lo, exec_lo, s28
	s_and_saveexec_b32 s28, s12
	s_cbranch_execz .LBB6_7559
.LBB6_7558:                             ;   in Loop: Header=BB6_5278 Depth=2
	v_bfe_u32 v2, v13, 24, 2
	v_bfe_u32 v125, v13, 26, 5
	v_ffbh_u32_e32 v3, v2
	v_cmp_eq_u32_e32 vcc_lo, 0, v125
	v_min_u32_e32 v3, 32, v3
	v_subrev_nc_u32_e32 v42, 29, v3
	v_sub_nc_u32_e32 v3, 30, v3
	v_lshlrev_b32_sdwa v42, v42, v13 dst_sel:DWORD dst_unused:UNUSED_PAD src0_sel:DWORD src1_sel:BYTE_3
	v_cndmask_b32_e32 v3, v125, v3, vcc_lo
	v_and_b32_e32 v42, 3, v42
	v_lshl_add_u32 v3, v3, 23, 0x37800000
	v_cndmask_b32_e32 v2, v2, v42, vcc_lo
	v_and_b32_e32 v42, 0x80000000, v13
	v_lshlrev_b32_e32 v2, 21, v2
	v_or3_b32 v2, v42, v3, v2
.LBB6_7559:                             ;   in Loop: Header=BB6_5278 Depth=2
	s_or_b32 exec_lo, exec_lo, s28
	v_max_f32_e32 v2, v2, v2
	v_max_f32_e32 v3, v124, v124
	s_mov_b32 s12, 0
	v_max_f32_e32 v124, v3, v2
.LBB6_7560:                             ;   in Loop: Header=BB6_5278 Depth=2
	s_and_b32 vcc_lo, exec_lo, s12
	s_cbranch_vccz .LBB6_7574
; %bb.7561:                             ;   in Loop: Header=BB6_5278 Depth=2
	v_cmp_gt_i16_sdwa s28, v17, v43 src0_sel:BYTE_3 src1_sel:DWORD
	s_mov_b32 s12, 0
	s_and_saveexec_b32 s29, s28
	s_xor_b32 s28, exec_lo, s29
	s_cbranch_execz .LBB6_8088
; %bb.7562:                             ;   in Loop: Header=BB6_5278 Depth=2
	v_cmp_eq_u16_sdwa s40, v17, v44 src0_sel:BYTE_3 src1_sel:DWORD
	s_mov_b32 s12, -1
	s_and_saveexec_b32 s29, s40
; %bb.7563:                             ;   in Loop: Header=BB6_5278 Depth=2
	s_xor_b32 s12, exec_lo, -1
; %bb.7564:                             ;   in Loop: Header=BB6_5278 Depth=2
	s_or_b32 exec_lo, exec_lo, s29
	s_and_b32 s12, s12, exec_lo
	s_or_saveexec_b32 s28, s28
	v_mov_b32_e32 v124, 0x7f800001
	s_xor_b32 exec_lo, exec_lo, s28
	s_cbranch_execnz .LBB6_8089
.LBB6_7565:                             ;   in Loop: Header=BB6_5278 Depth=2
	s_or_b32 exec_lo, exec_lo, s28
	s_and_saveexec_b32 s28, s12
	s_cbranch_execz .LBB6_7567
.LBB6_7566:                             ;   in Loop: Header=BB6_5278 Depth=2
	v_bfe_u32 v2, v17, 24, 2
	v_bfe_u32 v124, v17, 26, 5
	v_ffbh_u32_e32 v3, v2
	v_cmp_eq_u32_e32 vcc_lo, 0, v124
	v_min_u32_e32 v3, 32, v3
	v_subrev_nc_u32_e32 v42, 29, v3
	v_sub_nc_u32_e32 v3, 30, v3
	v_lshlrev_b32_sdwa v42, v42, v17 dst_sel:DWORD dst_unused:UNUSED_PAD src0_sel:DWORD src1_sel:BYTE_3
	v_cndmask_b32_e32 v3, v124, v3, vcc_lo
	v_and_b32_e32 v17, 0x80000000, v17
	v_and_b32_e32 v42, 3, v42
	v_lshl_add_u32 v3, v3, 23, 0x37800000
	v_cndmask_b32_e32 v2, v2, v42, vcc_lo
	v_lshlrev_b32_e32 v2, 21, v2
	v_or3_b32 v124, v17, v3, v2
.LBB6_7567:                             ;   in Loop: Header=BB6_5278 Depth=2
	s_or_b32 exec_lo, exec_lo, s28
	v_cmp_gt_i16_sdwa s28, v13, v43 src0_sel:BYTE_3 src1_sel:DWORD
	s_mov_b32 s12, 0
	s_and_saveexec_b32 s29, s28
	s_xor_b32 s28, exec_lo, s29
	s_cbranch_execz .LBB6_8090
; %bb.7568:                             ;   in Loop: Header=BB6_5278 Depth=2
	v_cmp_eq_u16_sdwa s40, v13, v44 src0_sel:BYTE_3 src1_sel:DWORD
	s_mov_b32 s12, -1
	s_and_saveexec_b32 s29, s40
; %bb.7569:                             ;   in Loop: Header=BB6_5278 Depth=2
	s_xor_b32 s12, exec_lo, -1
; %bb.7570:                             ;   in Loop: Header=BB6_5278 Depth=2
	s_or_b32 exec_lo, exec_lo, s29
	s_and_b32 s12, s12, exec_lo
	s_or_saveexec_b32 s28, s28
	v_mov_b32_e32 v2, 0x7f800001
	s_xor_b32 exec_lo, exec_lo, s28
	s_cbranch_execnz .LBB6_8091
.LBB6_7571:                             ;   in Loop: Header=BB6_5278 Depth=2
	s_or_b32 exec_lo, exec_lo, s28
	s_and_saveexec_b32 s28, s12
	s_cbranch_execz .LBB6_7573
.LBB6_7572:                             ;   in Loop: Header=BB6_5278 Depth=2
	v_bfe_u32 v2, v13, 24, 2
	v_bfe_u32 v42, v13, 26, 5
	v_ffbh_u32_e32 v3, v2
	v_cmp_eq_u32_e32 vcc_lo, 0, v42
	v_min_u32_e32 v3, 32, v3
	v_subrev_nc_u32_e32 v17, 29, v3
	v_sub_nc_u32_e32 v3, 30, v3
	v_lshlrev_b32_sdwa v17, v17, v13 dst_sel:DWORD dst_unused:UNUSED_PAD src0_sel:DWORD src1_sel:BYTE_3
	v_cndmask_b32_e32 v3, v42, v3, vcc_lo
	v_and_b32_e32 v13, 0x80000000, v13
	v_and_b32_e32 v17, 3, v17
	v_lshl_add_u32 v3, v3, 23, 0x37800000
	v_cndmask_b32_e32 v2, v2, v17, vcc_lo
	v_lshlrev_b32_e32 v2, 21, v2
	v_or3_b32 v2, v13, v3, v2
.LBB6_7573:                             ;   in Loop: Header=BB6_5278 Depth=2
	s_or_b32 exec_lo, exec_lo, s28
	v_max_f32_e32 v2, v2, v2
	v_max_f32_e32 v3, v124, v124
	v_min_f32_e32 v124, v3, v2
.LBB6_7574:                             ;   in Loop: Header=BB6_5278 Depth=2
	v_and_b32_e32 v2, 0x7f800000, v124
	v_mov_b32_e32 v13, 0x8000
	s_mov_b32 s28, exec_lo
	v_cmpx_ne_u32_e32 0x7f800000, v2
	s_cbranch_execz .LBB6_5277
; %bb.7575:                             ;   in Loop: Header=BB6_5278 Depth=2
	v_mov_b32_e32 v13, 0
	s_mov_b32 s29, exec_lo
	v_cmpx_ne_u32_e32 0, v124
	s_cbranch_execz .LBB6_5276
; %bb.7576:                             ;   in Loop: Header=BB6_5278 Depth=2
	v_bfe_u32 v3, v124, 23, 8
	v_and_b32_e32 v2, 0x7fffff, v124
                                        ; implicit-def: $vgpr125
	v_cmp_gt_u32_e64 s12, 0x71, v3
	v_sub_nc_u32_e32 v13, 0x70, v3
	v_cmp_eq_u32_e32 vcc_lo, 0, v3
	v_or_b32_e32 v17, 0x800000, v2
	v_add_nc_u32_e32 v3, 0xffffff91, v3
	v_cndmask_b32_e64 v13, 0, v13, s12
	v_cndmask_b32_e32 v2, v17, v2, vcc_lo
	v_cndmask_b32_e64 v3, v3, 0xffffff92, vcc_lo
	v_cndmask_b32_e64 v13, v13, 0x6f, vcc_lo
	v_lshl_add_u32 v17, 0x200000, v13, -1
	v_lshlrev_b32_e64 v42, v13, 0x100000
	v_and_b32_e32 v17, v17, v2
	v_lshrrev_b32_e32 v2, v13, v2
	v_add_nc_u32_e32 v13, v13, v3
	v_cmp_eq_u32_e64 s12, v17, v42
	v_lshrrev_b32_e32 v3, 23, v2
	v_xor_b32_e32 v17, 1, v3
	v_bfe_u32 v3, v2, 21, 1
	v_add_nc_u32_e32 v3, -1, v3
	v_cndmask_b32_e64 v3, 0, v3, s12
	s_mov_b32 s12, exec_lo
	v_add_nc_u32_e32 v3, v3, v2
	v_and_b32_e32 v3, 0x1fffff, v3
	v_add_nc_u32_e32 v2, v3, v2
	v_cmpx_ne_u32_e64 v13, v17
	s_xor_b32 s12, exec_lo, s12
; %bb.7577:                             ;   in Loop: Header=BB6_5278 Depth=2
	v_cmp_lt_u32_e32 vcc_lo, 0xffffff, v2
	v_sub_nc_u32_e32 v3, v13, v17
	v_cndmask_b32_e64 v13, 0, 1, vcc_lo
	v_add_co_ci_u32_e64 v125, null, 0, v3, vcc_lo
	v_lshrrev_b32_e32 v2, v13, v2
; %bb.7578:                             ;   in Loop: Header=BB6_5278 Depth=2
	s_andn2_saveexec_b32 s12, s12
	s_cbranch_execz .LBB6_5275
; %bb.7579:                             ;   in Loop: Header=BB6_5278 Depth=2
	v_bfe_u32 v125, v2, 23, 1
	s_branch .LBB6_5275
.LBB6_7580:                             ;   in Loop: Header=BB6_5278 Depth=2
	s_or_saveexec_b32 s28, s28
	v_mov_b32_e32 v59, 0x7f800001
	s_xor_b32 exec_lo, exec_lo, s28
	s_cbranch_execz .LBB6_5283
.LBB6_7581:                             ;   in Loop: Header=BB6_5278 Depth=2
	v_cmp_ne_u16_sdwa s29, v48, v30 src0_sel:BYTE_0 src1_sel:DWORD
	v_mov_b32_e32 v59, 0
	s_andn2_b32 s12, s12, exec_lo
	s_and_b32 s29, s29, exec_lo
	s_or_b32 s12, s12, s29
	s_or_b32 exec_lo, exec_lo, s28
	s_and_saveexec_b32 s28, s12
	s_cbranch_execnz .LBB6_5284
	s_branch .LBB6_5285
.LBB6_7582:                             ;   in Loop: Header=BB6_5278 Depth=2
	s_or_saveexec_b32 s28, s28
	v_mov_b32_e32 v2, 0x7f800001
	s_xor_b32 exec_lo, exec_lo, s28
	s_cbranch_execz .LBB6_5289
.LBB6_7583:                             ;   in Loop: Header=BB6_5278 Depth=2
	v_cmp_ne_u16_sdwa s29, v36, v30 src0_sel:BYTE_0 src1_sel:DWORD
	v_mov_b32_e32 v2, 0
	s_andn2_b32 s12, s12, exec_lo
	s_and_b32 s29, s29, exec_lo
	s_or_b32 s12, s12, s29
	s_or_b32 exec_lo, exec_lo, s28
	s_and_saveexec_b32 s28, s12
	s_cbranch_execnz .LBB6_5290
	s_branch .LBB6_5291
.LBB6_7584:                             ;   in Loop: Header=BB6_5278 Depth=2
	s_or_saveexec_b32 s28, s28
	v_mov_b32_e32 v59, 0x7f800001
	s_xor_b32 exec_lo, exec_lo, s28
	s_cbranch_execz .LBB6_5297
.LBB6_7585:                             ;   in Loop: Header=BB6_5278 Depth=2
	v_cmp_ne_u16_sdwa s29, v48, v30 src0_sel:BYTE_0 src1_sel:DWORD
	v_mov_b32_e32 v59, 0
	s_andn2_b32 s12, s12, exec_lo
	s_and_b32 s29, s29, exec_lo
	s_or_b32 s12, s12, s29
	s_or_b32 exec_lo, exec_lo, s28
	s_and_saveexec_b32 s28, s12
	s_cbranch_execnz .LBB6_5298
	s_branch .LBB6_5299
.LBB6_7586:                             ;   in Loop: Header=BB6_5278 Depth=2
	s_or_saveexec_b32 s28, s28
	v_mov_b32_e32 v2, 0x7f800001
	s_xor_b32 exec_lo, exec_lo, s28
	s_cbranch_execz .LBB6_5303
.LBB6_7587:                             ;   in Loop: Header=BB6_5278 Depth=2
	v_cmp_ne_u16_sdwa s29, v36, v30 src0_sel:BYTE_0 src1_sel:DWORD
	v_mov_b32_e32 v2, 0
	s_andn2_b32 s12, s12, exec_lo
	s_and_b32 s29, s29, exec_lo
	s_or_b32 s12, s12, s29
	s_or_b32 exec_lo, exec_lo, s28
	s_and_saveexec_b32 s28, s12
	s_cbranch_execnz .LBB6_5304
	s_branch .LBB6_5305
.LBB6_7588:                             ;   in Loop: Header=BB6_5278 Depth=2
	s_or_saveexec_b32 s28, s28
	v_mov_b32_e32 v60, 0x7f800001
	s_xor_b32 exec_lo, exec_lo, s28
	s_cbranch_execz .LBB6_5319
.LBB6_7589:                             ;   in Loop: Header=BB6_5278 Depth=2
	v_cmp_ne_u16_sdwa s29, v48, v30 src0_sel:BYTE_1 src1_sel:DWORD
	v_mov_b32_e32 v60, 0
	s_andn2_b32 s12, s12, exec_lo
	s_and_b32 s29, s29, exec_lo
	s_or_b32 s12, s12, s29
	s_or_b32 exec_lo, exec_lo, s28
	s_and_saveexec_b32 s28, s12
	s_cbranch_execnz .LBB6_5320
	s_branch .LBB6_5321
.LBB6_7590:                             ;   in Loop: Header=BB6_5278 Depth=2
	s_or_saveexec_b32 s28, s28
	v_mov_b32_e32 v2, 0x7f800001
	s_xor_b32 exec_lo, exec_lo, s28
	s_cbranch_execz .LBB6_5325
.LBB6_7591:                             ;   in Loop: Header=BB6_5278 Depth=2
	v_cmp_ne_u16_sdwa s29, v36, v30 src0_sel:BYTE_1 src1_sel:DWORD
	v_mov_b32_e32 v2, 0
	s_andn2_b32 s12, s12, exec_lo
	s_and_b32 s29, s29, exec_lo
	s_or_b32 s12, s12, s29
	s_or_b32 exec_lo, exec_lo, s28
	s_and_saveexec_b32 s28, s12
	s_cbranch_execnz .LBB6_5326
	s_branch .LBB6_5327
.LBB6_7592:                             ;   in Loop: Header=BB6_5278 Depth=2
	s_or_saveexec_b32 s28, s28
	v_mov_b32_e32 v60, 0x7f800001
	s_xor_b32 exec_lo, exec_lo, s28
	s_cbranch_execz .LBB6_5333
.LBB6_7593:                             ;   in Loop: Header=BB6_5278 Depth=2
	v_cmp_ne_u16_sdwa s29, v48, v30 src0_sel:BYTE_1 src1_sel:DWORD
	v_mov_b32_e32 v60, 0
	s_andn2_b32 s12, s12, exec_lo
	s_and_b32 s29, s29, exec_lo
	s_or_b32 s12, s12, s29
	s_or_b32 exec_lo, exec_lo, s28
	s_and_saveexec_b32 s28, s12
	s_cbranch_execnz .LBB6_5334
	s_branch .LBB6_5335
.LBB6_7594:                             ;   in Loop: Header=BB6_5278 Depth=2
	s_or_saveexec_b32 s28, s28
	v_mov_b32_e32 v2, 0x7f800001
	s_xor_b32 exec_lo, exec_lo, s28
	s_cbranch_execz .LBB6_5339
.LBB6_7595:                             ;   in Loop: Header=BB6_5278 Depth=2
	v_cmp_ne_u16_sdwa s29, v36, v30 src0_sel:BYTE_1 src1_sel:DWORD
	v_mov_b32_e32 v2, 0
	s_andn2_b32 s12, s12, exec_lo
	s_and_b32 s29, s29, exec_lo
	s_or_b32 s12, s12, s29
	s_or_b32 exec_lo, exec_lo, s28
	s_and_saveexec_b32 s28, s12
	s_cbranch_execnz .LBB6_5340
	s_branch .LBB6_5341
.LBB6_7596:                             ;   in Loop: Header=BB6_5278 Depth=2
	s_or_saveexec_b32 s12, s12
	v_mov_b32_e32 v62, 0x7f800001
	s_xor_b32 exec_lo, exec_lo, s12
	s_cbranch_execz .LBB6_5355
.LBB6_7597:                             ;   in Loop: Header=BB6_5278 Depth=2
	v_cmp_ne_u16_e32 vcc_lo, 0, v61
	v_mov_b32_e32 v62, 0
	s_andn2_b32 s28, s28, exec_lo
	s_and_b32 s29, vcc_lo, exec_lo
	s_or_b32 s28, s28, s29
	s_or_b32 exec_lo, exec_lo, s12
	s_and_saveexec_b32 s12, s28
	s_cbranch_execnz .LBB6_5356
	s_branch .LBB6_5357
.LBB6_7598:                             ;   in Loop: Header=BB6_5278 Depth=2
	s_or_saveexec_b32 s28, s28
	v_mov_b32_e32 v2, 0x7f800001
	s_xor_b32 exec_lo, exec_lo, s28
	s_cbranch_execz .LBB6_5361
.LBB6_7599:                             ;   in Loop: Header=BB6_5278 Depth=2
	v_cmp_ne_u16_e32 vcc_lo, 0, v3
	v_mov_b32_e32 v2, 0
	s_andn2_b32 s12, s12, exec_lo
	s_and_b32 s29, vcc_lo, exec_lo
	s_or_b32 s12, s12, s29
	s_or_b32 exec_lo, exec_lo, s28
	s_and_saveexec_b32 s28, s12
	s_cbranch_execnz .LBB6_5362
	s_branch .LBB6_5363
.LBB6_7600:                             ;   in Loop: Header=BB6_5278 Depth=2
	s_or_saveexec_b32 s28, s28
	v_mov_b32_e32 v62, 0x7f800001
	s_xor_b32 exec_lo, exec_lo, s28
	s_cbranch_execz .LBB6_5369
.LBB6_7601:                             ;   in Loop: Header=BB6_5278 Depth=2
	v_cmp_ne_u16_e32 vcc_lo, 0, v61
	v_mov_b32_e32 v62, 0
	s_andn2_b32 s12, s12, exec_lo
	s_and_b32 s29, vcc_lo, exec_lo
	s_or_b32 s12, s12, s29
	s_or_b32 exec_lo, exec_lo, s28
	s_and_saveexec_b32 s28, s12
	s_cbranch_execnz .LBB6_5370
	s_branch .LBB6_5371
.LBB6_7602:                             ;   in Loop: Header=BB6_5278 Depth=2
	s_or_saveexec_b32 s28, s28
	v_mov_b32_e32 v2, 0x7f800001
	s_xor_b32 exec_lo, exec_lo, s28
	s_cbranch_execz .LBB6_5375
.LBB6_7603:                             ;   in Loop: Header=BB6_5278 Depth=2
	v_cmp_ne_u16_e32 vcc_lo, 0, v3
	v_mov_b32_e32 v2, 0
	s_andn2_b32 s12, s12, exec_lo
	s_and_b32 s29, vcc_lo, exec_lo
	s_or_b32 s12, s12, s29
	s_or_b32 exec_lo, exec_lo, s28
	s_and_saveexec_b32 s28, s12
	s_cbranch_execnz .LBB6_5376
	s_branch .LBB6_5377
.LBB6_7604:                             ;   in Loop: Header=BB6_5278 Depth=2
	s_or_saveexec_b32 s28, s28
	v_mov_b32_e32 v62, 0x7f800001
	s_xor_b32 exec_lo, exec_lo, s28
	s_cbranch_execz .LBB6_5391
.LBB6_7605:                             ;   in Loop: Header=BB6_5278 Depth=2
	v_cmp_ne_u16_sdwa s29, v48, v30 src0_sel:BYTE_3 src1_sel:DWORD
	v_mov_b32_e32 v62, 0
	s_andn2_b32 s12, s12, exec_lo
	s_and_b32 s29, s29, exec_lo
	s_or_b32 s12, s12, s29
	s_or_b32 exec_lo, exec_lo, s28
	s_and_saveexec_b32 s28, s12
	s_cbranch_execnz .LBB6_5392
	s_branch .LBB6_5393
.LBB6_7606:                             ;   in Loop: Header=BB6_5278 Depth=2
	s_or_saveexec_b32 s28, s28
	v_mov_b32_e32 v2, 0x7f800001
	s_xor_b32 exec_lo, exec_lo, s28
	s_cbranch_execz .LBB6_5397
.LBB6_7607:                             ;   in Loop: Header=BB6_5278 Depth=2
	v_cmp_ne_u16_sdwa s29, v36, v30 src0_sel:BYTE_3 src1_sel:DWORD
	v_mov_b32_e32 v2, 0
	s_andn2_b32 s12, s12, exec_lo
	s_and_b32 s29, s29, exec_lo
	s_or_b32 s12, s12, s29
	s_or_b32 exec_lo, exec_lo, s28
	s_and_saveexec_b32 s28, s12
	s_cbranch_execnz .LBB6_5398
	s_branch .LBB6_5399
.LBB6_7608:                             ;   in Loop: Header=BB6_5278 Depth=2
	s_or_saveexec_b32 s28, s28
	v_mov_b32_e32 v62, 0x7f800001
	s_xor_b32 exec_lo, exec_lo, s28
	s_cbranch_execz .LBB6_5405
.LBB6_7609:                             ;   in Loop: Header=BB6_5278 Depth=2
	v_cmp_ne_u16_sdwa s29, v48, v30 src0_sel:BYTE_3 src1_sel:DWORD
	v_mov_b32_e32 v62, 0
	s_andn2_b32 s12, s12, exec_lo
	s_and_b32 s29, s29, exec_lo
	s_or_b32 s12, s12, s29
	s_or_b32 exec_lo, exec_lo, s28
	s_and_saveexec_b32 s28, s12
	s_cbranch_execnz .LBB6_5406
	s_branch .LBB6_5407
.LBB6_7610:                             ;   in Loop: Header=BB6_5278 Depth=2
	s_or_saveexec_b32 s28, s28
	v_mov_b32_e32 v2, 0x7f800001
	s_xor_b32 exec_lo, exec_lo, s28
	s_cbranch_execz .LBB6_5411
.LBB6_7611:                             ;   in Loop: Header=BB6_5278 Depth=2
	v_cmp_ne_u16_sdwa s29, v36, v30 src0_sel:BYTE_3 src1_sel:DWORD
	v_mov_b32_e32 v2, 0
	s_andn2_b32 s12, s12, exec_lo
	s_and_b32 s29, s29, exec_lo
	s_or_b32 s12, s12, s29
	s_or_b32 exec_lo, exec_lo, s28
	s_and_saveexec_b32 s28, s12
	s_cbranch_execnz .LBB6_5412
	s_branch .LBB6_5413
.LBB6_7612:                             ;   in Loop: Header=BB6_5278 Depth=2
	s_or_saveexec_b32 s28, s28
	v_mov_b32_e32 v48, 0x7f800001
	s_xor_b32 exec_lo, exec_lo, s28
	s_cbranch_execz .LBB6_5427
.LBB6_7613:                             ;   in Loop: Header=BB6_5278 Depth=2
	v_cmp_ne_u16_sdwa s29, v49, v30 src0_sel:BYTE_0 src1_sel:DWORD
	v_mov_b32_e32 v48, 0
	s_andn2_b32 s12, s12, exec_lo
	s_and_b32 s29, s29, exec_lo
	s_or_b32 s12, s12, s29
	s_or_b32 exec_lo, exec_lo, s28
	s_and_saveexec_b32 s28, s12
	s_cbranch_execnz .LBB6_5428
	s_branch .LBB6_5429
.LBB6_7614:                             ;   in Loop: Header=BB6_5278 Depth=2
	s_or_saveexec_b32 s28, s28
	v_mov_b32_e32 v2, 0x7f800001
	s_xor_b32 exec_lo, exec_lo, s28
	s_cbranch_execz .LBB6_5433
.LBB6_7615:                             ;   in Loop: Header=BB6_5278 Depth=2
	v_cmp_ne_u16_sdwa s29, v37, v30 src0_sel:BYTE_0 src1_sel:DWORD
	v_mov_b32_e32 v2, 0
	s_andn2_b32 s12, s12, exec_lo
	s_and_b32 s29, s29, exec_lo
	s_or_b32 s12, s12, s29
	s_or_b32 exec_lo, exec_lo, s28
	s_and_saveexec_b32 s28, s12
	s_cbranch_execnz .LBB6_5434
	s_branch .LBB6_5435
.LBB6_7616:                             ;   in Loop: Header=BB6_5278 Depth=2
	s_or_saveexec_b32 s28, s28
	v_mov_b32_e32 v48, 0x7f800001
	s_xor_b32 exec_lo, exec_lo, s28
	s_cbranch_execz .LBB6_5441
.LBB6_7617:                             ;   in Loop: Header=BB6_5278 Depth=2
	v_cmp_ne_u16_sdwa s29, v49, v30 src0_sel:BYTE_0 src1_sel:DWORD
	v_mov_b32_e32 v48, 0
	s_andn2_b32 s12, s12, exec_lo
	s_and_b32 s29, s29, exec_lo
	s_or_b32 s12, s12, s29
	s_or_b32 exec_lo, exec_lo, s28
	s_and_saveexec_b32 s28, s12
	s_cbranch_execnz .LBB6_5442
	s_branch .LBB6_5443
.LBB6_7618:                             ;   in Loop: Header=BB6_5278 Depth=2
	s_or_saveexec_b32 s28, s28
	v_mov_b32_e32 v2, 0x7f800001
	s_xor_b32 exec_lo, exec_lo, s28
	s_cbranch_execz .LBB6_5447
.LBB6_7619:                             ;   in Loop: Header=BB6_5278 Depth=2
	v_cmp_ne_u16_sdwa s29, v37, v30 src0_sel:BYTE_0 src1_sel:DWORD
	v_mov_b32_e32 v2, 0
	s_andn2_b32 s12, s12, exec_lo
	s_and_b32 s29, s29, exec_lo
	s_or_b32 s12, s12, s29
	s_or_b32 exec_lo, exec_lo, s28
	s_and_saveexec_b32 s28, s12
	s_cbranch_execnz .LBB6_5448
	s_branch .LBB6_5449
.LBB6_7620:                             ;   in Loop: Header=BB6_5278 Depth=2
	s_or_saveexec_b32 s28, s28
	v_mov_b32_e32 v62, 0x7f800001
	s_xor_b32 exec_lo, exec_lo, s28
	s_cbranch_execz .LBB6_5463
.LBB6_7621:                             ;   in Loop: Header=BB6_5278 Depth=2
	v_cmp_ne_u16_sdwa s29, v49, v30 src0_sel:BYTE_1 src1_sel:DWORD
	v_mov_b32_e32 v62, 0
	s_andn2_b32 s12, s12, exec_lo
	s_and_b32 s29, s29, exec_lo
	s_or_b32 s12, s12, s29
	s_or_b32 exec_lo, exec_lo, s28
	s_and_saveexec_b32 s28, s12
	s_cbranch_execnz .LBB6_5464
	s_branch .LBB6_5465
.LBB6_7622:                             ;   in Loop: Header=BB6_5278 Depth=2
	s_or_saveexec_b32 s28, s28
	v_mov_b32_e32 v2, 0x7f800001
	s_xor_b32 exec_lo, exec_lo, s28
	s_cbranch_execz .LBB6_5469
.LBB6_7623:                             ;   in Loop: Header=BB6_5278 Depth=2
	v_cmp_ne_u16_sdwa s29, v37, v30 src0_sel:BYTE_1 src1_sel:DWORD
	v_mov_b32_e32 v2, 0
	s_andn2_b32 s12, s12, exec_lo
	s_and_b32 s29, s29, exec_lo
	s_or_b32 s12, s12, s29
	s_or_b32 exec_lo, exec_lo, s28
	s_and_saveexec_b32 s28, s12
	s_cbranch_execnz .LBB6_5470
	s_branch .LBB6_5471
.LBB6_7624:                             ;   in Loop: Header=BB6_5278 Depth=2
	s_or_saveexec_b32 s28, s28
	v_mov_b32_e32 v62, 0x7f800001
	s_xor_b32 exec_lo, exec_lo, s28
	s_cbranch_execz .LBB6_5477
.LBB6_7625:                             ;   in Loop: Header=BB6_5278 Depth=2
	v_cmp_ne_u16_sdwa s29, v49, v30 src0_sel:BYTE_1 src1_sel:DWORD
	v_mov_b32_e32 v62, 0
	s_andn2_b32 s12, s12, exec_lo
	s_and_b32 s29, s29, exec_lo
	s_or_b32 s12, s12, s29
	s_or_b32 exec_lo, exec_lo, s28
	s_and_saveexec_b32 s28, s12
	s_cbranch_execnz .LBB6_5478
	s_branch .LBB6_5479
.LBB6_7626:                             ;   in Loop: Header=BB6_5278 Depth=2
	s_or_saveexec_b32 s28, s28
	v_mov_b32_e32 v2, 0x7f800001
	s_xor_b32 exec_lo, exec_lo, s28
	s_cbranch_execz .LBB6_5483
.LBB6_7627:                             ;   in Loop: Header=BB6_5278 Depth=2
	v_cmp_ne_u16_sdwa s29, v37, v30 src0_sel:BYTE_1 src1_sel:DWORD
	v_mov_b32_e32 v2, 0
	s_andn2_b32 s12, s12, exec_lo
	s_and_b32 s29, s29, exec_lo
	s_or_b32 s12, s12, s29
	s_or_b32 exec_lo, exec_lo, s28
	s_and_saveexec_b32 s28, s12
	s_cbranch_execnz .LBB6_5484
	s_branch .LBB6_5485
.LBB6_7628:                             ;   in Loop: Header=BB6_5278 Depth=2
	s_or_saveexec_b32 s12, s12
	v_mov_b32_e32 v72, 0x7f800001
	s_xor_b32 exec_lo, exec_lo, s12
	s_cbranch_execz .LBB6_5499
.LBB6_7629:                             ;   in Loop: Header=BB6_5278 Depth=2
	v_cmp_ne_u16_e32 vcc_lo, 0, v63
	v_mov_b32_e32 v72, 0
	s_andn2_b32 s28, s28, exec_lo
	s_and_b32 s29, vcc_lo, exec_lo
	s_or_b32 s28, s28, s29
	s_or_b32 exec_lo, exec_lo, s12
	s_and_saveexec_b32 s12, s28
	s_cbranch_execnz .LBB6_5500
	s_branch .LBB6_5501
.LBB6_7630:                             ;   in Loop: Header=BB6_5278 Depth=2
	s_or_saveexec_b32 s28, s28
	v_mov_b32_e32 v2, 0x7f800001
	s_xor_b32 exec_lo, exec_lo, s28
	s_cbranch_execz .LBB6_5505
.LBB6_7631:                             ;   in Loop: Header=BB6_5278 Depth=2
	v_cmp_ne_u16_e32 vcc_lo, 0, v3
	v_mov_b32_e32 v2, 0
	s_andn2_b32 s12, s12, exec_lo
	s_and_b32 s29, vcc_lo, exec_lo
	s_or_b32 s12, s12, s29
	s_or_b32 exec_lo, exec_lo, s28
	s_and_saveexec_b32 s28, s12
	s_cbranch_execnz .LBB6_5506
	s_branch .LBB6_5507
.LBB6_7632:                             ;   in Loop: Header=BB6_5278 Depth=2
	s_or_saveexec_b32 s28, s28
	v_mov_b32_e32 v72, 0x7f800001
	s_xor_b32 exec_lo, exec_lo, s28
	s_cbranch_execz .LBB6_5513
.LBB6_7633:                             ;   in Loop: Header=BB6_5278 Depth=2
	v_cmp_ne_u16_e32 vcc_lo, 0, v63
	v_mov_b32_e32 v72, 0
	s_andn2_b32 s12, s12, exec_lo
	s_and_b32 s29, vcc_lo, exec_lo
	s_or_b32 s12, s12, s29
	s_or_b32 exec_lo, exec_lo, s28
	s_and_saveexec_b32 s28, s12
	s_cbranch_execnz .LBB6_5514
	s_branch .LBB6_5515
.LBB6_7634:                             ;   in Loop: Header=BB6_5278 Depth=2
	s_or_saveexec_b32 s28, s28
	v_mov_b32_e32 v2, 0x7f800001
	s_xor_b32 exec_lo, exec_lo, s28
	s_cbranch_execz .LBB6_5519
.LBB6_7635:                             ;   in Loop: Header=BB6_5278 Depth=2
	v_cmp_ne_u16_e32 vcc_lo, 0, v3
	v_mov_b32_e32 v2, 0
	s_andn2_b32 s12, s12, exec_lo
	s_and_b32 s29, vcc_lo, exec_lo
	s_or_b32 s12, s12, s29
	s_or_b32 exec_lo, exec_lo, s28
	s_and_saveexec_b32 s28, s12
	s_cbranch_execnz .LBB6_5520
	s_branch .LBB6_5521
.LBB6_7636:                             ;   in Loop: Header=BB6_5278 Depth=2
	s_or_saveexec_b32 s28, s28
	v_mov_b32_e32 v72, 0x7f800001
	s_xor_b32 exec_lo, exec_lo, s28
	s_cbranch_execz .LBB6_5535
.LBB6_7637:                             ;   in Loop: Header=BB6_5278 Depth=2
	v_cmp_ne_u16_sdwa s29, v49, v30 src0_sel:BYTE_3 src1_sel:DWORD
	v_mov_b32_e32 v72, 0
	s_andn2_b32 s12, s12, exec_lo
	s_and_b32 s29, s29, exec_lo
	s_or_b32 s12, s12, s29
	s_or_b32 exec_lo, exec_lo, s28
	s_and_saveexec_b32 s28, s12
	s_cbranch_execnz .LBB6_5536
	s_branch .LBB6_5537
.LBB6_7638:                             ;   in Loop: Header=BB6_5278 Depth=2
	s_or_saveexec_b32 s28, s28
	v_mov_b32_e32 v2, 0x7f800001
	s_xor_b32 exec_lo, exec_lo, s28
	s_cbranch_execz .LBB6_5541
.LBB6_7639:                             ;   in Loop: Header=BB6_5278 Depth=2
	v_cmp_ne_u16_sdwa s29, v37, v30 src0_sel:BYTE_3 src1_sel:DWORD
	v_mov_b32_e32 v2, 0
	s_andn2_b32 s12, s12, exec_lo
	s_and_b32 s29, s29, exec_lo
	s_or_b32 s12, s12, s29
	s_or_b32 exec_lo, exec_lo, s28
	s_and_saveexec_b32 s28, s12
	s_cbranch_execnz .LBB6_5542
	s_branch .LBB6_5543
.LBB6_7640:                             ;   in Loop: Header=BB6_5278 Depth=2
	s_or_saveexec_b32 s28, s28
	v_mov_b32_e32 v72, 0x7f800001
	s_xor_b32 exec_lo, exec_lo, s28
	s_cbranch_execz .LBB6_5549
.LBB6_7641:                             ;   in Loop: Header=BB6_5278 Depth=2
	v_cmp_ne_u16_sdwa s29, v49, v30 src0_sel:BYTE_3 src1_sel:DWORD
	v_mov_b32_e32 v72, 0
	s_andn2_b32 s12, s12, exec_lo
	s_and_b32 s29, s29, exec_lo
	s_or_b32 s12, s12, s29
	s_or_b32 exec_lo, exec_lo, s28
	s_and_saveexec_b32 s28, s12
	s_cbranch_execnz .LBB6_5550
	s_branch .LBB6_5551
.LBB6_7642:                             ;   in Loop: Header=BB6_5278 Depth=2
	s_or_saveexec_b32 s28, s28
	v_mov_b32_e32 v2, 0x7f800001
	s_xor_b32 exec_lo, exec_lo, s28
	s_cbranch_execz .LBB6_5555
.LBB6_7643:                             ;   in Loop: Header=BB6_5278 Depth=2
	v_cmp_ne_u16_sdwa s29, v37, v30 src0_sel:BYTE_3 src1_sel:DWORD
	v_mov_b32_e32 v2, 0
	s_andn2_b32 s12, s12, exec_lo
	s_and_b32 s29, s29, exec_lo
	s_or_b32 s12, s12, s29
	s_or_b32 exec_lo, exec_lo, s28
	s_and_saveexec_b32 s28, s12
	s_cbranch_execnz .LBB6_5556
	s_branch .LBB6_5557
.LBB6_7644:                             ;   in Loop: Header=BB6_5278 Depth=2
	s_or_saveexec_b32 s28, s28
	v_mov_b32_e32 v49, 0x7f800001
	s_xor_b32 exec_lo, exec_lo, s28
	s_cbranch_execz .LBB6_5571
.LBB6_7645:                             ;   in Loop: Header=BB6_5278 Depth=2
	v_cmp_ne_u16_sdwa s29, v50, v30 src0_sel:BYTE_0 src1_sel:DWORD
	v_mov_b32_e32 v49, 0
	s_andn2_b32 s12, s12, exec_lo
	s_and_b32 s29, s29, exec_lo
	s_or_b32 s12, s12, s29
	s_or_b32 exec_lo, exec_lo, s28
	s_and_saveexec_b32 s28, s12
	s_cbranch_execnz .LBB6_5572
	s_branch .LBB6_5573
.LBB6_7646:                             ;   in Loop: Header=BB6_5278 Depth=2
	s_or_saveexec_b32 s28, s28
	v_mov_b32_e32 v2, 0x7f800001
	s_xor_b32 exec_lo, exec_lo, s28
	s_cbranch_execz .LBB6_5577
.LBB6_7647:                             ;   in Loop: Header=BB6_5278 Depth=2
	v_cmp_ne_u16_sdwa s29, v38, v30 src0_sel:BYTE_0 src1_sel:DWORD
	v_mov_b32_e32 v2, 0
	s_andn2_b32 s12, s12, exec_lo
	s_and_b32 s29, s29, exec_lo
	s_or_b32 s12, s12, s29
	s_or_b32 exec_lo, exec_lo, s28
	s_and_saveexec_b32 s28, s12
	s_cbranch_execnz .LBB6_5578
	s_branch .LBB6_5579
.LBB6_7648:                             ;   in Loop: Header=BB6_5278 Depth=2
	s_or_saveexec_b32 s28, s28
	v_mov_b32_e32 v49, 0x7f800001
	s_xor_b32 exec_lo, exec_lo, s28
	s_cbranch_execz .LBB6_5585
.LBB6_7649:                             ;   in Loop: Header=BB6_5278 Depth=2
	v_cmp_ne_u16_sdwa s29, v50, v30 src0_sel:BYTE_0 src1_sel:DWORD
	v_mov_b32_e32 v49, 0
	s_andn2_b32 s12, s12, exec_lo
	s_and_b32 s29, s29, exec_lo
	s_or_b32 s12, s12, s29
	s_or_b32 exec_lo, exec_lo, s28
	s_and_saveexec_b32 s28, s12
	s_cbranch_execnz .LBB6_5586
	s_branch .LBB6_5587
.LBB6_7650:                             ;   in Loop: Header=BB6_5278 Depth=2
	s_or_saveexec_b32 s28, s28
	v_mov_b32_e32 v2, 0x7f800001
	s_xor_b32 exec_lo, exec_lo, s28
	s_cbranch_execz .LBB6_5591
.LBB6_7651:                             ;   in Loop: Header=BB6_5278 Depth=2
	v_cmp_ne_u16_sdwa s29, v38, v30 src0_sel:BYTE_0 src1_sel:DWORD
	v_mov_b32_e32 v2, 0
	s_andn2_b32 s12, s12, exec_lo
	s_and_b32 s29, s29, exec_lo
	s_or_b32 s12, s12, s29
	s_or_b32 exec_lo, exec_lo, s28
	s_and_saveexec_b32 s28, s12
	s_cbranch_execnz .LBB6_5592
	s_branch .LBB6_5593
.LBB6_7652:                             ;   in Loop: Header=BB6_5278 Depth=2
	s_or_saveexec_b32 s28, s28
	v_mov_b32_e32 v72, 0x7f800001
	s_xor_b32 exec_lo, exec_lo, s28
	s_cbranch_execz .LBB6_5607
.LBB6_7653:                             ;   in Loop: Header=BB6_5278 Depth=2
	v_cmp_ne_u16_sdwa s29, v50, v30 src0_sel:BYTE_1 src1_sel:DWORD
	v_mov_b32_e32 v72, 0
	s_andn2_b32 s12, s12, exec_lo
	s_and_b32 s29, s29, exec_lo
	s_or_b32 s12, s12, s29
	s_or_b32 exec_lo, exec_lo, s28
	s_and_saveexec_b32 s28, s12
	s_cbranch_execnz .LBB6_5608
	s_branch .LBB6_5609
.LBB6_7654:                             ;   in Loop: Header=BB6_5278 Depth=2
	s_or_saveexec_b32 s28, s28
	v_mov_b32_e32 v2, 0x7f800001
	s_xor_b32 exec_lo, exec_lo, s28
	s_cbranch_execz .LBB6_5613
.LBB6_7655:                             ;   in Loop: Header=BB6_5278 Depth=2
	v_cmp_ne_u16_sdwa s29, v38, v30 src0_sel:BYTE_1 src1_sel:DWORD
	v_mov_b32_e32 v2, 0
	s_andn2_b32 s12, s12, exec_lo
	s_and_b32 s29, s29, exec_lo
	s_or_b32 s12, s12, s29
	s_or_b32 exec_lo, exec_lo, s28
	s_and_saveexec_b32 s28, s12
	s_cbranch_execnz .LBB6_5614
	s_branch .LBB6_5615
.LBB6_7656:                             ;   in Loop: Header=BB6_5278 Depth=2
	s_or_saveexec_b32 s28, s28
	v_mov_b32_e32 v72, 0x7f800001
	s_xor_b32 exec_lo, exec_lo, s28
	s_cbranch_execz .LBB6_5621
.LBB6_7657:                             ;   in Loop: Header=BB6_5278 Depth=2
	v_cmp_ne_u16_sdwa s29, v50, v30 src0_sel:BYTE_1 src1_sel:DWORD
	v_mov_b32_e32 v72, 0
	s_andn2_b32 s12, s12, exec_lo
	s_and_b32 s29, s29, exec_lo
	s_or_b32 s12, s12, s29
	s_or_b32 exec_lo, exec_lo, s28
	s_and_saveexec_b32 s28, s12
	s_cbranch_execnz .LBB6_5622
	s_branch .LBB6_5623
.LBB6_7658:                             ;   in Loop: Header=BB6_5278 Depth=2
	s_or_saveexec_b32 s28, s28
	v_mov_b32_e32 v2, 0x7f800001
	s_xor_b32 exec_lo, exec_lo, s28
	s_cbranch_execz .LBB6_5627
.LBB6_7659:                             ;   in Loop: Header=BB6_5278 Depth=2
	v_cmp_ne_u16_sdwa s29, v38, v30 src0_sel:BYTE_1 src1_sel:DWORD
	v_mov_b32_e32 v2, 0
	s_andn2_b32 s12, s12, exec_lo
	s_and_b32 s29, s29, exec_lo
	s_or_b32 s12, s12, s29
	s_or_b32 exec_lo, exec_lo, s28
	s_and_saveexec_b32 s28, s12
	s_cbranch_execnz .LBB6_5628
	s_branch .LBB6_5629
.LBB6_7660:                             ;   in Loop: Header=BB6_5278 Depth=2
	s_or_saveexec_b32 s12, s12
	v_mov_b32_e32 v74, 0x7f800001
	s_xor_b32 exec_lo, exec_lo, s12
	s_cbranch_execz .LBB6_5643
.LBB6_7661:                             ;   in Loop: Header=BB6_5278 Depth=2
	v_cmp_ne_u16_e32 vcc_lo, 0, v73
	v_mov_b32_e32 v74, 0
	s_andn2_b32 s28, s28, exec_lo
	s_and_b32 s29, vcc_lo, exec_lo
	s_or_b32 s28, s28, s29
	s_or_b32 exec_lo, exec_lo, s12
	s_and_saveexec_b32 s12, s28
	s_cbranch_execnz .LBB6_5644
	s_branch .LBB6_5645
.LBB6_7662:                             ;   in Loop: Header=BB6_5278 Depth=2
	s_or_saveexec_b32 s28, s28
	v_mov_b32_e32 v2, 0x7f800001
	s_xor_b32 exec_lo, exec_lo, s28
	s_cbranch_execz .LBB6_5649
.LBB6_7663:                             ;   in Loop: Header=BB6_5278 Depth=2
	v_cmp_ne_u16_e32 vcc_lo, 0, v3
	v_mov_b32_e32 v2, 0
	s_andn2_b32 s12, s12, exec_lo
	s_and_b32 s29, vcc_lo, exec_lo
	s_or_b32 s12, s12, s29
	s_or_b32 exec_lo, exec_lo, s28
	s_and_saveexec_b32 s28, s12
	s_cbranch_execnz .LBB6_5650
	s_branch .LBB6_5651
.LBB6_7664:                             ;   in Loop: Header=BB6_5278 Depth=2
	s_or_saveexec_b32 s28, s28
	v_mov_b32_e32 v74, 0x7f800001
	s_xor_b32 exec_lo, exec_lo, s28
	s_cbranch_execz .LBB6_5657
.LBB6_7665:                             ;   in Loop: Header=BB6_5278 Depth=2
	v_cmp_ne_u16_e32 vcc_lo, 0, v73
	v_mov_b32_e32 v74, 0
	s_andn2_b32 s12, s12, exec_lo
	s_and_b32 s29, vcc_lo, exec_lo
	s_or_b32 s12, s12, s29
	s_or_b32 exec_lo, exec_lo, s28
	s_and_saveexec_b32 s28, s12
	s_cbranch_execnz .LBB6_5658
	s_branch .LBB6_5659
.LBB6_7666:                             ;   in Loop: Header=BB6_5278 Depth=2
	s_or_saveexec_b32 s28, s28
	v_mov_b32_e32 v2, 0x7f800001
	s_xor_b32 exec_lo, exec_lo, s28
	s_cbranch_execz .LBB6_5663
.LBB6_7667:                             ;   in Loop: Header=BB6_5278 Depth=2
	v_cmp_ne_u16_e32 vcc_lo, 0, v3
	v_mov_b32_e32 v2, 0
	s_andn2_b32 s12, s12, exec_lo
	s_and_b32 s29, vcc_lo, exec_lo
	s_or_b32 s12, s12, s29
	s_or_b32 exec_lo, exec_lo, s28
	s_and_saveexec_b32 s28, s12
	s_cbranch_execnz .LBB6_5664
	s_branch .LBB6_5665
.LBB6_7668:                             ;   in Loop: Header=BB6_5278 Depth=2
	s_or_saveexec_b32 s28, s28
	v_mov_b32_e32 v74, 0x7f800001
	s_xor_b32 exec_lo, exec_lo, s28
	s_cbranch_execz .LBB6_5679
.LBB6_7669:                             ;   in Loop: Header=BB6_5278 Depth=2
	v_cmp_ne_u16_sdwa s29, v50, v30 src0_sel:BYTE_3 src1_sel:DWORD
	v_mov_b32_e32 v74, 0
	s_andn2_b32 s12, s12, exec_lo
	s_and_b32 s29, s29, exec_lo
	s_or_b32 s12, s12, s29
	s_or_b32 exec_lo, exec_lo, s28
	s_and_saveexec_b32 s28, s12
	s_cbranch_execnz .LBB6_5680
	s_branch .LBB6_5681
.LBB6_7670:                             ;   in Loop: Header=BB6_5278 Depth=2
	s_or_saveexec_b32 s28, s28
	v_mov_b32_e32 v2, 0x7f800001
	s_xor_b32 exec_lo, exec_lo, s28
	s_cbranch_execz .LBB6_5685
.LBB6_7671:                             ;   in Loop: Header=BB6_5278 Depth=2
	v_cmp_ne_u16_sdwa s29, v38, v30 src0_sel:BYTE_3 src1_sel:DWORD
	v_mov_b32_e32 v2, 0
	s_andn2_b32 s12, s12, exec_lo
	s_and_b32 s29, s29, exec_lo
	s_or_b32 s12, s12, s29
	s_or_b32 exec_lo, exec_lo, s28
	s_and_saveexec_b32 s28, s12
	s_cbranch_execnz .LBB6_5686
	s_branch .LBB6_5687
.LBB6_7672:                             ;   in Loop: Header=BB6_5278 Depth=2
	s_or_saveexec_b32 s28, s28
	v_mov_b32_e32 v74, 0x7f800001
	s_xor_b32 exec_lo, exec_lo, s28
	s_cbranch_execz .LBB6_5693
.LBB6_7673:                             ;   in Loop: Header=BB6_5278 Depth=2
	v_cmp_ne_u16_sdwa s29, v50, v30 src0_sel:BYTE_3 src1_sel:DWORD
	v_mov_b32_e32 v74, 0
	s_andn2_b32 s12, s12, exec_lo
	s_and_b32 s29, s29, exec_lo
	s_or_b32 s12, s12, s29
	s_or_b32 exec_lo, exec_lo, s28
	s_and_saveexec_b32 s28, s12
	s_cbranch_execnz .LBB6_5694
	s_branch .LBB6_5695
.LBB6_7674:                             ;   in Loop: Header=BB6_5278 Depth=2
	s_or_saveexec_b32 s28, s28
	v_mov_b32_e32 v2, 0x7f800001
	s_xor_b32 exec_lo, exec_lo, s28
	s_cbranch_execz .LBB6_5699
.LBB6_7675:                             ;   in Loop: Header=BB6_5278 Depth=2
	v_cmp_ne_u16_sdwa s29, v38, v30 src0_sel:BYTE_3 src1_sel:DWORD
	v_mov_b32_e32 v2, 0
	s_andn2_b32 s12, s12, exec_lo
	s_and_b32 s29, s29, exec_lo
	s_or_b32 s12, s12, s29
	s_or_b32 exec_lo, exec_lo, s28
	s_and_saveexec_b32 s28, s12
	s_cbranch_execnz .LBB6_5700
	s_branch .LBB6_5701
.LBB6_7676:                             ;   in Loop: Header=BB6_5278 Depth=2
	s_or_saveexec_b32 s28, s28
	v_mov_b32_e32 v50, 0x7f800001
	s_xor_b32 exec_lo, exec_lo, s28
	s_cbranch_execz .LBB6_5715
.LBB6_7677:                             ;   in Loop: Header=BB6_5278 Depth=2
	v_cmp_ne_u16_sdwa s29, v51, v30 src0_sel:BYTE_0 src1_sel:DWORD
	v_mov_b32_e32 v50, 0
	s_andn2_b32 s12, s12, exec_lo
	s_and_b32 s29, s29, exec_lo
	s_or_b32 s12, s12, s29
	s_or_b32 exec_lo, exec_lo, s28
	s_and_saveexec_b32 s28, s12
	s_cbranch_execnz .LBB6_5716
	s_branch .LBB6_5717
.LBB6_7678:                             ;   in Loop: Header=BB6_5278 Depth=2
	s_or_saveexec_b32 s28, s28
	v_mov_b32_e32 v2, 0x7f800001
	s_xor_b32 exec_lo, exec_lo, s28
	s_cbranch_execz .LBB6_5721
.LBB6_7679:                             ;   in Loop: Header=BB6_5278 Depth=2
	v_cmp_ne_u16_sdwa s29, v39, v30 src0_sel:BYTE_0 src1_sel:DWORD
	v_mov_b32_e32 v2, 0
	s_andn2_b32 s12, s12, exec_lo
	s_and_b32 s29, s29, exec_lo
	s_or_b32 s12, s12, s29
	s_or_b32 exec_lo, exec_lo, s28
	s_and_saveexec_b32 s28, s12
	s_cbranch_execnz .LBB6_5722
	s_branch .LBB6_5723
.LBB6_7680:                             ;   in Loop: Header=BB6_5278 Depth=2
	s_or_saveexec_b32 s28, s28
	v_mov_b32_e32 v50, 0x7f800001
	s_xor_b32 exec_lo, exec_lo, s28
	s_cbranch_execz .LBB6_5729
.LBB6_7681:                             ;   in Loop: Header=BB6_5278 Depth=2
	v_cmp_ne_u16_sdwa s29, v51, v30 src0_sel:BYTE_0 src1_sel:DWORD
	v_mov_b32_e32 v50, 0
	s_andn2_b32 s12, s12, exec_lo
	s_and_b32 s29, s29, exec_lo
	s_or_b32 s12, s12, s29
	s_or_b32 exec_lo, exec_lo, s28
	s_and_saveexec_b32 s28, s12
	s_cbranch_execnz .LBB6_5730
	s_branch .LBB6_5731
.LBB6_7682:                             ;   in Loop: Header=BB6_5278 Depth=2
	s_or_saveexec_b32 s28, s28
	v_mov_b32_e32 v2, 0x7f800001
	s_xor_b32 exec_lo, exec_lo, s28
	s_cbranch_execz .LBB6_5735
.LBB6_7683:                             ;   in Loop: Header=BB6_5278 Depth=2
	v_cmp_ne_u16_sdwa s29, v39, v30 src0_sel:BYTE_0 src1_sel:DWORD
	v_mov_b32_e32 v2, 0
	s_andn2_b32 s12, s12, exec_lo
	s_and_b32 s29, s29, exec_lo
	s_or_b32 s12, s12, s29
	s_or_b32 exec_lo, exec_lo, s28
	s_and_saveexec_b32 s28, s12
	s_cbranch_execnz .LBB6_5736
	s_branch .LBB6_5737
.LBB6_7684:                             ;   in Loop: Header=BB6_5278 Depth=2
	s_or_saveexec_b32 s28, s28
	v_mov_b32_e32 v74, 0x7f800001
	s_xor_b32 exec_lo, exec_lo, s28
	s_cbranch_execz .LBB6_5751
.LBB6_7685:                             ;   in Loop: Header=BB6_5278 Depth=2
	v_cmp_ne_u16_sdwa s29, v51, v30 src0_sel:BYTE_1 src1_sel:DWORD
	v_mov_b32_e32 v74, 0
	s_andn2_b32 s12, s12, exec_lo
	s_and_b32 s29, s29, exec_lo
	s_or_b32 s12, s12, s29
	s_or_b32 exec_lo, exec_lo, s28
	s_and_saveexec_b32 s28, s12
	s_cbranch_execnz .LBB6_5752
	s_branch .LBB6_5753
.LBB6_7686:                             ;   in Loop: Header=BB6_5278 Depth=2
	s_or_saveexec_b32 s28, s28
	v_mov_b32_e32 v2, 0x7f800001
	s_xor_b32 exec_lo, exec_lo, s28
	s_cbranch_execz .LBB6_5757
.LBB6_7687:                             ;   in Loop: Header=BB6_5278 Depth=2
	v_cmp_ne_u16_sdwa s29, v39, v30 src0_sel:BYTE_1 src1_sel:DWORD
	v_mov_b32_e32 v2, 0
	s_andn2_b32 s12, s12, exec_lo
	s_and_b32 s29, s29, exec_lo
	s_or_b32 s12, s12, s29
	s_or_b32 exec_lo, exec_lo, s28
	s_and_saveexec_b32 s28, s12
	s_cbranch_execnz .LBB6_5758
	s_branch .LBB6_5759
.LBB6_7688:                             ;   in Loop: Header=BB6_5278 Depth=2
	s_or_saveexec_b32 s28, s28
	v_mov_b32_e32 v74, 0x7f800001
	s_xor_b32 exec_lo, exec_lo, s28
	s_cbranch_execz .LBB6_5765
.LBB6_7689:                             ;   in Loop: Header=BB6_5278 Depth=2
	v_cmp_ne_u16_sdwa s29, v51, v30 src0_sel:BYTE_1 src1_sel:DWORD
	v_mov_b32_e32 v74, 0
	s_andn2_b32 s12, s12, exec_lo
	s_and_b32 s29, s29, exec_lo
	s_or_b32 s12, s12, s29
	s_or_b32 exec_lo, exec_lo, s28
	s_and_saveexec_b32 s28, s12
	s_cbranch_execnz .LBB6_5766
	s_branch .LBB6_5767
.LBB6_7690:                             ;   in Loop: Header=BB6_5278 Depth=2
	s_or_saveexec_b32 s28, s28
	v_mov_b32_e32 v2, 0x7f800001
	s_xor_b32 exec_lo, exec_lo, s28
	s_cbranch_execz .LBB6_5771
.LBB6_7691:                             ;   in Loop: Header=BB6_5278 Depth=2
	v_cmp_ne_u16_sdwa s29, v39, v30 src0_sel:BYTE_1 src1_sel:DWORD
	v_mov_b32_e32 v2, 0
	s_andn2_b32 s12, s12, exec_lo
	s_and_b32 s29, s29, exec_lo
	s_or_b32 s12, s12, s29
	s_or_b32 exec_lo, exec_lo, s28
	s_and_saveexec_b32 s28, s12
	s_cbranch_execnz .LBB6_5772
	s_branch .LBB6_5773
.LBB6_7692:                             ;   in Loop: Header=BB6_5278 Depth=2
	s_or_saveexec_b32 s12, s12
	v_mov_b32_e32 v76, 0x7f800001
	s_xor_b32 exec_lo, exec_lo, s12
	s_cbranch_execz .LBB6_5787
.LBB6_7693:                             ;   in Loop: Header=BB6_5278 Depth=2
	v_cmp_ne_u16_e32 vcc_lo, 0, v75
	v_mov_b32_e32 v76, 0
	s_andn2_b32 s28, s28, exec_lo
	s_and_b32 s29, vcc_lo, exec_lo
	s_or_b32 s28, s28, s29
	s_or_b32 exec_lo, exec_lo, s12
	s_and_saveexec_b32 s12, s28
	s_cbranch_execnz .LBB6_5788
	s_branch .LBB6_5789
.LBB6_7694:                             ;   in Loop: Header=BB6_5278 Depth=2
	s_or_saveexec_b32 s28, s28
	v_mov_b32_e32 v2, 0x7f800001
	s_xor_b32 exec_lo, exec_lo, s28
	s_cbranch_execz .LBB6_5793
.LBB6_7695:                             ;   in Loop: Header=BB6_5278 Depth=2
	v_cmp_ne_u16_e32 vcc_lo, 0, v3
	v_mov_b32_e32 v2, 0
	s_andn2_b32 s12, s12, exec_lo
	s_and_b32 s29, vcc_lo, exec_lo
	s_or_b32 s12, s12, s29
	s_or_b32 exec_lo, exec_lo, s28
	s_and_saveexec_b32 s28, s12
	s_cbranch_execnz .LBB6_5794
	s_branch .LBB6_5795
.LBB6_7696:                             ;   in Loop: Header=BB6_5278 Depth=2
	s_or_saveexec_b32 s28, s28
	v_mov_b32_e32 v76, 0x7f800001
	s_xor_b32 exec_lo, exec_lo, s28
	s_cbranch_execz .LBB6_5801
.LBB6_7697:                             ;   in Loop: Header=BB6_5278 Depth=2
	v_cmp_ne_u16_e32 vcc_lo, 0, v75
	v_mov_b32_e32 v76, 0
	s_andn2_b32 s12, s12, exec_lo
	s_and_b32 s29, vcc_lo, exec_lo
	s_or_b32 s12, s12, s29
	s_or_b32 exec_lo, exec_lo, s28
	s_and_saveexec_b32 s28, s12
	s_cbranch_execnz .LBB6_5802
	s_branch .LBB6_5803
.LBB6_7698:                             ;   in Loop: Header=BB6_5278 Depth=2
	s_or_saveexec_b32 s28, s28
	v_mov_b32_e32 v2, 0x7f800001
	s_xor_b32 exec_lo, exec_lo, s28
	s_cbranch_execz .LBB6_5807
.LBB6_7699:                             ;   in Loop: Header=BB6_5278 Depth=2
	v_cmp_ne_u16_e32 vcc_lo, 0, v3
	v_mov_b32_e32 v2, 0
	s_andn2_b32 s12, s12, exec_lo
	s_and_b32 s29, vcc_lo, exec_lo
	s_or_b32 s12, s12, s29
	s_or_b32 exec_lo, exec_lo, s28
	s_and_saveexec_b32 s28, s12
	s_cbranch_execnz .LBB6_5808
	s_branch .LBB6_5809
.LBB6_7700:                             ;   in Loop: Header=BB6_5278 Depth=2
	s_or_saveexec_b32 s28, s28
	v_mov_b32_e32 v76, 0x7f800001
	s_xor_b32 exec_lo, exec_lo, s28
	s_cbranch_execz .LBB6_5823
.LBB6_7701:                             ;   in Loop: Header=BB6_5278 Depth=2
	v_cmp_ne_u16_sdwa s29, v51, v30 src0_sel:BYTE_3 src1_sel:DWORD
	v_mov_b32_e32 v76, 0
	s_andn2_b32 s12, s12, exec_lo
	s_and_b32 s29, s29, exec_lo
	s_or_b32 s12, s12, s29
	s_or_b32 exec_lo, exec_lo, s28
	s_and_saveexec_b32 s28, s12
	s_cbranch_execnz .LBB6_5824
	s_branch .LBB6_5825
.LBB6_7702:                             ;   in Loop: Header=BB6_5278 Depth=2
	s_or_saveexec_b32 s28, s28
	v_mov_b32_e32 v2, 0x7f800001
	s_xor_b32 exec_lo, exec_lo, s28
	s_cbranch_execz .LBB6_5829
.LBB6_7703:                             ;   in Loop: Header=BB6_5278 Depth=2
	v_cmp_ne_u16_sdwa s29, v39, v30 src0_sel:BYTE_3 src1_sel:DWORD
	v_mov_b32_e32 v2, 0
	s_andn2_b32 s12, s12, exec_lo
	s_and_b32 s29, s29, exec_lo
	s_or_b32 s12, s12, s29
	s_or_b32 exec_lo, exec_lo, s28
	s_and_saveexec_b32 s28, s12
	s_cbranch_execnz .LBB6_5830
	s_branch .LBB6_5831
.LBB6_7704:                             ;   in Loop: Header=BB6_5278 Depth=2
	s_or_saveexec_b32 s28, s28
	v_mov_b32_e32 v76, 0x7f800001
	s_xor_b32 exec_lo, exec_lo, s28
	s_cbranch_execz .LBB6_5837
.LBB6_7705:                             ;   in Loop: Header=BB6_5278 Depth=2
	v_cmp_ne_u16_sdwa s29, v51, v30 src0_sel:BYTE_3 src1_sel:DWORD
	v_mov_b32_e32 v76, 0
	s_andn2_b32 s12, s12, exec_lo
	s_and_b32 s29, s29, exec_lo
	s_or_b32 s12, s12, s29
	s_or_b32 exec_lo, exec_lo, s28
	s_and_saveexec_b32 s28, s12
	s_cbranch_execnz .LBB6_5838
	s_branch .LBB6_5839
.LBB6_7706:                             ;   in Loop: Header=BB6_5278 Depth=2
	s_or_saveexec_b32 s28, s28
	v_mov_b32_e32 v2, 0x7f800001
	s_xor_b32 exec_lo, exec_lo, s28
	s_cbranch_execz .LBB6_5843
.LBB6_7707:                             ;   in Loop: Header=BB6_5278 Depth=2
	v_cmp_ne_u16_sdwa s29, v39, v30 src0_sel:BYTE_3 src1_sel:DWORD
	v_mov_b32_e32 v2, 0
	s_andn2_b32 s12, s12, exec_lo
	s_and_b32 s29, s29, exec_lo
	s_or_b32 s12, s12, s29
	s_or_b32 exec_lo, exec_lo, s28
	s_and_saveexec_b32 s28, s12
	s_cbranch_execnz .LBB6_5844
	s_branch .LBB6_5845
.LBB6_7708:                             ;   in Loop: Header=BB6_5278 Depth=2
	s_or_saveexec_b32 s28, s28
	v_mov_b32_e32 v51, 0x7f800001
	s_xor_b32 exec_lo, exec_lo, s28
	s_cbranch_execz .LBB6_5859
.LBB6_7709:                             ;   in Loop: Header=BB6_5278 Depth=2
	v_cmp_ne_u16_sdwa s29, v32, v30 src0_sel:BYTE_0 src1_sel:DWORD
	v_mov_b32_e32 v51, 0
	s_andn2_b32 s12, s12, exec_lo
	s_and_b32 s29, s29, exec_lo
	s_or_b32 s12, s12, s29
	s_or_b32 exec_lo, exec_lo, s28
	s_and_saveexec_b32 s28, s12
	s_cbranch_execnz .LBB6_5860
	s_branch .LBB6_5861
.LBB6_7710:                             ;   in Loop: Header=BB6_5278 Depth=2
	s_or_saveexec_b32 s28, s28
	v_mov_b32_e32 v2, 0x7f800001
	s_xor_b32 exec_lo, exec_lo, s28
	s_cbranch_execz .LBB6_5865
.LBB6_7711:                             ;   in Loop: Header=BB6_5278 Depth=2
	v_cmp_ne_u16_sdwa s29, v26, v30 src0_sel:BYTE_0 src1_sel:DWORD
	v_mov_b32_e32 v2, 0
	s_andn2_b32 s12, s12, exec_lo
	s_and_b32 s29, s29, exec_lo
	s_or_b32 s12, s12, s29
	s_or_b32 exec_lo, exec_lo, s28
	s_and_saveexec_b32 s28, s12
	s_cbranch_execnz .LBB6_5866
	s_branch .LBB6_5867
.LBB6_7712:                             ;   in Loop: Header=BB6_5278 Depth=2
	s_or_saveexec_b32 s28, s28
	v_mov_b32_e32 v51, 0x7f800001
	s_xor_b32 exec_lo, exec_lo, s28
	s_cbranch_execz .LBB6_5873
.LBB6_7713:                             ;   in Loop: Header=BB6_5278 Depth=2
	v_cmp_ne_u16_sdwa s29, v32, v30 src0_sel:BYTE_0 src1_sel:DWORD
	v_mov_b32_e32 v51, 0
	s_andn2_b32 s12, s12, exec_lo
	s_and_b32 s29, s29, exec_lo
	s_or_b32 s12, s12, s29
	s_or_b32 exec_lo, exec_lo, s28
	s_and_saveexec_b32 s28, s12
	s_cbranch_execnz .LBB6_5874
	s_branch .LBB6_5875
.LBB6_7714:                             ;   in Loop: Header=BB6_5278 Depth=2
	s_or_saveexec_b32 s28, s28
	v_mov_b32_e32 v2, 0x7f800001
	s_xor_b32 exec_lo, exec_lo, s28
	s_cbranch_execz .LBB6_5879
.LBB6_7715:                             ;   in Loop: Header=BB6_5278 Depth=2
	v_cmp_ne_u16_sdwa s29, v26, v30 src0_sel:BYTE_0 src1_sel:DWORD
	v_mov_b32_e32 v2, 0
	s_andn2_b32 s12, s12, exec_lo
	s_and_b32 s29, s29, exec_lo
	s_or_b32 s12, s12, s29
	s_or_b32 exec_lo, exec_lo, s28
	s_and_saveexec_b32 s28, s12
	s_cbranch_execnz .LBB6_5880
	s_branch .LBB6_5881
.LBB6_7716:                             ;   in Loop: Header=BB6_5278 Depth=2
	s_or_saveexec_b32 s28, s28
	v_mov_b32_e32 v76, 0x7f800001
	s_xor_b32 exec_lo, exec_lo, s28
	s_cbranch_execz .LBB6_5895
.LBB6_7717:                             ;   in Loop: Header=BB6_5278 Depth=2
	v_cmp_ne_u16_sdwa s29, v32, v30 src0_sel:BYTE_1 src1_sel:DWORD
	v_mov_b32_e32 v76, 0
	s_andn2_b32 s12, s12, exec_lo
	s_and_b32 s29, s29, exec_lo
	s_or_b32 s12, s12, s29
	s_or_b32 exec_lo, exec_lo, s28
	s_and_saveexec_b32 s28, s12
	s_cbranch_execnz .LBB6_5896
	s_branch .LBB6_5897
.LBB6_7718:                             ;   in Loop: Header=BB6_5278 Depth=2
	s_or_saveexec_b32 s28, s28
	v_mov_b32_e32 v2, 0x7f800001
	s_xor_b32 exec_lo, exec_lo, s28
	s_cbranch_execz .LBB6_5901
.LBB6_7719:                             ;   in Loop: Header=BB6_5278 Depth=2
	v_cmp_ne_u16_sdwa s29, v26, v30 src0_sel:BYTE_1 src1_sel:DWORD
	v_mov_b32_e32 v2, 0
	s_andn2_b32 s12, s12, exec_lo
	s_and_b32 s29, s29, exec_lo
	s_or_b32 s12, s12, s29
	s_or_b32 exec_lo, exec_lo, s28
	s_and_saveexec_b32 s28, s12
	s_cbranch_execnz .LBB6_5902
	s_branch .LBB6_5903
.LBB6_7720:                             ;   in Loop: Header=BB6_5278 Depth=2
	s_or_saveexec_b32 s28, s28
	v_mov_b32_e32 v76, 0x7f800001
	s_xor_b32 exec_lo, exec_lo, s28
	s_cbranch_execz .LBB6_5909
.LBB6_7721:                             ;   in Loop: Header=BB6_5278 Depth=2
	v_cmp_ne_u16_sdwa s29, v32, v30 src0_sel:BYTE_1 src1_sel:DWORD
	v_mov_b32_e32 v76, 0
	s_andn2_b32 s12, s12, exec_lo
	s_and_b32 s29, s29, exec_lo
	s_or_b32 s12, s12, s29
	s_or_b32 exec_lo, exec_lo, s28
	s_and_saveexec_b32 s28, s12
	s_cbranch_execnz .LBB6_5910
	s_branch .LBB6_5911
.LBB6_7722:                             ;   in Loop: Header=BB6_5278 Depth=2
	s_or_saveexec_b32 s28, s28
	v_mov_b32_e32 v2, 0x7f800001
	s_xor_b32 exec_lo, exec_lo, s28
	s_cbranch_execz .LBB6_5915
.LBB6_7723:                             ;   in Loop: Header=BB6_5278 Depth=2
	v_cmp_ne_u16_sdwa s29, v26, v30 src0_sel:BYTE_1 src1_sel:DWORD
	v_mov_b32_e32 v2, 0
	s_andn2_b32 s12, s12, exec_lo
	s_and_b32 s29, s29, exec_lo
	s_or_b32 s12, s12, s29
	s_or_b32 exec_lo, exec_lo, s28
	s_and_saveexec_b32 s28, s12
	s_cbranch_execnz .LBB6_5916
	s_branch .LBB6_5917
.LBB6_7724:                             ;   in Loop: Header=BB6_5278 Depth=2
	s_or_saveexec_b32 s12, s12
	v_mov_b32_e32 v78, 0x7f800001
	s_xor_b32 exec_lo, exec_lo, s12
	s_cbranch_execz .LBB6_5931
.LBB6_7725:                             ;   in Loop: Header=BB6_5278 Depth=2
	v_cmp_ne_u16_e32 vcc_lo, 0, v77
	v_mov_b32_e32 v78, 0
	s_andn2_b32 s28, s28, exec_lo
	s_and_b32 s29, vcc_lo, exec_lo
	s_or_b32 s28, s28, s29
	s_or_b32 exec_lo, exec_lo, s12
	s_and_saveexec_b32 s12, s28
	s_cbranch_execnz .LBB6_5932
	s_branch .LBB6_5933
.LBB6_7726:                             ;   in Loop: Header=BB6_5278 Depth=2
	s_or_saveexec_b32 s28, s28
	v_mov_b32_e32 v2, 0x7f800001
	s_xor_b32 exec_lo, exec_lo, s28
	s_cbranch_execz .LBB6_5937
.LBB6_7727:                             ;   in Loop: Header=BB6_5278 Depth=2
	v_cmp_ne_u16_e32 vcc_lo, 0, v3
	v_mov_b32_e32 v2, 0
	s_andn2_b32 s12, s12, exec_lo
	s_and_b32 s29, vcc_lo, exec_lo
	s_or_b32 s12, s12, s29
	s_or_b32 exec_lo, exec_lo, s28
	s_and_saveexec_b32 s28, s12
	s_cbranch_execnz .LBB6_5938
	s_branch .LBB6_5939
.LBB6_7728:                             ;   in Loop: Header=BB6_5278 Depth=2
	s_or_saveexec_b32 s28, s28
	v_mov_b32_e32 v78, 0x7f800001
	s_xor_b32 exec_lo, exec_lo, s28
	s_cbranch_execz .LBB6_5945
.LBB6_7729:                             ;   in Loop: Header=BB6_5278 Depth=2
	v_cmp_ne_u16_e32 vcc_lo, 0, v77
	v_mov_b32_e32 v78, 0
	s_andn2_b32 s12, s12, exec_lo
	s_and_b32 s29, vcc_lo, exec_lo
	s_or_b32 s12, s12, s29
	s_or_b32 exec_lo, exec_lo, s28
	s_and_saveexec_b32 s28, s12
	s_cbranch_execnz .LBB6_5946
	s_branch .LBB6_5947
.LBB6_7730:                             ;   in Loop: Header=BB6_5278 Depth=2
	s_or_saveexec_b32 s28, s28
	v_mov_b32_e32 v2, 0x7f800001
	s_xor_b32 exec_lo, exec_lo, s28
	s_cbranch_execz .LBB6_5951
.LBB6_7731:                             ;   in Loop: Header=BB6_5278 Depth=2
	v_cmp_ne_u16_e32 vcc_lo, 0, v3
	v_mov_b32_e32 v2, 0
	s_andn2_b32 s12, s12, exec_lo
	s_and_b32 s29, vcc_lo, exec_lo
	s_or_b32 s12, s12, s29
	s_or_b32 exec_lo, exec_lo, s28
	s_and_saveexec_b32 s28, s12
	s_cbranch_execnz .LBB6_5952
	s_branch .LBB6_5953
.LBB6_7732:                             ;   in Loop: Header=BB6_5278 Depth=2
	s_or_saveexec_b32 s28, s28
	v_mov_b32_e32 v78, 0x7f800001
	s_xor_b32 exec_lo, exec_lo, s28
	s_cbranch_execz .LBB6_5967
.LBB6_7733:                             ;   in Loop: Header=BB6_5278 Depth=2
	v_cmp_ne_u16_sdwa s29, v32, v30 src0_sel:BYTE_3 src1_sel:DWORD
	v_mov_b32_e32 v78, 0
	s_andn2_b32 s12, s12, exec_lo
	s_and_b32 s29, s29, exec_lo
	s_or_b32 s12, s12, s29
	s_or_b32 exec_lo, exec_lo, s28
	s_and_saveexec_b32 s28, s12
	s_cbranch_execnz .LBB6_5968
	s_branch .LBB6_5969
.LBB6_7734:                             ;   in Loop: Header=BB6_5278 Depth=2
	s_or_saveexec_b32 s28, s28
	v_mov_b32_e32 v2, 0x7f800001
	s_xor_b32 exec_lo, exec_lo, s28
	s_cbranch_execz .LBB6_5973
.LBB6_7735:                             ;   in Loop: Header=BB6_5278 Depth=2
	v_cmp_ne_u16_sdwa s29, v26, v30 src0_sel:BYTE_3 src1_sel:DWORD
	v_mov_b32_e32 v2, 0
	s_andn2_b32 s12, s12, exec_lo
	s_and_b32 s29, s29, exec_lo
	s_or_b32 s12, s12, s29
	s_or_b32 exec_lo, exec_lo, s28
	s_and_saveexec_b32 s28, s12
	s_cbranch_execnz .LBB6_5974
	s_branch .LBB6_5975
.LBB6_7736:                             ;   in Loop: Header=BB6_5278 Depth=2
	s_or_saveexec_b32 s28, s28
	v_mov_b32_e32 v78, 0x7f800001
	s_xor_b32 exec_lo, exec_lo, s28
	s_cbranch_execz .LBB6_5981
.LBB6_7737:                             ;   in Loop: Header=BB6_5278 Depth=2
	v_cmp_ne_u16_sdwa s29, v32, v30 src0_sel:BYTE_3 src1_sel:DWORD
	v_mov_b32_e32 v78, 0
	s_andn2_b32 s12, s12, exec_lo
	s_and_b32 s29, s29, exec_lo
	s_or_b32 s12, s12, s29
	s_or_b32 exec_lo, exec_lo, s28
	s_and_saveexec_b32 s28, s12
	s_cbranch_execnz .LBB6_5982
	s_branch .LBB6_5983
.LBB6_7738:                             ;   in Loop: Header=BB6_5278 Depth=2
	s_or_saveexec_b32 s28, s28
	v_mov_b32_e32 v2, 0x7f800001
	s_xor_b32 exec_lo, exec_lo, s28
	s_cbranch_execz .LBB6_5987
.LBB6_7739:                             ;   in Loop: Header=BB6_5278 Depth=2
	v_cmp_ne_u16_sdwa s29, v26, v30 src0_sel:BYTE_3 src1_sel:DWORD
	v_mov_b32_e32 v2, 0
	s_andn2_b32 s12, s12, exec_lo
	s_and_b32 s29, s29, exec_lo
	s_or_b32 s12, s12, s29
	s_or_b32 exec_lo, exec_lo, s28
	s_and_saveexec_b32 s28, s12
	s_cbranch_execnz .LBB6_5988
	s_branch .LBB6_5989
.LBB6_7740:                             ;   in Loop: Header=BB6_5278 Depth=2
	s_or_saveexec_b32 s28, s28
	v_mov_b32_e32 v32, 0x7f800001
	s_xor_b32 exec_lo, exec_lo, s28
	s_cbranch_execz .LBB6_6003
.LBB6_7741:                             ;   in Loop: Header=BB6_5278 Depth=2
	v_cmp_ne_u16_sdwa s29, v33, v30 src0_sel:BYTE_0 src1_sel:DWORD
	v_mov_b32_e32 v32, 0
	s_andn2_b32 s12, s12, exec_lo
	s_and_b32 s29, s29, exec_lo
	s_or_b32 s12, s12, s29
	s_or_b32 exec_lo, exec_lo, s28
	s_and_saveexec_b32 s28, s12
	s_cbranch_execnz .LBB6_6004
	s_branch .LBB6_6005
.LBB6_7742:                             ;   in Loop: Header=BB6_5278 Depth=2
	s_or_saveexec_b32 s28, s28
	v_mov_b32_e32 v2, 0x7f800001
	s_xor_b32 exec_lo, exec_lo, s28
	s_cbranch_execz .LBB6_6009
.LBB6_7743:                             ;   in Loop: Header=BB6_5278 Depth=2
	v_cmp_ne_u16_sdwa s29, v27, v30 src0_sel:BYTE_0 src1_sel:DWORD
	v_mov_b32_e32 v2, 0
	s_andn2_b32 s12, s12, exec_lo
	s_and_b32 s29, s29, exec_lo
	s_or_b32 s12, s12, s29
	s_or_b32 exec_lo, exec_lo, s28
	s_and_saveexec_b32 s28, s12
	s_cbranch_execnz .LBB6_6010
	s_branch .LBB6_6011
.LBB6_7744:                             ;   in Loop: Header=BB6_5278 Depth=2
	s_or_saveexec_b32 s28, s28
	v_mov_b32_e32 v32, 0x7f800001
	s_xor_b32 exec_lo, exec_lo, s28
	s_cbranch_execz .LBB6_6017
.LBB6_7745:                             ;   in Loop: Header=BB6_5278 Depth=2
	v_cmp_ne_u16_sdwa s29, v33, v30 src0_sel:BYTE_0 src1_sel:DWORD
	v_mov_b32_e32 v32, 0
	s_andn2_b32 s12, s12, exec_lo
	s_and_b32 s29, s29, exec_lo
	s_or_b32 s12, s12, s29
	s_or_b32 exec_lo, exec_lo, s28
	s_and_saveexec_b32 s28, s12
	s_cbranch_execnz .LBB6_6018
	s_branch .LBB6_6019
.LBB6_7746:                             ;   in Loop: Header=BB6_5278 Depth=2
	s_or_saveexec_b32 s28, s28
	v_mov_b32_e32 v2, 0x7f800001
	s_xor_b32 exec_lo, exec_lo, s28
	s_cbranch_execz .LBB6_6023
.LBB6_7747:                             ;   in Loop: Header=BB6_5278 Depth=2
	v_cmp_ne_u16_sdwa s29, v27, v30 src0_sel:BYTE_0 src1_sel:DWORD
	v_mov_b32_e32 v2, 0
	s_andn2_b32 s12, s12, exec_lo
	s_and_b32 s29, s29, exec_lo
	s_or_b32 s12, s12, s29
	s_or_b32 exec_lo, exec_lo, s28
	s_and_saveexec_b32 s28, s12
	s_cbranch_execnz .LBB6_6024
	s_branch .LBB6_6025
.LBB6_7748:                             ;   in Loop: Header=BB6_5278 Depth=2
	s_or_saveexec_b32 s28, s28
	v_mov_b32_e32 v78, 0x7f800001
	s_xor_b32 exec_lo, exec_lo, s28
	s_cbranch_execz .LBB6_6039
.LBB6_7749:                             ;   in Loop: Header=BB6_5278 Depth=2
	v_cmp_ne_u16_sdwa s29, v33, v30 src0_sel:BYTE_1 src1_sel:DWORD
	v_mov_b32_e32 v78, 0
	s_andn2_b32 s12, s12, exec_lo
	s_and_b32 s29, s29, exec_lo
	s_or_b32 s12, s12, s29
	s_or_b32 exec_lo, exec_lo, s28
	s_and_saveexec_b32 s28, s12
	s_cbranch_execnz .LBB6_6040
	s_branch .LBB6_6041
.LBB6_7750:                             ;   in Loop: Header=BB6_5278 Depth=2
	s_or_saveexec_b32 s28, s28
	v_mov_b32_e32 v2, 0x7f800001
	s_xor_b32 exec_lo, exec_lo, s28
	s_cbranch_execz .LBB6_6045
.LBB6_7751:                             ;   in Loop: Header=BB6_5278 Depth=2
	v_cmp_ne_u16_sdwa s29, v27, v30 src0_sel:BYTE_1 src1_sel:DWORD
	v_mov_b32_e32 v2, 0
	s_andn2_b32 s12, s12, exec_lo
	s_and_b32 s29, s29, exec_lo
	s_or_b32 s12, s12, s29
	s_or_b32 exec_lo, exec_lo, s28
	s_and_saveexec_b32 s28, s12
	s_cbranch_execnz .LBB6_6046
	s_branch .LBB6_6047
.LBB6_7752:                             ;   in Loop: Header=BB6_5278 Depth=2
	s_or_saveexec_b32 s28, s28
	v_mov_b32_e32 v78, 0x7f800001
	s_xor_b32 exec_lo, exec_lo, s28
	s_cbranch_execz .LBB6_6053
.LBB6_7753:                             ;   in Loop: Header=BB6_5278 Depth=2
	v_cmp_ne_u16_sdwa s29, v33, v30 src0_sel:BYTE_1 src1_sel:DWORD
	v_mov_b32_e32 v78, 0
	s_andn2_b32 s12, s12, exec_lo
	s_and_b32 s29, s29, exec_lo
	s_or_b32 s12, s12, s29
	s_or_b32 exec_lo, exec_lo, s28
	s_and_saveexec_b32 s28, s12
	s_cbranch_execnz .LBB6_6054
	s_branch .LBB6_6055
.LBB6_7754:                             ;   in Loop: Header=BB6_5278 Depth=2
	s_or_saveexec_b32 s28, s28
	v_mov_b32_e32 v2, 0x7f800001
	s_xor_b32 exec_lo, exec_lo, s28
	s_cbranch_execz .LBB6_6059
.LBB6_7755:                             ;   in Loop: Header=BB6_5278 Depth=2
	v_cmp_ne_u16_sdwa s29, v27, v30 src0_sel:BYTE_1 src1_sel:DWORD
	v_mov_b32_e32 v2, 0
	s_andn2_b32 s12, s12, exec_lo
	s_and_b32 s29, s29, exec_lo
	s_or_b32 s12, s12, s29
	s_or_b32 exec_lo, exec_lo, s28
	s_and_saveexec_b32 s28, s12
	s_cbranch_execnz .LBB6_6060
	s_branch .LBB6_6061
.LBB6_7756:                             ;   in Loop: Header=BB6_5278 Depth=2
	s_or_saveexec_b32 s12, s12
	v_mov_b32_e32 v88, 0x7f800001
	s_xor_b32 exec_lo, exec_lo, s12
	s_cbranch_execz .LBB6_6075
.LBB6_7757:                             ;   in Loop: Header=BB6_5278 Depth=2
	v_cmp_ne_u16_e32 vcc_lo, 0, v79
	v_mov_b32_e32 v88, 0
	s_andn2_b32 s28, s28, exec_lo
	s_and_b32 s29, vcc_lo, exec_lo
	s_or_b32 s28, s28, s29
	s_or_b32 exec_lo, exec_lo, s12
	s_and_saveexec_b32 s12, s28
	s_cbranch_execnz .LBB6_6076
	s_branch .LBB6_6077
.LBB6_7758:                             ;   in Loop: Header=BB6_5278 Depth=2
	s_or_saveexec_b32 s28, s28
	v_mov_b32_e32 v2, 0x7f800001
	s_xor_b32 exec_lo, exec_lo, s28
	s_cbranch_execz .LBB6_6081
.LBB6_7759:                             ;   in Loop: Header=BB6_5278 Depth=2
	v_cmp_ne_u16_e32 vcc_lo, 0, v3
	v_mov_b32_e32 v2, 0
	s_andn2_b32 s12, s12, exec_lo
	s_and_b32 s29, vcc_lo, exec_lo
	s_or_b32 s12, s12, s29
	s_or_b32 exec_lo, exec_lo, s28
	s_and_saveexec_b32 s28, s12
	s_cbranch_execnz .LBB6_6082
	s_branch .LBB6_6083
.LBB6_7760:                             ;   in Loop: Header=BB6_5278 Depth=2
	s_or_saveexec_b32 s28, s28
	v_mov_b32_e32 v88, 0x7f800001
	s_xor_b32 exec_lo, exec_lo, s28
	s_cbranch_execz .LBB6_6089
.LBB6_7761:                             ;   in Loop: Header=BB6_5278 Depth=2
	v_cmp_ne_u16_e32 vcc_lo, 0, v79
	v_mov_b32_e32 v88, 0
	s_andn2_b32 s12, s12, exec_lo
	s_and_b32 s29, vcc_lo, exec_lo
	s_or_b32 s12, s12, s29
	s_or_b32 exec_lo, exec_lo, s28
	s_and_saveexec_b32 s28, s12
	s_cbranch_execnz .LBB6_6090
	s_branch .LBB6_6091
.LBB6_7762:                             ;   in Loop: Header=BB6_5278 Depth=2
	s_or_saveexec_b32 s28, s28
	v_mov_b32_e32 v2, 0x7f800001
	s_xor_b32 exec_lo, exec_lo, s28
	s_cbranch_execz .LBB6_6095
.LBB6_7763:                             ;   in Loop: Header=BB6_5278 Depth=2
	v_cmp_ne_u16_e32 vcc_lo, 0, v3
	v_mov_b32_e32 v2, 0
	s_andn2_b32 s12, s12, exec_lo
	s_and_b32 s29, vcc_lo, exec_lo
	s_or_b32 s12, s12, s29
	s_or_b32 exec_lo, exec_lo, s28
	s_and_saveexec_b32 s28, s12
	s_cbranch_execnz .LBB6_6096
	s_branch .LBB6_6097
.LBB6_7764:                             ;   in Loop: Header=BB6_5278 Depth=2
	s_or_saveexec_b32 s28, s28
	v_mov_b32_e32 v88, 0x7f800001
	s_xor_b32 exec_lo, exec_lo, s28
	s_cbranch_execz .LBB6_6111
.LBB6_7765:                             ;   in Loop: Header=BB6_5278 Depth=2
	v_cmp_ne_u16_sdwa s29, v33, v30 src0_sel:BYTE_3 src1_sel:DWORD
	v_mov_b32_e32 v88, 0
	s_andn2_b32 s12, s12, exec_lo
	s_and_b32 s29, s29, exec_lo
	s_or_b32 s12, s12, s29
	s_or_b32 exec_lo, exec_lo, s28
	s_and_saveexec_b32 s28, s12
	s_cbranch_execnz .LBB6_6112
	s_branch .LBB6_6113
.LBB6_7766:                             ;   in Loop: Header=BB6_5278 Depth=2
	s_or_saveexec_b32 s28, s28
	v_mov_b32_e32 v2, 0x7f800001
	s_xor_b32 exec_lo, exec_lo, s28
	s_cbranch_execz .LBB6_6117
.LBB6_7767:                             ;   in Loop: Header=BB6_5278 Depth=2
	v_cmp_ne_u16_sdwa s29, v27, v30 src0_sel:BYTE_3 src1_sel:DWORD
	v_mov_b32_e32 v2, 0
	s_andn2_b32 s12, s12, exec_lo
	s_and_b32 s29, s29, exec_lo
	s_or_b32 s12, s12, s29
	s_or_b32 exec_lo, exec_lo, s28
	s_and_saveexec_b32 s28, s12
	s_cbranch_execnz .LBB6_6118
	s_branch .LBB6_6119
.LBB6_7768:                             ;   in Loop: Header=BB6_5278 Depth=2
	s_or_saveexec_b32 s28, s28
	v_mov_b32_e32 v88, 0x7f800001
	s_xor_b32 exec_lo, exec_lo, s28
	s_cbranch_execz .LBB6_6125
.LBB6_7769:                             ;   in Loop: Header=BB6_5278 Depth=2
	v_cmp_ne_u16_sdwa s29, v33, v30 src0_sel:BYTE_3 src1_sel:DWORD
	v_mov_b32_e32 v88, 0
	s_andn2_b32 s12, s12, exec_lo
	s_and_b32 s29, s29, exec_lo
	s_or_b32 s12, s12, s29
	s_or_b32 exec_lo, exec_lo, s28
	s_and_saveexec_b32 s28, s12
	s_cbranch_execnz .LBB6_6126
	s_branch .LBB6_6127
.LBB6_7770:                             ;   in Loop: Header=BB6_5278 Depth=2
	s_or_saveexec_b32 s28, s28
	v_mov_b32_e32 v2, 0x7f800001
	s_xor_b32 exec_lo, exec_lo, s28
	s_cbranch_execz .LBB6_6131
.LBB6_7771:                             ;   in Loop: Header=BB6_5278 Depth=2
	v_cmp_ne_u16_sdwa s29, v27, v30 src0_sel:BYTE_3 src1_sel:DWORD
	v_mov_b32_e32 v2, 0
	s_andn2_b32 s12, s12, exec_lo
	s_and_b32 s29, s29, exec_lo
	s_or_b32 s12, s12, s29
	s_or_b32 exec_lo, exec_lo, s28
	s_and_saveexec_b32 s28, s12
	s_cbranch_execnz .LBB6_6132
	s_branch .LBB6_6133
.LBB6_7772:                             ;   in Loop: Header=BB6_5278 Depth=2
	s_or_saveexec_b32 s28, s28
	v_mov_b32_e32 v33, 0x7f800001
	s_xor_b32 exec_lo, exec_lo, s28
	s_cbranch_execz .LBB6_6147
.LBB6_7773:                             ;   in Loop: Header=BB6_5278 Depth=2
	v_cmp_ne_u16_sdwa s29, v34, v30 src0_sel:BYTE_0 src1_sel:DWORD
	v_mov_b32_e32 v33, 0
	s_andn2_b32 s12, s12, exec_lo
	s_and_b32 s29, s29, exec_lo
	s_or_b32 s12, s12, s29
	s_or_b32 exec_lo, exec_lo, s28
	s_and_saveexec_b32 s28, s12
	s_cbranch_execnz .LBB6_6148
	s_branch .LBB6_6149
.LBB6_7774:                             ;   in Loop: Header=BB6_5278 Depth=2
	s_or_saveexec_b32 s28, s28
	v_mov_b32_e32 v2, 0x7f800001
	s_xor_b32 exec_lo, exec_lo, s28
	s_cbranch_execz .LBB6_6153
.LBB6_7775:                             ;   in Loop: Header=BB6_5278 Depth=2
	v_cmp_ne_u16_sdwa s29, v28, v30 src0_sel:BYTE_0 src1_sel:DWORD
	v_mov_b32_e32 v2, 0
	s_andn2_b32 s12, s12, exec_lo
	s_and_b32 s29, s29, exec_lo
	s_or_b32 s12, s12, s29
	s_or_b32 exec_lo, exec_lo, s28
	s_and_saveexec_b32 s28, s12
	s_cbranch_execnz .LBB6_6154
	s_branch .LBB6_6155
.LBB6_7776:                             ;   in Loop: Header=BB6_5278 Depth=2
	s_or_saveexec_b32 s28, s28
	v_mov_b32_e32 v33, 0x7f800001
	s_xor_b32 exec_lo, exec_lo, s28
	s_cbranch_execz .LBB6_6161
.LBB6_7777:                             ;   in Loop: Header=BB6_5278 Depth=2
	v_cmp_ne_u16_sdwa s29, v34, v30 src0_sel:BYTE_0 src1_sel:DWORD
	v_mov_b32_e32 v33, 0
	s_andn2_b32 s12, s12, exec_lo
	s_and_b32 s29, s29, exec_lo
	s_or_b32 s12, s12, s29
	s_or_b32 exec_lo, exec_lo, s28
	s_and_saveexec_b32 s28, s12
	s_cbranch_execnz .LBB6_6162
	s_branch .LBB6_6163
.LBB6_7778:                             ;   in Loop: Header=BB6_5278 Depth=2
	s_or_saveexec_b32 s28, s28
	v_mov_b32_e32 v2, 0x7f800001
	s_xor_b32 exec_lo, exec_lo, s28
	s_cbranch_execz .LBB6_6167
.LBB6_7779:                             ;   in Loop: Header=BB6_5278 Depth=2
	v_cmp_ne_u16_sdwa s29, v28, v30 src0_sel:BYTE_0 src1_sel:DWORD
	v_mov_b32_e32 v2, 0
	s_andn2_b32 s12, s12, exec_lo
	s_and_b32 s29, s29, exec_lo
	s_or_b32 s12, s12, s29
	s_or_b32 exec_lo, exec_lo, s28
	s_and_saveexec_b32 s28, s12
	s_cbranch_execnz .LBB6_6168
	s_branch .LBB6_6169
.LBB6_7780:                             ;   in Loop: Header=BB6_5278 Depth=2
	s_or_saveexec_b32 s28, s28
	v_mov_b32_e32 v88, 0x7f800001
	s_xor_b32 exec_lo, exec_lo, s28
	s_cbranch_execz .LBB6_6183
.LBB6_7781:                             ;   in Loop: Header=BB6_5278 Depth=2
	v_cmp_ne_u16_sdwa s29, v34, v30 src0_sel:BYTE_1 src1_sel:DWORD
	v_mov_b32_e32 v88, 0
	s_andn2_b32 s12, s12, exec_lo
	s_and_b32 s29, s29, exec_lo
	s_or_b32 s12, s12, s29
	s_or_b32 exec_lo, exec_lo, s28
	s_and_saveexec_b32 s28, s12
	s_cbranch_execnz .LBB6_6184
	s_branch .LBB6_6185
.LBB6_7782:                             ;   in Loop: Header=BB6_5278 Depth=2
	s_or_saveexec_b32 s28, s28
	v_mov_b32_e32 v2, 0x7f800001
	s_xor_b32 exec_lo, exec_lo, s28
	s_cbranch_execz .LBB6_6189
.LBB6_7783:                             ;   in Loop: Header=BB6_5278 Depth=2
	v_cmp_ne_u16_sdwa s29, v28, v30 src0_sel:BYTE_1 src1_sel:DWORD
	v_mov_b32_e32 v2, 0
	s_andn2_b32 s12, s12, exec_lo
	s_and_b32 s29, s29, exec_lo
	s_or_b32 s12, s12, s29
	s_or_b32 exec_lo, exec_lo, s28
	s_and_saveexec_b32 s28, s12
	s_cbranch_execnz .LBB6_6190
	s_branch .LBB6_6191
.LBB6_7784:                             ;   in Loop: Header=BB6_5278 Depth=2
	s_or_saveexec_b32 s28, s28
	v_mov_b32_e32 v88, 0x7f800001
	s_xor_b32 exec_lo, exec_lo, s28
	s_cbranch_execz .LBB6_6197
.LBB6_7785:                             ;   in Loop: Header=BB6_5278 Depth=2
	v_cmp_ne_u16_sdwa s29, v34, v30 src0_sel:BYTE_1 src1_sel:DWORD
	v_mov_b32_e32 v88, 0
	s_andn2_b32 s12, s12, exec_lo
	s_and_b32 s29, s29, exec_lo
	s_or_b32 s12, s12, s29
	s_or_b32 exec_lo, exec_lo, s28
	s_and_saveexec_b32 s28, s12
	s_cbranch_execnz .LBB6_6198
	s_branch .LBB6_6199
.LBB6_7786:                             ;   in Loop: Header=BB6_5278 Depth=2
	s_or_saveexec_b32 s28, s28
	v_mov_b32_e32 v2, 0x7f800001
	s_xor_b32 exec_lo, exec_lo, s28
	s_cbranch_execz .LBB6_6203
.LBB6_7787:                             ;   in Loop: Header=BB6_5278 Depth=2
	v_cmp_ne_u16_sdwa s29, v28, v30 src0_sel:BYTE_1 src1_sel:DWORD
	v_mov_b32_e32 v2, 0
	s_andn2_b32 s12, s12, exec_lo
	s_and_b32 s29, s29, exec_lo
	s_or_b32 s12, s12, s29
	s_or_b32 exec_lo, exec_lo, s28
	s_and_saveexec_b32 s28, s12
	s_cbranch_execnz .LBB6_6204
	s_branch .LBB6_6205
.LBB6_7788:                             ;   in Loop: Header=BB6_5278 Depth=2
	s_or_saveexec_b32 s12, s12
	v_mov_b32_e32 v90, 0x7f800001
	s_xor_b32 exec_lo, exec_lo, s12
	s_cbranch_execz .LBB6_6219
.LBB6_7789:                             ;   in Loop: Header=BB6_5278 Depth=2
	v_cmp_ne_u16_e32 vcc_lo, 0, v89
	v_mov_b32_e32 v90, 0
	s_andn2_b32 s28, s28, exec_lo
	s_and_b32 s29, vcc_lo, exec_lo
	s_or_b32 s28, s28, s29
	s_or_b32 exec_lo, exec_lo, s12
	s_and_saveexec_b32 s12, s28
	s_cbranch_execnz .LBB6_6220
	s_branch .LBB6_6221
.LBB6_7790:                             ;   in Loop: Header=BB6_5278 Depth=2
	s_or_saveexec_b32 s28, s28
	v_mov_b32_e32 v2, 0x7f800001
	s_xor_b32 exec_lo, exec_lo, s28
	s_cbranch_execz .LBB6_6225
.LBB6_7791:                             ;   in Loop: Header=BB6_5278 Depth=2
	v_cmp_ne_u16_e32 vcc_lo, 0, v3
	v_mov_b32_e32 v2, 0
	s_andn2_b32 s12, s12, exec_lo
	s_and_b32 s29, vcc_lo, exec_lo
	s_or_b32 s12, s12, s29
	s_or_b32 exec_lo, exec_lo, s28
	s_and_saveexec_b32 s28, s12
	s_cbranch_execnz .LBB6_6226
	s_branch .LBB6_6227
.LBB6_7792:                             ;   in Loop: Header=BB6_5278 Depth=2
	s_or_saveexec_b32 s28, s28
	v_mov_b32_e32 v90, 0x7f800001
	s_xor_b32 exec_lo, exec_lo, s28
	s_cbranch_execz .LBB6_6233
.LBB6_7793:                             ;   in Loop: Header=BB6_5278 Depth=2
	v_cmp_ne_u16_e32 vcc_lo, 0, v89
	v_mov_b32_e32 v90, 0
	s_andn2_b32 s12, s12, exec_lo
	s_and_b32 s29, vcc_lo, exec_lo
	s_or_b32 s12, s12, s29
	s_or_b32 exec_lo, exec_lo, s28
	s_and_saveexec_b32 s28, s12
	s_cbranch_execnz .LBB6_6234
	s_branch .LBB6_6235
.LBB6_7794:                             ;   in Loop: Header=BB6_5278 Depth=2
	s_or_saveexec_b32 s28, s28
	v_mov_b32_e32 v2, 0x7f800001
	s_xor_b32 exec_lo, exec_lo, s28
	s_cbranch_execz .LBB6_6239
.LBB6_7795:                             ;   in Loop: Header=BB6_5278 Depth=2
	v_cmp_ne_u16_e32 vcc_lo, 0, v3
	v_mov_b32_e32 v2, 0
	s_andn2_b32 s12, s12, exec_lo
	s_and_b32 s29, vcc_lo, exec_lo
	s_or_b32 s12, s12, s29
	s_or_b32 exec_lo, exec_lo, s28
	s_and_saveexec_b32 s28, s12
	s_cbranch_execnz .LBB6_6240
	s_branch .LBB6_6241
.LBB6_7796:                             ;   in Loop: Header=BB6_5278 Depth=2
	s_or_saveexec_b32 s28, s28
	v_mov_b32_e32 v90, 0x7f800001
	s_xor_b32 exec_lo, exec_lo, s28
	s_cbranch_execz .LBB6_6255
.LBB6_7797:                             ;   in Loop: Header=BB6_5278 Depth=2
	v_cmp_ne_u16_sdwa s29, v34, v30 src0_sel:BYTE_3 src1_sel:DWORD
	v_mov_b32_e32 v90, 0
	s_andn2_b32 s12, s12, exec_lo
	s_and_b32 s29, s29, exec_lo
	s_or_b32 s12, s12, s29
	s_or_b32 exec_lo, exec_lo, s28
	s_and_saveexec_b32 s28, s12
	s_cbranch_execnz .LBB6_6256
	s_branch .LBB6_6257
.LBB6_7798:                             ;   in Loop: Header=BB6_5278 Depth=2
	s_or_saveexec_b32 s28, s28
	v_mov_b32_e32 v2, 0x7f800001
	s_xor_b32 exec_lo, exec_lo, s28
	s_cbranch_execz .LBB6_6261
.LBB6_7799:                             ;   in Loop: Header=BB6_5278 Depth=2
	v_cmp_ne_u16_sdwa s29, v28, v30 src0_sel:BYTE_3 src1_sel:DWORD
	v_mov_b32_e32 v2, 0
	s_andn2_b32 s12, s12, exec_lo
	s_and_b32 s29, s29, exec_lo
	s_or_b32 s12, s12, s29
	s_or_b32 exec_lo, exec_lo, s28
	s_and_saveexec_b32 s28, s12
	s_cbranch_execnz .LBB6_6262
	s_branch .LBB6_6263
.LBB6_7800:                             ;   in Loop: Header=BB6_5278 Depth=2
	s_or_saveexec_b32 s28, s28
	v_mov_b32_e32 v90, 0x7f800001
	s_xor_b32 exec_lo, exec_lo, s28
	s_cbranch_execz .LBB6_6269
.LBB6_7801:                             ;   in Loop: Header=BB6_5278 Depth=2
	v_cmp_ne_u16_sdwa s29, v34, v30 src0_sel:BYTE_3 src1_sel:DWORD
	v_mov_b32_e32 v90, 0
	s_andn2_b32 s12, s12, exec_lo
	s_and_b32 s29, s29, exec_lo
	s_or_b32 s12, s12, s29
	s_or_b32 exec_lo, exec_lo, s28
	s_and_saveexec_b32 s28, s12
	s_cbranch_execnz .LBB6_6270
	s_branch .LBB6_6271
.LBB6_7802:                             ;   in Loop: Header=BB6_5278 Depth=2
	s_or_saveexec_b32 s28, s28
	v_mov_b32_e32 v2, 0x7f800001
	s_xor_b32 exec_lo, exec_lo, s28
	s_cbranch_execz .LBB6_6275
.LBB6_7803:                             ;   in Loop: Header=BB6_5278 Depth=2
	v_cmp_ne_u16_sdwa s29, v28, v30 src0_sel:BYTE_3 src1_sel:DWORD
	v_mov_b32_e32 v2, 0
	s_andn2_b32 s12, s12, exec_lo
	s_and_b32 s29, s29, exec_lo
	s_or_b32 s12, s12, s29
	s_or_b32 exec_lo, exec_lo, s28
	s_and_saveexec_b32 s28, s12
	s_cbranch_execnz .LBB6_6276
	s_branch .LBB6_6277
.LBB6_7804:                             ;   in Loop: Header=BB6_5278 Depth=2
	s_or_saveexec_b32 s28, s28
	v_mov_b32_e32 v34, 0x7f800001
	s_xor_b32 exec_lo, exec_lo, s28
	s_cbranch_execz .LBB6_6291
.LBB6_7805:                             ;   in Loop: Header=BB6_5278 Depth=2
	v_cmp_ne_u16_sdwa s29, v35, v30 src0_sel:BYTE_0 src1_sel:DWORD
	v_mov_b32_e32 v34, 0
	s_andn2_b32 s12, s12, exec_lo
	s_and_b32 s29, s29, exec_lo
	s_or_b32 s12, s12, s29
	s_or_b32 exec_lo, exec_lo, s28
	s_and_saveexec_b32 s28, s12
	s_cbranch_execnz .LBB6_6292
	s_branch .LBB6_6293
.LBB6_7806:                             ;   in Loop: Header=BB6_5278 Depth=2
	s_or_saveexec_b32 s28, s28
	v_mov_b32_e32 v2, 0x7f800001
	s_xor_b32 exec_lo, exec_lo, s28
	s_cbranch_execz .LBB6_6297
.LBB6_7807:                             ;   in Loop: Header=BB6_5278 Depth=2
	v_cmp_ne_u16_sdwa s29, v29, v30 src0_sel:BYTE_0 src1_sel:DWORD
	v_mov_b32_e32 v2, 0
	s_andn2_b32 s12, s12, exec_lo
	s_and_b32 s29, s29, exec_lo
	s_or_b32 s12, s12, s29
	s_or_b32 exec_lo, exec_lo, s28
	s_and_saveexec_b32 s28, s12
	s_cbranch_execnz .LBB6_6298
	s_branch .LBB6_6299
.LBB6_7808:                             ;   in Loop: Header=BB6_5278 Depth=2
	s_or_saveexec_b32 s28, s28
	v_mov_b32_e32 v34, 0x7f800001
	s_xor_b32 exec_lo, exec_lo, s28
	s_cbranch_execz .LBB6_6305
.LBB6_7809:                             ;   in Loop: Header=BB6_5278 Depth=2
	v_cmp_ne_u16_sdwa s29, v35, v30 src0_sel:BYTE_0 src1_sel:DWORD
	v_mov_b32_e32 v34, 0
	s_andn2_b32 s12, s12, exec_lo
	s_and_b32 s29, s29, exec_lo
	s_or_b32 s12, s12, s29
	s_or_b32 exec_lo, exec_lo, s28
	s_and_saveexec_b32 s28, s12
	s_cbranch_execnz .LBB6_6306
	s_branch .LBB6_6307
.LBB6_7810:                             ;   in Loop: Header=BB6_5278 Depth=2
	s_or_saveexec_b32 s28, s28
	v_mov_b32_e32 v2, 0x7f800001
	s_xor_b32 exec_lo, exec_lo, s28
	s_cbranch_execz .LBB6_6311
.LBB6_7811:                             ;   in Loop: Header=BB6_5278 Depth=2
	v_cmp_ne_u16_sdwa s29, v29, v30 src0_sel:BYTE_0 src1_sel:DWORD
	v_mov_b32_e32 v2, 0
	s_andn2_b32 s12, s12, exec_lo
	s_and_b32 s29, s29, exec_lo
	s_or_b32 s12, s12, s29
	s_or_b32 exec_lo, exec_lo, s28
	s_and_saveexec_b32 s28, s12
	s_cbranch_execnz .LBB6_6312
	s_branch .LBB6_6313
.LBB6_7812:                             ;   in Loop: Header=BB6_5278 Depth=2
	s_or_saveexec_b32 s28, s28
	v_mov_b32_e32 v90, 0x7f800001
	s_xor_b32 exec_lo, exec_lo, s28
	s_cbranch_execz .LBB6_6327
.LBB6_7813:                             ;   in Loop: Header=BB6_5278 Depth=2
	v_cmp_ne_u16_sdwa s29, v35, v30 src0_sel:BYTE_1 src1_sel:DWORD
	v_mov_b32_e32 v90, 0
	s_andn2_b32 s12, s12, exec_lo
	s_and_b32 s29, s29, exec_lo
	s_or_b32 s12, s12, s29
	s_or_b32 exec_lo, exec_lo, s28
	s_and_saveexec_b32 s28, s12
	s_cbranch_execnz .LBB6_6328
	s_branch .LBB6_6329
.LBB6_7814:                             ;   in Loop: Header=BB6_5278 Depth=2
	s_or_saveexec_b32 s28, s28
	v_mov_b32_e32 v2, 0x7f800001
	s_xor_b32 exec_lo, exec_lo, s28
	s_cbranch_execz .LBB6_6333
.LBB6_7815:                             ;   in Loop: Header=BB6_5278 Depth=2
	v_cmp_ne_u16_sdwa s29, v29, v30 src0_sel:BYTE_1 src1_sel:DWORD
	v_mov_b32_e32 v2, 0
	s_andn2_b32 s12, s12, exec_lo
	s_and_b32 s29, s29, exec_lo
	s_or_b32 s12, s12, s29
	s_or_b32 exec_lo, exec_lo, s28
	s_and_saveexec_b32 s28, s12
	s_cbranch_execnz .LBB6_6334
	s_branch .LBB6_6335
.LBB6_7816:                             ;   in Loop: Header=BB6_5278 Depth=2
	s_or_saveexec_b32 s28, s28
	v_mov_b32_e32 v90, 0x7f800001
	s_xor_b32 exec_lo, exec_lo, s28
	s_cbranch_execz .LBB6_6341
.LBB6_7817:                             ;   in Loop: Header=BB6_5278 Depth=2
	v_cmp_ne_u16_sdwa s29, v35, v30 src0_sel:BYTE_1 src1_sel:DWORD
	v_mov_b32_e32 v90, 0
	s_andn2_b32 s12, s12, exec_lo
	s_and_b32 s29, s29, exec_lo
	s_or_b32 s12, s12, s29
	s_or_b32 exec_lo, exec_lo, s28
	s_and_saveexec_b32 s28, s12
	s_cbranch_execnz .LBB6_6342
	s_branch .LBB6_6343
.LBB6_7818:                             ;   in Loop: Header=BB6_5278 Depth=2
	s_or_saveexec_b32 s28, s28
	v_mov_b32_e32 v2, 0x7f800001
	s_xor_b32 exec_lo, exec_lo, s28
	s_cbranch_execz .LBB6_6347
.LBB6_7819:                             ;   in Loop: Header=BB6_5278 Depth=2
	v_cmp_ne_u16_sdwa s29, v29, v30 src0_sel:BYTE_1 src1_sel:DWORD
	v_mov_b32_e32 v2, 0
	s_andn2_b32 s12, s12, exec_lo
	s_and_b32 s29, s29, exec_lo
	s_or_b32 s12, s12, s29
	s_or_b32 exec_lo, exec_lo, s28
	s_and_saveexec_b32 s28, s12
	s_cbranch_execnz .LBB6_6348
	s_branch .LBB6_6349
.LBB6_7820:                             ;   in Loop: Header=BB6_5278 Depth=2
	s_or_saveexec_b32 s12, s12
	v_mov_b32_e32 v92, 0x7f800001
	s_xor_b32 exec_lo, exec_lo, s12
	s_cbranch_execz .LBB6_6363
.LBB6_7821:                             ;   in Loop: Header=BB6_5278 Depth=2
	v_cmp_ne_u16_e32 vcc_lo, 0, v91
	v_mov_b32_e32 v92, 0
	s_andn2_b32 s28, s28, exec_lo
	s_and_b32 s29, vcc_lo, exec_lo
	s_or_b32 s28, s28, s29
	s_or_b32 exec_lo, exec_lo, s12
	s_and_saveexec_b32 s12, s28
	s_cbranch_execnz .LBB6_6364
	s_branch .LBB6_6365
.LBB6_7822:                             ;   in Loop: Header=BB6_5278 Depth=2
	s_or_saveexec_b32 s28, s28
	v_mov_b32_e32 v2, 0x7f800001
	s_xor_b32 exec_lo, exec_lo, s28
	s_cbranch_execz .LBB6_6369
.LBB6_7823:                             ;   in Loop: Header=BB6_5278 Depth=2
	v_cmp_ne_u16_e32 vcc_lo, 0, v3
	v_mov_b32_e32 v2, 0
	s_andn2_b32 s12, s12, exec_lo
	s_and_b32 s29, vcc_lo, exec_lo
	s_or_b32 s12, s12, s29
	s_or_b32 exec_lo, exec_lo, s28
	s_and_saveexec_b32 s28, s12
	s_cbranch_execnz .LBB6_6370
	s_branch .LBB6_6371
.LBB6_7824:                             ;   in Loop: Header=BB6_5278 Depth=2
	s_or_saveexec_b32 s28, s28
	v_mov_b32_e32 v92, 0x7f800001
	s_xor_b32 exec_lo, exec_lo, s28
	s_cbranch_execz .LBB6_6377
.LBB6_7825:                             ;   in Loop: Header=BB6_5278 Depth=2
	v_cmp_ne_u16_e32 vcc_lo, 0, v91
	v_mov_b32_e32 v92, 0
	s_andn2_b32 s12, s12, exec_lo
	s_and_b32 s29, vcc_lo, exec_lo
	s_or_b32 s12, s12, s29
	s_or_b32 exec_lo, exec_lo, s28
	s_and_saveexec_b32 s28, s12
	s_cbranch_execnz .LBB6_6378
	s_branch .LBB6_6379
.LBB6_7826:                             ;   in Loop: Header=BB6_5278 Depth=2
	s_or_saveexec_b32 s28, s28
	v_mov_b32_e32 v2, 0x7f800001
	s_xor_b32 exec_lo, exec_lo, s28
	s_cbranch_execz .LBB6_6383
.LBB6_7827:                             ;   in Loop: Header=BB6_5278 Depth=2
	v_cmp_ne_u16_e32 vcc_lo, 0, v3
	v_mov_b32_e32 v2, 0
	s_andn2_b32 s12, s12, exec_lo
	s_and_b32 s29, vcc_lo, exec_lo
	s_or_b32 s12, s12, s29
	s_or_b32 exec_lo, exec_lo, s28
	s_and_saveexec_b32 s28, s12
	s_cbranch_execnz .LBB6_6384
	s_branch .LBB6_6385
.LBB6_7828:                             ;   in Loop: Header=BB6_5278 Depth=2
	s_or_saveexec_b32 s28, s28
	v_mov_b32_e32 v92, 0x7f800001
	s_xor_b32 exec_lo, exec_lo, s28
	s_cbranch_execz .LBB6_6399
.LBB6_7829:                             ;   in Loop: Header=BB6_5278 Depth=2
	v_cmp_ne_u16_sdwa s29, v35, v30 src0_sel:BYTE_3 src1_sel:DWORD
	v_mov_b32_e32 v92, 0
	s_andn2_b32 s12, s12, exec_lo
	s_and_b32 s29, s29, exec_lo
	s_or_b32 s12, s12, s29
	s_or_b32 exec_lo, exec_lo, s28
	s_and_saveexec_b32 s28, s12
	s_cbranch_execnz .LBB6_6400
	s_branch .LBB6_6401
.LBB6_7830:                             ;   in Loop: Header=BB6_5278 Depth=2
	s_or_saveexec_b32 s28, s28
	v_mov_b32_e32 v2, 0x7f800001
	s_xor_b32 exec_lo, exec_lo, s28
	s_cbranch_execz .LBB6_6405
.LBB6_7831:                             ;   in Loop: Header=BB6_5278 Depth=2
	v_cmp_ne_u16_sdwa s29, v29, v30 src0_sel:BYTE_3 src1_sel:DWORD
	v_mov_b32_e32 v2, 0
	s_andn2_b32 s12, s12, exec_lo
	s_and_b32 s29, s29, exec_lo
	s_or_b32 s12, s12, s29
	s_or_b32 exec_lo, exec_lo, s28
	s_and_saveexec_b32 s28, s12
	s_cbranch_execnz .LBB6_6406
	s_branch .LBB6_6407
.LBB6_7832:                             ;   in Loop: Header=BB6_5278 Depth=2
	s_or_saveexec_b32 s28, s28
	v_mov_b32_e32 v92, 0x7f800001
	s_xor_b32 exec_lo, exec_lo, s28
	s_cbranch_execz .LBB6_6413
.LBB6_7833:                             ;   in Loop: Header=BB6_5278 Depth=2
	v_cmp_ne_u16_sdwa s29, v35, v30 src0_sel:BYTE_3 src1_sel:DWORD
	v_mov_b32_e32 v92, 0
	s_andn2_b32 s12, s12, exec_lo
	s_and_b32 s29, s29, exec_lo
	s_or_b32 s12, s12, s29
	s_or_b32 exec_lo, exec_lo, s28
	s_and_saveexec_b32 s28, s12
	s_cbranch_execnz .LBB6_6414
	s_branch .LBB6_6415
.LBB6_7834:                             ;   in Loop: Header=BB6_5278 Depth=2
	s_or_saveexec_b32 s28, s28
	v_mov_b32_e32 v2, 0x7f800001
	s_xor_b32 exec_lo, exec_lo, s28
	s_cbranch_execz .LBB6_6419
.LBB6_7835:                             ;   in Loop: Header=BB6_5278 Depth=2
	v_cmp_ne_u16_sdwa s29, v29, v30 src0_sel:BYTE_3 src1_sel:DWORD
	v_mov_b32_e32 v2, 0
	s_andn2_b32 s12, s12, exec_lo
	s_and_b32 s29, s29, exec_lo
	s_or_b32 s12, s12, s29
	s_or_b32 exec_lo, exec_lo, s28
	s_and_saveexec_b32 s28, s12
	s_cbranch_execnz .LBB6_6420
	s_branch .LBB6_6421
.LBB6_7836:                             ;   in Loop: Header=BB6_5278 Depth=2
	s_or_saveexec_b32 s28, s28
	v_mov_b32_e32 v35, 0x7f800001
	s_xor_b32 exec_lo, exec_lo, s28
	s_cbranch_execz .LBB6_6435
.LBB6_7837:                             ;   in Loop: Header=BB6_5278 Depth=2
	v_cmp_ne_u16_sdwa s29, v22, v30 src0_sel:BYTE_0 src1_sel:DWORD
	v_mov_b32_e32 v35, 0
	s_andn2_b32 s12, s12, exec_lo
	s_and_b32 s29, s29, exec_lo
	s_or_b32 s12, s12, s29
	s_or_b32 exec_lo, exec_lo, s28
	s_and_saveexec_b32 s28, s12
	s_cbranch_execnz .LBB6_6436
	s_branch .LBB6_6437
.LBB6_7838:                             ;   in Loop: Header=BB6_5278 Depth=2
	s_or_saveexec_b32 s28, s28
	v_mov_b32_e32 v2, 0x7f800001
	s_xor_b32 exec_lo, exec_lo, s28
	s_cbranch_execz .LBB6_6441
.LBB6_7839:                             ;   in Loop: Header=BB6_5278 Depth=2
	v_cmp_ne_u16_sdwa s29, v18, v30 src0_sel:BYTE_0 src1_sel:DWORD
	v_mov_b32_e32 v2, 0
	s_andn2_b32 s12, s12, exec_lo
	s_and_b32 s29, s29, exec_lo
	s_or_b32 s12, s12, s29
	s_or_b32 exec_lo, exec_lo, s28
	s_and_saveexec_b32 s28, s12
	s_cbranch_execnz .LBB6_6442
	s_branch .LBB6_6443
.LBB6_7840:                             ;   in Loop: Header=BB6_5278 Depth=2
	s_or_saveexec_b32 s28, s28
	v_mov_b32_e32 v35, 0x7f800001
	s_xor_b32 exec_lo, exec_lo, s28
	s_cbranch_execz .LBB6_6449
.LBB6_7841:                             ;   in Loop: Header=BB6_5278 Depth=2
	v_cmp_ne_u16_sdwa s29, v22, v30 src0_sel:BYTE_0 src1_sel:DWORD
	v_mov_b32_e32 v35, 0
	s_andn2_b32 s12, s12, exec_lo
	s_and_b32 s29, s29, exec_lo
	s_or_b32 s12, s12, s29
	s_or_b32 exec_lo, exec_lo, s28
	s_and_saveexec_b32 s28, s12
	s_cbranch_execnz .LBB6_6450
	s_branch .LBB6_6451
.LBB6_7842:                             ;   in Loop: Header=BB6_5278 Depth=2
	s_or_saveexec_b32 s28, s28
	v_mov_b32_e32 v2, 0x7f800001
	s_xor_b32 exec_lo, exec_lo, s28
	s_cbranch_execz .LBB6_6455
.LBB6_7843:                             ;   in Loop: Header=BB6_5278 Depth=2
	v_cmp_ne_u16_sdwa s29, v18, v30 src0_sel:BYTE_0 src1_sel:DWORD
	v_mov_b32_e32 v2, 0
	s_andn2_b32 s12, s12, exec_lo
	s_and_b32 s29, s29, exec_lo
	s_or_b32 s12, s12, s29
	s_or_b32 exec_lo, exec_lo, s28
	s_and_saveexec_b32 s28, s12
	s_cbranch_execnz .LBB6_6456
	s_branch .LBB6_6457
.LBB6_7844:                             ;   in Loop: Header=BB6_5278 Depth=2
	s_or_saveexec_b32 s28, s28
	v_mov_b32_e32 v92, 0x7f800001
	s_xor_b32 exec_lo, exec_lo, s28
	s_cbranch_execz .LBB6_6471
.LBB6_7845:                             ;   in Loop: Header=BB6_5278 Depth=2
	v_cmp_ne_u16_sdwa s29, v22, v30 src0_sel:BYTE_1 src1_sel:DWORD
	v_mov_b32_e32 v92, 0
	s_andn2_b32 s12, s12, exec_lo
	s_and_b32 s29, s29, exec_lo
	s_or_b32 s12, s12, s29
	s_or_b32 exec_lo, exec_lo, s28
	s_and_saveexec_b32 s28, s12
	s_cbranch_execnz .LBB6_6472
	s_branch .LBB6_6473
.LBB6_7846:                             ;   in Loop: Header=BB6_5278 Depth=2
	s_or_saveexec_b32 s28, s28
	v_mov_b32_e32 v2, 0x7f800001
	s_xor_b32 exec_lo, exec_lo, s28
	s_cbranch_execz .LBB6_6477
.LBB6_7847:                             ;   in Loop: Header=BB6_5278 Depth=2
	v_cmp_ne_u16_sdwa s29, v18, v30 src0_sel:BYTE_1 src1_sel:DWORD
	v_mov_b32_e32 v2, 0
	s_andn2_b32 s12, s12, exec_lo
	s_and_b32 s29, s29, exec_lo
	s_or_b32 s12, s12, s29
	s_or_b32 exec_lo, exec_lo, s28
	s_and_saveexec_b32 s28, s12
	s_cbranch_execnz .LBB6_6478
	s_branch .LBB6_6479
.LBB6_7848:                             ;   in Loop: Header=BB6_5278 Depth=2
	s_or_saveexec_b32 s28, s28
	v_mov_b32_e32 v92, 0x7f800001
	s_xor_b32 exec_lo, exec_lo, s28
	s_cbranch_execz .LBB6_6485
.LBB6_7849:                             ;   in Loop: Header=BB6_5278 Depth=2
	v_cmp_ne_u16_sdwa s29, v22, v30 src0_sel:BYTE_1 src1_sel:DWORD
	v_mov_b32_e32 v92, 0
	s_andn2_b32 s12, s12, exec_lo
	s_and_b32 s29, s29, exec_lo
	s_or_b32 s12, s12, s29
	s_or_b32 exec_lo, exec_lo, s28
	s_and_saveexec_b32 s28, s12
	s_cbranch_execnz .LBB6_6486
	s_branch .LBB6_6487
.LBB6_7850:                             ;   in Loop: Header=BB6_5278 Depth=2
	s_or_saveexec_b32 s28, s28
	v_mov_b32_e32 v2, 0x7f800001
	s_xor_b32 exec_lo, exec_lo, s28
	s_cbranch_execz .LBB6_6491
.LBB6_7851:                             ;   in Loop: Header=BB6_5278 Depth=2
	v_cmp_ne_u16_sdwa s29, v18, v30 src0_sel:BYTE_1 src1_sel:DWORD
	v_mov_b32_e32 v2, 0
	s_andn2_b32 s12, s12, exec_lo
	s_and_b32 s29, s29, exec_lo
	s_or_b32 s12, s12, s29
	s_or_b32 exec_lo, exec_lo, s28
	s_and_saveexec_b32 s28, s12
	s_cbranch_execnz .LBB6_6492
	s_branch .LBB6_6493
.LBB6_7852:                             ;   in Loop: Header=BB6_5278 Depth=2
	s_or_saveexec_b32 s12, s12
	v_mov_b32_e32 v94, 0x7f800001
	s_xor_b32 exec_lo, exec_lo, s12
	s_cbranch_execz .LBB6_6507
.LBB6_7853:                             ;   in Loop: Header=BB6_5278 Depth=2
	v_cmp_ne_u16_e32 vcc_lo, 0, v93
	v_mov_b32_e32 v94, 0
	s_andn2_b32 s28, s28, exec_lo
	s_and_b32 s29, vcc_lo, exec_lo
	s_or_b32 s28, s28, s29
	s_or_b32 exec_lo, exec_lo, s12
	s_and_saveexec_b32 s12, s28
	s_cbranch_execnz .LBB6_6508
	s_branch .LBB6_6509
.LBB6_7854:                             ;   in Loop: Header=BB6_5278 Depth=2
	s_or_saveexec_b32 s28, s28
	v_mov_b32_e32 v2, 0x7f800001
	s_xor_b32 exec_lo, exec_lo, s28
	s_cbranch_execz .LBB6_6513
.LBB6_7855:                             ;   in Loop: Header=BB6_5278 Depth=2
	v_cmp_ne_u16_e32 vcc_lo, 0, v3
	v_mov_b32_e32 v2, 0
	s_andn2_b32 s12, s12, exec_lo
	s_and_b32 s29, vcc_lo, exec_lo
	s_or_b32 s12, s12, s29
	s_or_b32 exec_lo, exec_lo, s28
	s_and_saveexec_b32 s28, s12
	s_cbranch_execnz .LBB6_6514
	s_branch .LBB6_6515
.LBB6_7856:                             ;   in Loop: Header=BB6_5278 Depth=2
	s_or_saveexec_b32 s28, s28
	v_mov_b32_e32 v94, 0x7f800001
	s_xor_b32 exec_lo, exec_lo, s28
	s_cbranch_execz .LBB6_6521
.LBB6_7857:                             ;   in Loop: Header=BB6_5278 Depth=2
	v_cmp_ne_u16_e32 vcc_lo, 0, v93
	v_mov_b32_e32 v94, 0
	s_andn2_b32 s12, s12, exec_lo
	s_and_b32 s29, vcc_lo, exec_lo
	s_or_b32 s12, s12, s29
	s_or_b32 exec_lo, exec_lo, s28
	s_and_saveexec_b32 s28, s12
	s_cbranch_execnz .LBB6_6522
	s_branch .LBB6_6523
.LBB6_7858:                             ;   in Loop: Header=BB6_5278 Depth=2
	s_or_saveexec_b32 s28, s28
	v_mov_b32_e32 v2, 0x7f800001
	s_xor_b32 exec_lo, exec_lo, s28
	s_cbranch_execz .LBB6_6527
.LBB6_7859:                             ;   in Loop: Header=BB6_5278 Depth=2
	v_cmp_ne_u16_e32 vcc_lo, 0, v3
	v_mov_b32_e32 v2, 0
	s_andn2_b32 s12, s12, exec_lo
	s_and_b32 s29, vcc_lo, exec_lo
	s_or_b32 s12, s12, s29
	s_or_b32 exec_lo, exec_lo, s28
	s_and_saveexec_b32 s28, s12
	s_cbranch_execnz .LBB6_6528
	s_branch .LBB6_6529
.LBB6_7860:                             ;   in Loop: Header=BB6_5278 Depth=2
	s_or_saveexec_b32 s28, s28
	v_mov_b32_e32 v94, 0x7f800001
	s_xor_b32 exec_lo, exec_lo, s28
	s_cbranch_execz .LBB6_6543
.LBB6_7861:                             ;   in Loop: Header=BB6_5278 Depth=2
	v_cmp_ne_u16_sdwa s29, v22, v30 src0_sel:BYTE_3 src1_sel:DWORD
	v_mov_b32_e32 v94, 0
	s_andn2_b32 s12, s12, exec_lo
	s_and_b32 s29, s29, exec_lo
	s_or_b32 s12, s12, s29
	s_or_b32 exec_lo, exec_lo, s28
	s_and_saveexec_b32 s28, s12
	s_cbranch_execnz .LBB6_6544
	s_branch .LBB6_6545
.LBB6_7862:                             ;   in Loop: Header=BB6_5278 Depth=2
	s_or_saveexec_b32 s28, s28
	v_mov_b32_e32 v2, 0x7f800001
	s_xor_b32 exec_lo, exec_lo, s28
	s_cbranch_execz .LBB6_6549
.LBB6_7863:                             ;   in Loop: Header=BB6_5278 Depth=2
	v_cmp_ne_u16_sdwa s29, v18, v30 src0_sel:BYTE_3 src1_sel:DWORD
	v_mov_b32_e32 v2, 0
	s_andn2_b32 s12, s12, exec_lo
	s_and_b32 s29, s29, exec_lo
	s_or_b32 s12, s12, s29
	s_or_b32 exec_lo, exec_lo, s28
	s_and_saveexec_b32 s28, s12
	s_cbranch_execnz .LBB6_6550
	s_branch .LBB6_6551
.LBB6_7864:                             ;   in Loop: Header=BB6_5278 Depth=2
	s_or_saveexec_b32 s28, s28
	v_mov_b32_e32 v94, 0x7f800001
	s_xor_b32 exec_lo, exec_lo, s28
	s_cbranch_execz .LBB6_6557
.LBB6_7865:                             ;   in Loop: Header=BB6_5278 Depth=2
	v_cmp_ne_u16_sdwa s29, v22, v30 src0_sel:BYTE_3 src1_sel:DWORD
	v_mov_b32_e32 v94, 0
	s_andn2_b32 s12, s12, exec_lo
	s_and_b32 s29, s29, exec_lo
	s_or_b32 s12, s12, s29
	s_or_b32 exec_lo, exec_lo, s28
	s_and_saveexec_b32 s28, s12
	s_cbranch_execnz .LBB6_6558
	s_branch .LBB6_6559
.LBB6_7866:                             ;   in Loop: Header=BB6_5278 Depth=2
	s_or_saveexec_b32 s28, s28
	v_mov_b32_e32 v2, 0x7f800001
	s_xor_b32 exec_lo, exec_lo, s28
	s_cbranch_execz .LBB6_6563
.LBB6_7867:                             ;   in Loop: Header=BB6_5278 Depth=2
	v_cmp_ne_u16_sdwa s29, v18, v30 src0_sel:BYTE_3 src1_sel:DWORD
	v_mov_b32_e32 v2, 0
	s_andn2_b32 s12, s12, exec_lo
	s_and_b32 s29, s29, exec_lo
	s_or_b32 s12, s12, s29
	s_or_b32 exec_lo, exec_lo, s28
	s_and_saveexec_b32 s28, s12
	s_cbranch_execnz .LBB6_6564
	s_branch .LBB6_6565
.LBB6_7868:                             ;   in Loop: Header=BB6_5278 Depth=2
	s_or_saveexec_b32 s28, s28
	v_mov_b32_e32 v22, 0x7f800001
	s_xor_b32 exec_lo, exec_lo, s28
	s_cbranch_execz .LBB6_6579
.LBB6_7869:                             ;   in Loop: Header=BB6_5278 Depth=2
	v_cmp_ne_u16_sdwa s29, v23, v30 src0_sel:BYTE_0 src1_sel:DWORD
	v_mov_b32_e32 v22, 0
	s_andn2_b32 s12, s12, exec_lo
	s_and_b32 s29, s29, exec_lo
	s_or_b32 s12, s12, s29
	s_or_b32 exec_lo, exec_lo, s28
	s_and_saveexec_b32 s28, s12
	s_cbranch_execnz .LBB6_6580
	s_branch .LBB6_6581
.LBB6_7870:                             ;   in Loop: Header=BB6_5278 Depth=2
	s_or_saveexec_b32 s28, s28
	v_mov_b32_e32 v2, 0x7f800001
	s_xor_b32 exec_lo, exec_lo, s28
	s_cbranch_execz .LBB6_6585
.LBB6_7871:                             ;   in Loop: Header=BB6_5278 Depth=2
	v_cmp_ne_u16_sdwa s29, v19, v30 src0_sel:BYTE_0 src1_sel:DWORD
	v_mov_b32_e32 v2, 0
	s_andn2_b32 s12, s12, exec_lo
	s_and_b32 s29, s29, exec_lo
	s_or_b32 s12, s12, s29
	s_or_b32 exec_lo, exec_lo, s28
	s_and_saveexec_b32 s28, s12
	s_cbranch_execnz .LBB6_6586
	s_branch .LBB6_6587
.LBB6_7872:                             ;   in Loop: Header=BB6_5278 Depth=2
	s_or_saveexec_b32 s28, s28
	v_mov_b32_e32 v22, 0x7f800001
	s_xor_b32 exec_lo, exec_lo, s28
	s_cbranch_execz .LBB6_6593
.LBB6_7873:                             ;   in Loop: Header=BB6_5278 Depth=2
	v_cmp_ne_u16_sdwa s29, v23, v30 src0_sel:BYTE_0 src1_sel:DWORD
	v_mov_b32_e32 v22, 0
	s_andn2_b32 s12, s12, exec_lo
	s_and_b32 s29, s29, exec_lo
	s_or_b32 s12, s12, s29
	s_or_b32 exec_lo, exec_lo, s28
	s_and_saveexec_b32 s28, s12
	s_cbranch_execnz .LBB6_6594
	s_branch .LBB6_6595
.LBB6_7874:                             ;   in Loop: Header=BB6_5278 Depth=2
	s_or_saveexec_b32 s28, s28
	v_mov_b32_e32 v2, 0x7f800001
	s_xor_b32 exec_lo, exec_lo, s28
	s_cbranch_execz .LBB6_6599
.LBB6_7875:                             ;   in Loop: Header=BB6_5278 Depth=2
	v_cmp_ne_u16_sdwa s29, v19, v30 src0_sel:BYTE_0 src1_sel:DWORD
	v_mov_b32_e32 v2, 0
	s_andn2_b32 s12, s12, exec_lo
	s_and_b32 s29, s29, exec_lo
	s_or_b32 s12, s12, s29
	s_or_b32 exec_lo, exec_lo, s28
	s_and_saveexec_b32 s28, s12
	s_cbranch_execnz .LBB6_6600
	s_branch .LBB6_6601
.LBB6_7876:                             ;   in Loop: Header=BB6_5278 Depth=2
	s_or_saveexec_b32 s28, s28
	v_mov_b32_e32 v94, 0x7f800001
	s_xor_b32 exec_lo, exec_lo, s28
	s_cbranch_execz .LBB6_6615
.LBB6_7877:                             ;   in Loop: Header=BB6_5278 Depth=2
	v_cmp_ne_u16_sdwa s29, v23, v30 src0_sel:BYTE_1 src1_sel:DWORD
	v_mov_b32_e32 v94, 0
	s_andn2_b32 s12, s12, exec_lo
	s_and_b32 s29, s29, exec_lo
	s_or_b32 s12, s12, s29
	s_or_b32 exec_lo, exec_lo, s28
	s_and_saveexec_b32 s28, s12
	s_cbranch_execnz .LBB6_6616
	s_branch .LBB6_6617
.LBB6_7878:                             ;   in Loop: Header=BB6_5278 Depth=2
	s_or_saveexec_b32 s28, s28
	v_mov_b32_e32 v2, 0x7f800001
	s_xor_b32 exec_lo, exec_lo, s28
	s_cbranch_execz .LBB6_6621
.LBB6_7879:                             ;   in Loop: Header=BB6_5278 Depth=2
	v_cmp_ne_u16_sdwa s29, v19, v30 src0_sel:BYTE_1 src1_sel:DWORD
	v_mov_b32_e32 v2, 0
	s_andn2_b32 s12, s12, exec_lo
	s_and_b32 s29, s29, exec_lo
	s_or_b32 s12, s12, s29
	s_or_b32 exec_lo, exec_lo, s28
	s_and_saveexec_b32 s28, s12
	s_cbranch_execnz .LBB6_6622
	s_branch .LBB6_6623
.LBB6_7880:                             ;   in Loop: Header=BB6_5278 Depth=2
	s_or_saveexec_b32 s28, s28
	v_mov_b32_e32 v94, 0x7f800001
	s_xor_b32 exec_lo, exec_lo, s28
	s_cbranch_execz .LBB6_6629
.LBB6_7881:                             ;   in Loop: Header=BB6_5278 Depth=2
	v_cmp_ne_u16_sdwa s29, v23, v30 src0_sel:BYTE_1 src1_sel:DWORD
	v_mov_b32_e32 v94, 0
	s_andn2_b32 s12, s12, exec_lo
	s_and_b32 s29, s29, exec_lo
	s_or_b32 s12, s12, s29
	s_or_b32 exec_lo, exec_lo, s28
	s_and_saveexec_b32 s28, s12
	s_cbranch_execnz .LBB6_6630
	s_branch .LBB6_6631
.LBB6_7882:                             ;   in Loop: Header=BB6_5278 Depth=2
	s_or_saveexec_b32 s28, s28
	v_mov_b32_e32 v2, 0x7f800001
	s_xor_b32 exec_lo, exec_lo, s28
	s_cbranch_execz .LBB6_6635
.LBB6_7883:                             ;   in Loop: Header=BB6_5278 Depth=2
	v_cmp_ne_u16_sdwa s29, v19, v30 src0_sel:BYTE_1 src1_sel:DWORD
	v_mov_b32_e32 v2, 0
	s_andn2_b32 s12, s12, exec_lo
	s_and_b32 s29, s29, exec_lo
	s_or_b32 s12, s12, s29
	s_or_b32 exec_lo, exec_lo, s28
	s_and_saveexec_b32 s28, s12
	s_cbranch_execnz .LBB6_6636
	s_branch .LBB6_6637
.LBB6_7884:                             ;   in Loop: Header=BB6_5278 Depth=2
	s_or_saveexec_b32 s12, s12
	v_mov_b32_e32 v104, 0x7f800001
	s_xor_b32 exec_lo, exec_lo, s12
	s_cbranch_execz .LBB6_6651
.LBB6_7885:                             ;   in Loop: Header=BB6_5278 Depth=2
	v_cmp_ne_u16_e32 vcc_lo, 0, v95
	v_mov_b32_e32 v104, 0
	s_andn2_b32 s28, s28, exec_lo
	s_and_b32 s29, vcc_lo, exec_lo
	s_or_b32 s28, s28, s29
	s_or_b32 exec_lo, exec_lo, s12
	s_and_saveexec_b32 s12, s28
	s_cbranch_execnz .LBB6_6652
	s_branch .LBB6_6653
.LBB6_7886:                             ;   in Loop: Header=BB6_5278 Depth=2
	s_or_saveexec_b32 s28, s28
	v_mov_b32_e32 v2, 0x7f800001
	s_xor_b32 exec_lo, exec_lo, s28
	s_cbranch_execz .LBB6_6657
.LBB6_7887:                             ;   in Loop: Header=BB6_5278 Depth=2
	v_cmp_ne_u16_e32 vcc_lo, 0, v3
	v_mov_b32_e32 v2, 0
	s_andn2_b32 s12, s12, exec_lo
	s_and_b32 s29, vcc_lo, exec_lo
	s_or_b32 s12, s12, s29
	s_or_b32 exec_lo, exec_lo, s28
	s_and_saveexec_b32 s28, s12
	s_cbranch_execnz .LBB6_6658
	s_branch .LBB6_6659
.LBB6_7888:                             ;   in Loop: Header=BB6_5278 Depth=2
	s_or_saveexec_b32 s28, s28
	v_mov_b32_e32 v104, 0x7f800001
	s_xor_b32 exec_lo, exec_lo, s28
	s_cbranch_execz .LBB6_6665
.LBB6_7889:                             ;   in Loop: Header=BB6_5278 Depth=2
	v_cmp_ne_u16_e32 vcc_lo, 0, v95
	v_mov_b32_e32 v104, 0
	s_andn2_b32 s12, s12, exec_lo
	s_and_b32 s29, vcc_lo, exec_lo
	s_or_b32 s12, s12, s29
	s_or_b32 exec_lo, exec_lo, s28
	s_and_saveexec_b32 s28, s12
	s_cbranch_execnz .LBB6_6666
	s_branch .LBB6_6667
.LBB6_7890:                             ;   in Loop: Header=BB6_5278 Depth=2
	s_or_saveexec_b32 s28, s28
	v_mov_b32_e32 v2, 0x7f800001
	s_xor_b32 exec_lo, exec_lo, s28
	s_cbranch_execz .LBB6_6671
.LBB6_7891:                             ;   in Loop: Header=BB6_5278 Depth=2
	v_cmp_ne_u16_e32 vcc_lo, 0, v3
	v_mov_b32_e32 v2, 0
	s_andn2_b32 s12, s12, exec_lo
	s_and_b32 s29, vcc_lo, exec_lo
	s_or_b32 s12, s12, s29
	s_or_b32 exec_lo, exec_lo, s28
	s_and_saveexec_b32 s28, s12
	s_cbranch_execnz .LBB6_6672
	s_branch .LBB6_6673
.LBB6_7892:                             ;   in Loop: Header=BB6_5278 Depth=2
	s_or_saveexec_b32 s28, s28
	v_mov_b32_e32 v104, 0x7f800001
	s_xor_b32 exec_lo, exec_lo, s28
	s_cbranch_execz .LBB6_6687
.LBB6_7893:                             ;   in Loop: Header=BB6_5278 Depth=2
	v_cmp_ne_u16_sdwa s29, v23, v30 src0_sel:BYTE_3 src1_sel:DWORD
	v_mov_b32_e32 v104, 0
	s_andn2_b32 s12, s12, exec_lo
	s_and_b32 s29, s29, exec_lo
	s_or_b32 s12, s12, s29
	s_or_b32 exec_lo, exec_lo, s28
	s_and_saveexec_b32 s28, s12
	s_cbranch_execnz .LBB6_6688
	s_branch .LBB6_6689
.LBB6_7894:                             ;   in Loop: Header=BB6_5278 Depth=2
	s_or_saveexec_b32 s28, s28
	v_mov_b32_e32 v2, 0x7f800001
	s_xor_b32 exec_lo, exec_lo, s28
	s_cbranch_execz .LBB6_6693
.LBB6_7895:                             ;   in Loop: Header=BB6_5278 Depth=2
	v_cmp_ne_u16_sdwa s29, v19, v30 src0_sel:BYTE_3 src1_sel:DWORD
	v_mov_b32_e32 v2, 0
	s_andn2_b32 s12, s12, exec_lo
	s_and_b32 s29, s29, exec_lo
	s_or_b32 s12, s12, s29
	s_or_b32 exec_lo, exec_lo, s28
	s_and_saveexec_b32 s28, s12
	s_cbranch_execnz .LBB6_6694
	s_branch .LBB6_6695
.LBB6_7896:                             ;   in Loop: Header=BB6_5278 Depth=2
	s_or_saveexec_b32 s28, s28
	v_mov_b32_e32 v104, 0x7f800001
	s_xor_b32 exec_lo, exec_lo, s28
	s_cbranch_execz .LBB6_6701
.LBB6_7897:                             ;   in Loop: Header=BB6_5278 Depth=2
	v_cmp_ne_u16_sdwa s29, v23, v30 src0_sel:BYTE_3 src1_sel:DWORD
	v_mov_b32_e32 v104, 0
	s_andn2_b32 s12, s12, exec_lo
	s_and_b32 s29, s29, exec_lo
	s_or_b32 s12, s12, s29
	s_or_b32 exec_lo, exec_lo, s28
	s_and_saveexec_b32 s28, s12
	s_cbranch_execnz .LBB6_6702
	s_branch .LBB6_6703
.LBB6_7898:                             ;   in Loop: Header=BB6_5278 Depth=2
	s_or_saveexec_b32 s28, s28
	v_mov_b32_e32 v2, 0x7f800001
	s_xor_b32 exec_lo, exec_lo, s28
	s_cbranch_execz .LBB6_6707
.LBB6_7899:                             ;   in Loop: Header=BB6_5278 Depth=2
	v_cmp_ne_u16_sdwa s29, v19, v30 src0_sel:BYTE_3 src1_sel:DWORD
	v_mov_b32_e32 v2, 0
	s_andn2_b32 s12, s12, exec_lo
	s_and_b32 s29, s29, exec_lo
	s_or_b32 s12, s12, s29
	s_or_b32 exec_lo, exec_lo, s28
	s_and_saveexec_b32 s28, s12
	s_cbranch_execnz .LBB6_6708
	s_branch .LBB6_6709
.LBB6_7900:                             ;   in Loop: Header=BB6_5278 Depth=2
	s_or_saveexec_b32 s28, s28
	v_mov_b32_e32 v23, 0x7f800001
	s_xor_b32 exec_lo, exec_lo, s28
	s_cbranch_execz .LBB6_6723
.LBB6_7901:                             ;   in Loop: Header=BB6_5278 Depth=2
	v_cmp_ne_u16_sdwa s29, v24, v30 src0_sel:BYTE_0 src1_sel:DWORD
	v_mov_b32_e32 v23, 0
	s_andn2_b32 s12, s12, exec_lo
	s_and_b32 s29, s29, exec_lo
	s_or_b32 s12, s12, s29
	s_or_b32 exec_lo, exec_lo, s28
	s_and_saveexec_b32 s28, s12
	s_cbranch_execnz .LBB6_6724
	s_branch .LBB6_6725
.LBB6_7902:                             ;   in Loop: Header=BB6_5278 Depth=2
	s_or_saveexec_b32 s28, s28
	v_mov_b32_e32 v2, 0x7f800001
	s_xor_b32 exec_lo, exec_lo, s28
	s_cbranch_execz .LBB6_6729
.LBB6_7903:                             ;   in Loop: Header=BB6_5278 Depth=2
	v_cmp_ne_u16_sdwa s29, v20, v30 src0_sel:BYTE_0 src1_sel:DWORD
	v_mov_b32_e32 v2, 0
	s_andn2_b32 s12, s12, exec_lo
	s_and_b32 s29, s29, exec_lo
	s_or_b32 s12, s12, s29
	s_or_b32 exec_lo, exec_lo, s28
	s_and_saveexec_b32 s28, s12
	s_cbranch_execnz .LBB6_6730
	s_branch .LBB6_6731
.LBB6_7904:                             ;   in Loop: Header=BB6_5278 Depth=2
	s_or_saveexec_b32 s28, s28
	v_mov_b32_e32 v23, 0x7f800001
	s_xor_b32 exec_lo, exec_lo, s28
	s_cbranch_execz .LBB6_6737
.LBB6_7905:                             ;   in Loop: Header=BB6_5278 Depth=2
	v_cmp_ne_u16_sdwa s29, v24, v30 src0_sel:BYTE_0 src1_sel:DWORD
	v_mov_b32_e32 v23, 0
	s_andn2_b32 s12, s12, exec_lo
	s_and_b32 s29, s29, exec_lo
	s_or_b32 s12, s12, s29
	s_or_b32 exec_lo, exec_lo, s28
	s_and_saveexec_b32 s28, s12
	s_cbranch_execnz .LBB6_6738
	s_branch .LBB6_6739
.LBB6_7906:                             ;   in Loop: Header=BB6_5278 Depth=2
	s_or_saveexec_b32 s28, s28
	v_mov_b32_e32 v2, 0x7f800001
	s_xor_b32 exec_lo, exec_lo, s28
	s_cbranch_execz .LBB6_6743
.LBB6_7907:                             ;   in Loop: Header=BB6_5278 Depth=2
	v_cmp_ne_u16_sdwa s29, v20, v30 src0_sel:BYTE_0 src1_sel:DWORD
	v_mov_b32_e32 v2, 0
	s_andn2_b32 s12, s12, exec_lo
	s_and_b32 s29, s29, exec_lo
	s_or_b32 s12, s12, s29
	s_or_b32 exec_lo, exec_lo, s28
	s_and_saveexec_b32 s28, s12
	s_cbranch_execnz .LBB6_6744
	s_branch .LBB6_6745
.LBB6_7908:                             ;   in Loop: Header=BB6_5278 Depth=2
	s_or_saveexec_b32 s28, s28
	v_mov_b32_e32 v104, 0x7f800001
	s_xor_b32 exec_lo, exec_lo, s28
	s_cbranch_execz .LBB6_6759
.LBB6_7909:                             ;   in Loop: Header=BB6_5278 Depth=2
	v_cmp_ne_u16_sdwa s29, v24, v30 src0_sel:BYTE_1 src1_sel:DWORD
	v_mov_b32_e32 v104, 0
	s_andn2_b32 s12, s12, exec_lo
	s_and_b32 s29, s29, exec_lo
	s_or_b32 s12, s12, s29
	s_or_b32 exec_lo, exec_lo, s28
	s_and_saveexec_b32 s28, s12
	s_cbranch_execnz .LBB6_6760
	s_branch .LBB6_6761
.LBB6_7910:                             ;   in Loop: Header=BB6_5278 Depth=2
	s_or_saveexec_b32 s28, s28
	v_mov_b32_e32 v2, 0x7f800001
	s_xor_b32 exec_lo, exec_lo, s28
	s_cbranch_execz .LBB6_6765
.LBB6_7911:                             ;   in Loop: Header=BB6_5278 Depth=2
	v_cmp_ne_u16_sdwa s29, v20, v30 src0_sel:BYTE_1 src1_sel:DWORD
	v_mov_b32_e32 v2, 0
	s_andn2_b32 s12, s12, exec_lo
	s_and_b32 s29, s29, exec_lo
	s_or_b32 s12, s12, s29
	s_or_b32 exec_lo, exec_lo, s28
	s_and_saveexec_b32 s28, s12
	s_cbranch_execnz .LBB6_6766
	s_branch .LBB6_6767
.LBB6_7912:                             ;   in Loop: Header=BB6_5278 Depth=2
	s_or_saveexec_b32 s28, s28
	v_mov_b32_e32 v104, 0x7f800001
	s_xor_b32 exec_lo, exec_lo, s28
	s_cbranch_execz .LBB6_6773
.LBB6_7913:                             ;   in Loop: Header=BB6_5278 Depth=2
	v_cmp_ne_u16_sdwa s29, v24, v30 src0_sel:BYTE_1 src1_sel:DWORD
	v_mov_b32_e32 v104, 0
	s_andn2_b32 s12, s12, exec_lo
	s_and_b32 s29, s29, exec_lo
	s_or_b32 s12, s12, s29
	s_or_b32 exec_lo, exec_lo, s28
	s_and_saveexec_b32 s28, s12
	s_cbranch_execnz .LBB6_6774
	s_branch .LBB6_6775
.LBB6_7914:                             ;   in Loop: Header=BB6_5278 Depth=2
	s_or_saveexec_b32 s28, s28
	v_mov_b32_e32 v2, 0x7f800001
	s_xor_b32 exec_lo, exec_lo, s28
	s_cbranch_execz .LBB6_6779
.LBB6_7915:                             ;   in Loop: Header=BB6_5278 Depth=2
	v_cmp_ne_u16_sdwa s29, v20, v30 src0_sel:BYTE_1 src1_sel:DWORD
	v_mov_b32_e32 v2, 0
	s_andn2_b32 s12, s12, exec_lo
	s_and_b32 s29, s29, exec_lo
	s_or_b32 s12, s12, s29
	s_or_b32 exec_lo, exec_lo, s28
	s_and_saveexec_b32 s28, s12
	s_cbranch_execnz .LBB6_6780
	s_branch .LBB6_6781
.LBB6_7916:                             ;   in Loop: Header=BB6_5278 Depth=2
	s_or_saveexec_b32 s12, s12
	v_mov_b32_e32 v106, 0x7f800001
	s_xor_b32 exec_lo, exec_lo, s12
	s_cbranch_execz .LBB6_6795
.LBB6_7917:                             ;   in Loop: Header=BB6_5278 Depth=2
	v_cmp_ne_u16_e32 vcc_lo, 0, v105
	v_mov_b32_e32 v106, 0
	s_andn2_b32 s28, s28, exec_lo
	s_and_b32 s29, vcc_lo, exec_lo
	s_or_b32 s28, s28, s29
	s_or_b32 exec_lo, exec_lo, s12
	s_and_saveexec_b32 s12, s28
	s_cbranch_execnz .LBB6_6796
	s_branch .LBB6_6797
.LBB6_7918:                             ;   in Loop: Header=BB6_5278 Depth=2
	s_or_saveexec_b32 s28, s28
	v_mov_b32_e32 v2, 0x7f800001
	s_xor_b32 exec_lo, exec_lo, s28
	s_cbranch_execz .LBB6_6801
.LBB6_7919:                             ;   in Loop: Header=BB6_5278 Depth=2
	v_cmp_ne_u16_e32 vcc_lo, 0, v3
	v_mov_b32_e32 v2, 0
	s_andn2_b32 s12, s12, exec_lo
	s_and_b32 s29, vcc_lo, exec_lo
	s_or_b32 s12, s12, s29
	s_or_b32 exec_lo, exec_lo, s28
	s_and_saveexec_b32 s28, s12
	s_cbranch_execnz .LBB6_6802
	s_branch .LBB6_6803
.LBB6_7920:                             ;   in Loop: Header=BB6_5278 Depth=2
	s_or_saveexec_b32 s28, s28
	v_mov_b32_e32 v106, 0x7f800001
	s_xor_b32 exec_lo, exec_lo, s28
	s_cbranch_execz .LBB6_6809
.LBB6_7921:                             ;   in Loop: Header=BB6_5278 Depth=2
	v_cmp_ne_u16_e32 vcc_lo, 0, v105
	v_mov_b32_e32 v106, 0
	s_andn2_b32 s12, s12, exec_lo
	s_and_b32 s29, vcc_lo, exec_lo
	s_or_b32 s12, s12, s29
	s_or_b32 exec_lo, exec_lo, s28
	s_and_saveexec_b32 s28, s12
	s_cbranch_execnz .LBB6_6810
	s_branch .LBB6_6811
.LBB6_7922:                             ;   in Loop: Header=BB6_5278 Depth=2
	s_or_saveexec_b32 s28, s28
	v_mov_b32_e32 v2, 0x7f800001
	s_xor_b32 exec_lo, exec_lo, s28
	s_cbranch_execz .LBB6_6815
.LBB6_7923:                             ;   in Loop: Header=BB6_5278 Depth=2
	v_cmp_ne_u16_e32 vcc_lo, 0, v3
	v_mov_b32_e32 v2, 0
	s_andn2_b32 s12, s12, exec_lo
	s_and_b32 s29, vcc_lo, exec_lo
	s_or_b32 s12, s12, s29
	s_or_b32 exec_lo, exec_lo, s28
	s_and_saveexec_b32 s28, s12
	s_cbranch_execnz .LBB6_6816
	s_branch .LBB6_6817
.LBB6_7924:                             ;   in Loop: Header=BB6_5278 Depth=2
	s_or_saveexec_b32 s28, s28
	v_mov_b32_e32 v106, 0x7f800001
	s_xor_b32 exec_lo, exec_lo, s28
	s_cbranch_execz .LBB6_6831
.LBB6_7925:                             ;   in Loop: Header=BB6_5278 Depth=2
	v_cmp_ne_u16_sdwa s29, v24, v30 src0_sel:BYTE_3 src1_sel:DWORD
	v_mov_b32_e32 v106, 0
	s_andn2_b32 s12, s12, exec_lo
	s_and_b32 s29, s29, exec_lo
	s_or_b32 s12, s12, s29
	s_or_b32 exec_lo, exec_lo, s28
	s_and_saveexec_b32 s28, s12
	s_cbranch_execnz .LBB6_6832
	s_branch .LBB6_6833
.LBB6_7926:                             ;   in Loop: Header=BB6_5278 Depth=2
	s_or_saveexec_b32 s28, s28
	v_mov_b32_e32 v2, 0x7f800001
	s_xor_b32 exec_lo, exec_lo, s28
	s_cbranch_execz .LBB6_6837
.LBB6_7927:                             ;   in Loop: Header=BB6_5278 Depth=2
	v_cmp_ne_u16_sdwa s29, v20, v30 src0_sel:BYTE_3 src1_sel:DWORD
	v_mov_b32_e32 v2, 0
	s_andn2_b32 s12, s12, exec_lo
	s_and_b32 s29, s29, exec_lo
	s_or_b32 s12, s12, s29
	s_or_b32 exec_lo, exec_lo, s28
	s_and_saveexec_b32 s28, s12
	s_cbranch_execnz .LBB6_6838
	s_branch .LBB6_6839
.LBB6_7928:                             ;   in Loop: Header=BB6_5278 Depth=2
	s_or_saveexec_b32 s28, s28
	v_mov_b32_e32 v106, 0x7f800001
	s_xor_b32 exec_lo, exec_lo, s28
	s_cbranch_execz .LBB6_6845
.LBB6_7929:                             ;   in Loop: Header=BB6_5278 Depth=2
	v_cmp_ne_u16_sdwa s29, v24, v30 src0_sel:BYTE_3 src1_sel:DWORD
	v_mov_b32_e32 v106, 0
	s_andn2_b32 s12, s12, exec_lo
	s_and_b32 s29, s29, exec_lo
	s_or_b32 s12, s12, s29
	s_or_b32 exec_lo, exec_lo, s28
	s_and_saveexec_b32 s28, s12
	s_cbranch_execnz .LBB6_6846
	s_branch .LBB6_6847
.LBB6_7930:                             ;   in Loop: Header=BB6_5278 Depth=2
	s_or_saveexec_b32 s28, s28
	v_mov_b32_e32 v2, 0x7f800001
	s_xor_b32 exec_lo, exec_lo, s28
	s_cbranch_execz .LBB6_6851
.LBB6_7931:                             ;   in Loop: Header=BB6_5278 Depth=2
	v_cmp_ne_u16_sdwa s29, v20, v30 src0_sel:BYTE_3 src1_sel:DWORD
	v_mov_b32_e32 v2, 0
	s_andn2_b32 s12, s12, exec_lo
	s_and_b32 s29, s29, exec_lo
	s_or_b32 s12, s12, s29
	s_or_b32 exec_lo, exec_lo, s28
	s_and_saveexec_b32 s28, s12
	s_cbranch_execnz .LBB6_6852
	s_branch .LBB6_6853
.LBB6_7932:                             ;   in Loop: Header=BB6_5278 Depth=2
	s_or_saveexec_b32 s28, s28
	v_mov_b32_e32 v24, 0x7f800001
	s_xor_b32 exec_lo, exec_lo, s28
	s_cbranch_execz .LBB6_6867
.LBB6_7933:                             ;   in Loop: Header=BB6_5278 Depth=2
	v_cmp_ne_u16_sdwa s29, v25, v30 src0_sel:BYTE_0 src1_sel:DWORD
	v_mov_b32_e32 v24, 0
	s_andn2_b32 s12, s12, exec_lo
	s_and_b32 s29, s29, exec_lo
	s_or_b32 s12, s12, s29
	s_or_b32 exec_lo, exec_lo, s28
	s_and_saveexec_b32 s28, s12
	s_cbranch_execnz .LBB6_6868
	s_branch .LBB6_6869
.LBB6_7934:                             ;   in Loop: Header=BB6_5278 Depth=2
	s_or_saveexec_b32 s28, s28
	v_mov_b32_e32 v2, 0x7f800001
	s_xor_b32 exec_lo, exec_lo, s28
	s_cbranch_execz .LBB6_6873
.LBB6_7935:                             ;   in Loop: Header=BB6_5278 Depth=2
	v_cmp_ne_u16_sdwa s29, v21, v30 src0_sel:BYTE_0 src1_sel:DWORD
	v_mov_b32_e32 v2, 0
	s_andn2_b32 s12, s12, exec_lo
	s_and_b32 s29, s29, exec_lo
	s_or_b32 s12, s12, s29
	s_or_b32 exec_lo, exec_lo, s28
	s_and_saveexec_b32 s28, s12
	s_cbranch_execnz .LBB6_6874
	s_branch .LBB6_6875
.LBB6_7936:                             ;   in Loop: Header=BB6_5278 Depth=2
	s_or_saveexec_b32 s28, s28
	v_mov_b32_e32 v24, 0x7f800001
	s_xor_b32 exec_lo, exec_lo, s28
	s_cbranch_execz .LBB6_6881
.LBB6_7937:                             ;   in Loop: Header=BB6_5278 Depth=2
	v_cmp_ne_u16_sdwa s29, v25, v30 src0_sel:BYTE_0 src1_sel:DWORD
	v_mov_b32_e32 v24, 0
	s_andn2_b32 s12, s12, exec_lo
	s_and_b32 s29, s29, exec_lo
	s_or_b32 s12, s12, s29
	s_or_b32 exec_lo, exec_lo, s28
	s_and_saveexec_b32 s28, s12
	s_cbranch_execnz .LBB6_6882
	s_branch .LBB6_6883
.LBB6_7938:                             ;   in Loop: Header=BB6_5278 Depth=2
	s_or_saveexec_b32 s28, s28
	v_mov_b32_e32 v2, 0x7f800001
	s_xor_b32 exec_lo, exec_lo, s28
	s_cbranch_execz .LBB6_6887
.LBB6_7939:                             ;   in Loop: Header=BB6_5278 Depth=2
	v_cmp_ne_u16_sdwa s29, v21, v30 src0_sel:BYTE_0 src1_sel:DWORD
	v_mov_b32_e32 v2, 0
	s_andn2_b32 s12, s12, exec_lo
	s_and_b32 s29, s29, exec_lo
	s_or_b32 s12, s12, s29
	s_or_b32 exec_lo, exec_lo, s28
	s_and_saveexec_b32 s28, s12
	s_cbranch_execnz .LBB6_6888
	s_branch .LBB6_6889
.LBB6_7940:                             ;   in Loop: Header=BB6_5278 Depth=2
	s_or_saveexec_b32 s28, s28
	v_mov_b32_e32 v106, 0x7f800001
	s_xor_b32 exec_lo, exec_lo, s28
	s_cbranch_execz .LBB6_6903
.LBB6_7941:                             ;   in Loop: Header=BB6_5278 Depth=2
	v_cmp_ne_u16_sdwa s29, v25, v30 src0_sel:BYTE_1 src1_sel:DWORD
	v_mov_b32_e32 v106, 0
	s_andn2_b32 s12, s12, exec_lo
	s_and_b32 s29, s29, exec_lo
	s_or_b32 s12, s12, s29
	s_or_b32 exec_lo, exec_lo, s28
	s_and_saveexec_b32 s28, s12
	s_cbranch_execnz .LBB6_6904
	s_branch .LBB6_6905
.LBB6_7942:                             ;   in Loop: Header=BB6_5278 Depth=2
	s_or_saveexec_b32 s28, s28
	v_mov_b32_e32 v2, 0x7f800001
	s_xor_b32 exec_lo, exec_lo, s28
	s_cbranch_execz .LBB6_6909
.LBB6_7943:                             ;   in Loop: Header=BB6_5278 Depth=2
	v_cmp_ne_u16_sdwa s29, v21, v30 src0_sel:BYTE_1 src1_sel:DWORD
	v_mov_b32_e32 v2, 0
	s_andn2_b32 s12, s12, exec_lo
	s_and_b32 s29, s29, exec_lo
	s_or_b32 s12, s12, s29
	s_or_b32 exec_lo, exec_lo, s28
	s_and_saveexec_b32 s28, s12
	s_cbranch_execnz .LBB6_6910
	s_branch .LBB6_6911
.LBB6_7944:                             ;   in Loop: Header=BB6_5278 Depth=2
	s_or_saveexec_b32 s28, s28
	v_mov_b32_e32 v106, 0x7f800001
	s_xor_b32 exec_lo, exec_lo, s28
	s_cbranch_execz .LBB6_6917
.LBB6_7945:                             ;   in Loop: Header=BB6_5278 Depth=2
	v_cmp_ne_u16_sdwa s29, v25, v30 src0_sel:BYTE_1 src1_sel:DWORD
	v_mov_b32_e32 v106, 0
	s_andn2_b32 s12, s12, exec_lo
	s_and_b32 s29, s29, exec_lo
	s_or_b32 s12, s12, s29
	s_or_b32 exec_lo, exec_lo, s28
	s_and_saveexec_b32 s28, s12
	s_cbranch_execnz .LBB6_6918
	s_branch .LBB6_6919
.LBB6_7946:                             ;   in Loop: Header=BB6_5278 Depth=2
	s_or_saveexec_b32 s28, s28
	v_mov_b32_e32 v2, 0x7f800001
	s_xor_b32 exec_lo, exec_lo, s28
	s_cbranch_execz .LBB6_6923
.LBB6_7947:                             ;   in Loop: Header=BB6_5278 Depth=2
	v_cmp_ne_u16_sdwa s29, v21, v30 src0_sel:BYTE_1 src1_sel:DWORD
	v_mov_b32_e32 v2, 0
	s_andn2_b32 s12, s12, exec_lo
	s_and_b32 s29, s29, exec_lo
	s_or_b32 s12, s12, s29
	s_or_b32 exec_lo, exec_lo, s28
	s_and_saveexec_b32 s28, s12
	s_cbranch_execnz .LBB6_6924
	s_branch .LBB6_6925
.LBB6_7948:                             ;   in Loop: Header=BB6_5278 Depth=2
	s_or_saveexec_b32 s12, s12
	v_mov_b32_e32 v108, 0x7f800001
	s_xor_b32 exec_lo, exec_lo, s12
	s_cbranch_execz .LBB6_6939
.LBB6_7949:                             ;   in Loop: Header=BB6_5278 Depth=2
	v_cmp_ne_u16_e32 vcc_lo, 0, v107
	v_mov_b32_e32 v108, 0
	s_andn2_b32 s28, s28, exec_lo
	s_and_b32 s29, vcc_lo, exec_lo
	s_or_b32 s28, s28, s29
	s_or_b32 exec_lo, exec_lo, s12
	s_and_saveexec_b32 s12, s28
	s_cbranch_execnz .LBB6_6940
	s_branch .LBB6_6941
.LBB6_7950:                             ;   in Loop: Header=BB6_5278 Depth=2
	s_or_saveexec_b32 s28, s28
	v_mov_b32_e32 v2, 0x7f800001
	s_xor_b32 exec_lo, exec_lo, s28
	s_cbranch_execz .LBB6_6945
.LBB6_7951:                             ;   in Loop: Header=BB6_5278 Depth=2
	v_cmp_ne_u16_e32 vcc_lo, 0, v3
	v_mov_b32_e32 v2, 0
	s_andn2_b32 s12, s12, exec_lo
	s_and_b32 s29, vcc_lo, exec_lo
	s_or_b32 s12, s12, s29
	s_or_b32 exec_lo, exec_lo, s28
	s_and_saveexec_b32 s28, s12
	s_cbranch_execnz .LBB6_6946
	s_branch .LBB6_6947
.LBB6_7952:                             ;   in Loop: Header=BB6_5278 Depth=2
	s_or_saveexec_b32 s28, s28
	v_mov_b32_e32 v108, 0x7f800001
	s_xor_b32 exec_lo, exec_lo, s28
	s_cbranch_execz .LBB6_6953
.LBB6_7953:                             ;   in Loop: Header=BB6_5278 Depth=2
	v_cmp_ne_u16_e32 vcc_lo, 0, v107
	v_mov_b32_e32 v108, 0
	s_andn2_b32 s12, s12, exec_lo
	s_and_b32 s29, vcc_lo, exec_lo
	s_or_b32 s12, s12, s29
	s_or_b32 exec_lo, exec_lo, s28
	s_and_saveexec_b32 s28, s12
	s_cbranch_execnz .LBB6_6954
	s_branch .LBB6_6955
.LBB6_7954:                             ;   in Loop: Header=BB6_5278 Depth=2
	s_or_saveexec_b32 s28, s28
	v_mov_b32_e32 v2, 0x7f800001
	s_xor_b32 exec_lo, exec_lo, s28
	s_cbranch_execz .LBB6_6959
.LBB6_7955:                             ;   in Loop: Header=BB6_5278 Depth=2
	v_cmp_ne_u16_e32 vcc_lo, 0, v3
	v_mov_b32_e32 v2, 0
	s_andn2_b32 s12, s12, exec_lo
	s_and_b32 s29, vcc_lo, exec_lo
	s_or_b32 s12, s12, s29
	s_or_b32 exec_lo, exec_lo, s28
	s_and_saveexec_b32 s28, s12
	s_cbranch_execnz .LBB6_6960
	s_branch .LBB6_6961
.LBB6_7956:                             ;   in Loop: Header=BB6_5278 Depth=2
	s_or_saveexec_b32 s28, s28
	v_mov_b32_e32 v108, 0x7f800001
	s_xor_b32 exec_lo, exec_lo, s28
	s_cbranch_execz .LBB6_6975
.LBB6_7957:                             ;   in Loop: Header=BB6_5278 Depth=2
	v_cmp_ne_u16_sdwa s29, v25, v30 src0_sel:BYTE_3 src1_sel:DWORD
	v_mov_b32_e32 v108, 0
	s_andn2_b32 s12, s12, exec_lo
	s_and_b32 s29, s29, exec_lo
	s_or_b32 s12, s12, s29
	s_or_b32 exec_lo, exec_lo, s28
	s_and_saveexec_b32 s28, s12
	s_cbranch_execnz .LBB6_6976
	s_branch .LBB6_6977
.LBB6_7958:                             ;   in Loop: Header=BB6_5278 Depth=2
	s_or_saveexec_b32 s28, s28
	v_mov_b32_e32 v2, 0x7f800001
	s_xor_b32 exec_lo, exec_lo, s28
	s_cbranch_execz .LBB6_6981
.LBB6_7959:                             ;   in Loop: Header=BB6_5278 Depth=2
	v_cmp_ne_u16_sdwa s29, v21, v30 src0_sel:BYTE_3 src1_sel:DWORD
	v_mov_b32_e32 v2, 0
	s_andn2_b32 s12, s12, exec_lo
	s_and_b32 s29, s29, exec_lo
	s_or_b32 s12, s12, s29
	s_or_b32 exec_lo, exec_lo, s28
	s_and_saveexec_b32 s28, s12
	s_cbranch_execnz .LBB6_6982
	s_branch .LBB6_6983
.LBB6_7960:                             ;   in Loop: Header=BB6_5278 Depth=2
	s_or_saveexec_b32 s28, s28
	v_mov_b32_e32 v108, 0x7f800001
	s_xor_b32 exec_lo, exec_lo, s28
	s_cbranch_execz .LBB6_6989
.LBB6_7961:                             ;   in Loop: Header=BB6_5278 Depth=2
	v_cmp_ne_u16_sdwa s29, v25, v30 src0_sel:BYTE_3 src1_sel:DWORD
	v_mov_b32_e32 v108, 0
	s_andn2_b32 s12, s12, exec_lo
	s_and_b32 s29, s29, exec_lo
	s_or_b32 s12, s12, s29
	s_or_b32 exec_lo, exec_lo, s28
	s_and_saveexec_b32 s28, s12
	s_cbranch_execnz .LBB6_6990
	s_branch .LBB6_6991
.LBB6_7962:                             ;   in Loop: Header=BB6_5278 Depth=2
	s_or_saveexec_b32 s28, s28
	v_mov_b32_e32 v2, 0x7f800001
	s_xor_b32 exec_lo, exec_lo, s28
	s_cbranch_execz .LBB6_6995
.LBB6_7963:                             ;   in Loop: Header=BB6_5278 Depth=2
	v_cmp_ne_u16_sdwa s29, v21, v30 src0_sel:BYTE_3 src1_sel:DWORD
	v_mov_b32_e32 v2, 0
	s_andn2_b32 s12, s12, exec_lo
	s_and_b32 s29, s29, exec_lo
	s_or_b32 s12, s12, s29
	s_or_b32 exec_lo, exec_lo, s28
	s_and_saveexec_b32 s28, s12
	s_cbranch_execnz .LBB6_6996
	s_branch .LBB6_6997
.LBB6_7964:                             ;   in Loop: Header=BB6_5278 Depth=2
	s_or_saveexec_b32 s28, s28
	v_mov_b32_e32 v25, 0x7f800001
	s_xor_b32 exec_lo, exec_lo, s28
	s_cbranch_execz .LBB6_7011
.LBB6_7965:                             ;   in Loop: Header=BB6_5278 Depth=2
	v_cmp_ne_u16_sdwa s29, v14, v30 src0_sel:BYTE_0 src1_sel:DWORD
	v_mov_b32_e32 v25, 0
	s_andn2_b32 s12, s12, exec_lo
	s_and_b32 s29, s29, exec_lo
	s_or_b32 s12, s12, s29
	s_or_b32 exec_lo, exec_lo, s28
	s_and_saveexec_b32 s28, s12
	s_cbranch_execnz .LBB6_7012
	s_branch .LBB6_7013
.LBB6_7966:                             ;   in Loop: Header=BB6_5278 Depth=2
	s_or_saveexec_b32 s28, s28
	v_mov_b32_e32 v2, 0x7f800001
	s_xor_b32 exec_lo, exec_lo, s28
	s_cbranch_execz .LBB6_7017
.LBB6_7967:                             ;   in Loop: Header=BB6_5278 Depth=2
	v_cmp_ne_u16_sdwa s29, v10, v30 src0_sel:BYTE_0 src1_sel:DWORD
	v_mov_b32_e32 v2, 0
	s_andn2_b32 s12, s12, exec_lo
	s_and_b32 s29, s29, exec_lo
	s_or_b32 s12, s12, s29
	s_or_b32 exec_lo, exec_lo, s28
	s_and_saveexec_b32 s28, s12
	s_cbranch_execnz .LBB6_7018
	s_branch .LBB6_7019
.LBB6_7968:                             ;   in Loop: Header=BB6_5278 Depth=2
	s_or_saveexec_b32 s28, s28
	v_mov_b32_e32 v25, 0x7f800001
	s_xor_b32 exec_lo, exec_lo, s28
	s_cbranch_execz .LBB6_7025
.LBB6_7969:                             ;   in Loop: Header=BB6_5278 Depth=2
	v_cmp_ne_u16_sdwa s29, v14, v30 src0_sel:BYTE_0 src1_sel:DWORD
	v_mov_b32_e32 v25, 0
	s_andn2_b32 s12, s12, exec_lo
	s_and_b32 s29, s29, exec_lo
	s_or_b32 s12, s12, s29
	s_or_b32 exec_lo, exec_lo, s28
	s_and_saveexec_b32 s28, s12
	s_cbranch_execnz .LBB6_7026
	s_branch .LBB6_7027
.LBB6_7970:                             ;   in Loop: Header=BB6_5278 Depth=2
	s_or_saveexec_b32 s28, s28
	v_mov_b32_e32 v2, 0x7f800001
	s_xor_b32 exec_lo, exec_lo, s28
	s_cbranch_execz .LBB6_7031
.LBB6_7971:                             ;   in Loop: Header=BB6_5278 Depth=2
	v_cmp_ne_u16_sdwa s29, v10, v30 src0_sel:BYTE_0 src1_sel:DWORD
	v_mov_b32_e32 v2, 0
	s_andn2_b32 s12, s12, exec_lo
	s_and_b32 s29, s29, exec_lo
	s_or_b32 s12, s12, s29
	s_or_b32 exec_lo, exec_lo, s28
	s_and_saveexec_b32 s28, s12
	s_cbranch_execnz .LBB6_7032
	s_branch .LBB6_7033
.LBB6_7972:                             ;   in Loop: Header=BB6_5278 Depth=2
	s_or_saveexec_b32 s28, s28
	v_mov_b32_e32 v108, 0x7f800001
	s_xor_b32 exec_lo, exec_lo, s28
	s_cbranch_execz .LBB6_7047
.LBB6_7973:                             ;   in Loop: Header=BB6_5278 Depth=2
	v_cmp_ne_u16_sdwa s29, v14, v30 src0_sel:BYTE_1 src1_sel:DWORD
	v_mov_b32_e32 v108, 0
	s_andn2_b32 s12, s12, exec_lo
	s_and_b32 s29, s29, exec_lo
	s_or_b32 s12, s12, s29
	s_or_b32 exec_lo, exec_lo, s28
	s_and_saveexec_b32 s28, s12
	s_cbranch_execnz .LBB6_7048
	s_branch .LBB6_7049
.LBB6_7974:                             ;   in Loop: Header=BB6_5278 Depth=2
	s_or_saveexec_b32 s28, s28
	v_mov_b32_e32 v2, 0x7f800001
	s_xor_b32 exec_lo, exec_lo, s28
	s_cbranch_execz .LBB6_7053
.LBB6_7975:                             ;   in Loop: Header=BB6_5278 Depth=2
	v_cmp_ne_u16_sdwa s29, v10, v30 src0_sel:BYTE_1 src1_sel:DWORD
	v_mov_b32_e32 v2, 0
	s_andn2_b32 s12, s12, exec_lo
	s_and_b32 s29, s29, exec_lo
	s_or_b32 s12, s12, s29
	s_or_b32 exec_lo, exec_lo, s28
	s_and_saveexec_b32 s28, s12
	s_cbranch_execnz .LBB6_7054
	s_branch .LBB6_7055
.LBB6_7976:                             ;   in Loop: Header=BB6_5278 Depth=2
	s_or_saveexec_b32 s28, s28
	v_mov_b32_e32 v108, 0x7f800001
	s_xor_b32 exec_lo, exec_lo, s28
	s_cbranch_execz .LBB6_7061
.LBB6_7977:                             ;   in Loop: Header=BB6_5278 Depth=2
	v_cmp_ne_u16_sdwa s29, v14, v30 src0_sel:BYTE_1 src1_sel:DWORD
	v_mov_b32_e32 v108, 0
	s_andn2_b32 s12, s12, exec_lo
	s_and_b32 s29, s29, exec_lo
	s_or_b32 s12, s12, s29
	s_or_b32 exec_lo, exec_lo, s28
	s_and_saveexec_b32 s28, s12
	s_cbranch_execnz .LBB6_7062
	s_branch .LBB6_7063
.LBB6_7978:                             ;   in Loop: Header=BB6_5278 Depth=2
	s_or_saveexec_b32 s28, s28
	v_mov_b32_e32 v2, 0x7f800001
	s_xor_b32 exec_lo, exec_lo, s28
	s_cbranch_execz .LBB6_7067
.LBB6_7979:                             ;   in Loop: Header=BB6_5278 Depth=2
	v_cmp_ne_u16_sdwa s29, v10, v30 src0_sel:BYTE_1 src1_sel:DWORD
	v_mov_b32_e32 v2, 0
	s_andn2_b32 s12, s12, exec_lo
	s_and_b32 s29, s29, exec_lo
	s_or_b32 s12, s12, s29
	s_or_b32 exec_lo, exec_lo, s28
	s_and_saveexec_b32 s28, s12
	s_cbranch_execnz .LBB6_7068
	s_branch .LBB6_7069
.LBB6_7980:                             ;   in Loop: Header=BB6_5278 Depth=2
	s_or_saveexec_b32 s12, s12
	v_mov_b32_e32 v110, 0x7f800001
	s_xor_b32 exec_lo, exec_lo, s12
	s_cbranch_execz .LBB6_7083
.LBB6_7981:                             ;   in Loop: Header=BB6_5278 Depth=2
	v_cmp_ne_u16_e32 vcc_lo, 0, v109
	v_mov_b32_e32 v110, 0
	s_andn2_b32 s28, s28, exec_lo
	s_and_b32 s29, vcc_lo, exec_lo
	s_or_b32 s28, s28, s29
	s_or_b32 exec_lo, exec_lo, s12
	s_and_saveexec_b32 s12, s28
	s_cbranch_execnz .LBB6_7084
	s_branch .LBB6_7085
.LBB6_7982:                             ;   in Loop: Header=BB6_5278 Depth=2
	s_or_saveexec_b32 s28, s28
	v_mov_b32_e32 v2, 0x7f800001
	s_xor_b32 exec_lo, exec_lo, s28
	s_cbranch_execz .LBB6_7089
.LBB6_7983:                             ;   in Loop: Header=BB6_5278 Depth=2
	v_cmp_ne_u16_e32 vcc_lo, 0, v3
	v_mov_b32_e32 v2, 0
	s_andn2_b32 s12, s12, exec_lo
	s_and_b32 s29, vcc_lo, exec_lo
	s_or_b32 s12, s12, s29
	s_or_b32 exec_lo, exec_lo, s28
	s_and_saveexec_b32 s28, s12
	s_cbranch_execnz .LBB6_7090
	s_branch .LBB6_7091
.LBB6_7984:                             ;   in Loop: Header=BB6_5278 Depth=2
	s_or_saveexec_b32 s28, s28
	v_mov_b32_e32 v110, 0x7f800001
	s_xor_b32 exec_lo, exec_lo, s28
	s_cbranch_execz .LBB6_7097
.LBB6_7985:                             ;   in Loop: Header=BB6_5278 Depth=2
	v_cmp_ne_u16_e32 vcc_lo, 0, v109
	v_mov_b32_e32 v110, 0
	s_andn2_b32 s12, s12, exec_lo
	s_and_b32 s29, vcc_lo, exec_lo
	s_or_b32 s12, s12, s29
	s_or_b32 exec_lo, exec_lo, s28
	s_and_saveexec_b32 s28, s12
	s_cbranch_execnz .LBB6_7098
	s_branch .LBB6_7099
.LBB6_7986:                             ;   in Loop: Header=BB6_5278 Depth=2
	s_or_saveexec_b32 s28, s28
	v_mov_b32_e32 v2, 0x7f800001
	s_xor_b32 exec_lo, exec_lo, s28
	s_cbranch_execz .LBB6_7103
.LBB6_7987:                             ;   in Loop: Header=BB6_5278 Depth=2
	v_cmp_ne_u16_e32 vcc_lo, 0, v3
	v_mov_b32_e32 v2, 0
	s_andn2_b32 s12, s12, exec_lo
	s_and_b32 s29, vcc_lo, exec_lo
	s_or_b32 s12, s12, s29
	s_or_b32 exec_lo, exec_lo, s28
	s_and_saveexec_b32 s28, s12
	s_cbranch_execnz .LBB6_7104
	s_branch .LBB6_7105
.LBB6_7988:                             ;   in Loop: Header=BB6_5278 Depth=2
	s_or_saveexec_b32 s28, s28
	v_mov_b32_e32 v110, 0x7f800001
	s_xor_b32 exec_lo, exec_lo, s28
	s_cbranch_execz .LBB6_7119
.LBB6_7989:                             ;   in Loop: Header=BB6_5278 Depth=2
	v_cmp_ne_u16_sdwa s29, v14, v30 src0_sel:BYTE_3 src1_sel:DWORD
	v_mov_b32_e32 v110, 0
	s_andn2_b32 s12, s12, exec_lo
	s_and_b32 s29, s29, exec_lo
	s_or_b32 s12, s12, s29
	s_or_b32 exec_lo, exec_lo, s28
	s_and_saveexec_b32 s28, s12
	s_cbranch_execnz .LBB6_7120
	s_branch .LBB6_7121
.LBB6_7990:                             ;   in Loop: Header=BB6_5278 Depth=2
	s_or_saveexec_b32 s28, s28
	v_mov_b32_e32 v2, 0x7f800001
	s_xor_b32 exec_lo, exec_lo, s28
	s_cbranch_execz .LBB6_7125
.LBB6_7991:                             ;   in Loop: Header=BB6_5278 Depth=2
	v_cmp_ne_u16_sdwa s29, v10, v30 src0_sel:BYTE_3 src1_sel:DWORD
	v_mov_b32_e32 v2, 0
	s_andn2_b32 s12, s12, exec_lo
	s_and_b32 s29, s29, exec_lo
	s_or_b32 s12, s12, s29
	s_or_b32 exec_lo, exec_lo, s28
	s_and_saveexec_b32 s28, s12
	s_cbranch_execnz .LBB6_7126
	s_branch .LBB6_7127
.LBB6_7992:                             ;   in Loop: Header=BB6_5278 Depth=2
	s_or_saveexec_b32 s28, s28
	v_mov_b32_e32 v110, 0x7f800001
	s_xor_b32 exec_lo, exec_lo, s28
	s_cbranch_execz .LBB6_7133
.LBB6_7993:                             ;   in Loop: Header=BB6_5278 Depth=2
	v_cmp_ne_u16_sdwa s29, v14, v30 src0_sel:BYTE_3 src1_sel:DWORD
	v_mov_b32_e32 v110, 0
	s_andn2_b32 s12, s12, exec_lo
	s_and_b32 s29, s29, exec_lo
	s_or_b32 s12, s12, s29
	s_or_b32 exec_lo, exec_lo, s28
	s_and_saveexec_b32 s28, s12
	s_cbranch_execnz .LBB6_7134
	s_branch .LBB6_7135
.LBB6_7994:                             ;   in Loop: Header=BB6_5278 Depth=2
	s_or_saveexec_b32 s28, s28
	v_mov_b32_e32 v2, 0x7f800001
	s_xor_b32 exec_lo, exec_lo, s28
	s_cbranch_execz .LBB6_7139
.LBB6_7995:                             ;   in Loop: Header=BB6_5278 Depth=2
	v_cmp_ne_u16_sdwa s29, v10, v30 src0_sel:BYTE_3 src1_sel:DWORD
	v_mov_b32_e32 v2, 0
	s_andn2_b32 s12, s12, exec_lo
	s_and_b32 s29, s29, exec_lo
	s_or_b32 s12, s12, s29
	s_or_b32 exec_lo, exec_lo, s28
	s_and_saveexec_b32 s28, s12
	s_cbranch_execnz .LBB6_7140
	s_branch .LBB6_7141
.LBB6_7996:                             ;   in Loop: Header=BB6_5278 Depth=2
	s_or_saveexec_b32 s28, s28
	v_mov_b32_e32 v14, 0x7f800001
	s_xor_b32 exec_lo, exec_lo, s28
	s_cbranch_execz .LBB6_7155
.LBB6_7997:                             ;   in Loop: Header=BB6_5278 Depth=2
	v_cmp_ne_u16_sdwa s29, v15, v30 src0_sel:BYTE_0 src1_sel:DWORD
	v_mov_b32_e32 v14, 0
	s_andn2_b32 s12, s12, exec_lo
	s_and_b32 s29, s29, exec_lo
	s_or_b32 s12, s12, s29
	s_or_b32 exec_lo, exec_lo, s28
	s_and_saveexec_b32 s28, s12
	s_cbranch_execnz .LBB6_7156
	s_branch .LBB6_7157
.LBB6_7998:                             ;   in Loop: Header=BB6_5278 Depth=2
	s_or_saveexec_b32 s28, s28
	v_mov_b32_e32 v2, 0x7f800001
	s_xor_b32 exec_lo, exec_lo, s28
	s_cbranch_execz .LBB6_7161
.LBB6_7999:                             ;   in Loop: Header=BB6_5278 Depth=2
	v_cmp_ne_u16_sdwa s29, v11, v30 src0_sel:BYTE_0 src1_sel:DWORD
	v_mov_b32_e32 v2, 0
	s_andn2_b32 s12, s12, exec_lo
	s_and_b32 s29, s29, exec_lo
	s_or_b32 s12, s12, s29
	s_or_b32 exec_lo, exec_lo, s28
	s_and_saveexec_b32 s28, s12
	s_cbranch_execnz .LBB6_7162
	s_branch .LBB6_7163
.LBB6_8000:                             ;   in Loop: Header=BB6_5278 Depth=2
	s_or_saveexec_b32 s28, s28
	v_mov_b32_e32 v14, 0x7f800001
	s_xor_b32 exec_lo, exec_lo, s28
	s_cbranch_execz .LBB6_7169
.LBB6_8001:                             ;   in Loop: Header=BB6_5278 Depth=2
	v_cmp_ne_u16_sdwa s29, v15, v30 src0_sel:BYTE_0 src1_sel:DWORD
	v_mov_b32_e32 v14, 0
	s_andn2_b32 s12, s12, exec_lo
	s_and_b32 s29, s29, exec_lo
	s_or_b32 s12, s12, s29
	s_or_b32 exec_lo, exec_lo, s28
	s_and_saveexec_b32 s28, s12
	s_cbranch_execnz .LBB6_7170
	s_branch .LBB6_7171
.LBB6_8002:                             ;   in Loop: Header=BB6_5278 Depth=2
	s_or_saveexec_b32 s28, s28
	v_mov_b32_e32 v2, 0x7f800001
	s_xor_b32 exec_lo, exec_lo, s28
	s_cbranch_execz .LBB6_7175
.LBB6_8003:                             ;   in Loop: Header=BB6_5278 Depth=2
	v_cmp_ne_u16_sdwa s29, v11, v30 src0_sel:BYTE_0 src1_sel:DWORD
	v_mov_b32_e32 v2, 0
	s_andn2_b32 s12, s12, exec_lo
	s_and_b32 s29, s29, exec_lo
	s_or_b32 s12, s12, s29
	s_or_b32 exec_lo, exec_lo, s28
	s_and_saveexec_b32 s28, s12
	s_cbranch_execnz .LBB6_7176
	s_branch .LBB6_7177
.LBB6_8004:                             ;   in Loop: Header=BB6_5278 Depth=2
	s_or_saveexec_b32 s28, s28
	v_mov_b32_e32 v110, 0x7f800001
	s_xor_b32 exec_lo, exec_lo, s28
	s_cbranch_execz .LBB6_7191
.LBB6_8005:                             ;   in Loop: Header=BB6_5278 Depth=2
	v_cmp_ne_u16_sdwa s29, v15, v30 src0_sel:BYTE_1 src1_sel:DWORD
	v_mov_b32_e32 v110, 0
	s_andn2_b32 s12, s12, exec_lo
	s_and_b32 s29, s29, exec_lo
	s_or_b32 s12, s12, s29
	s_or_b32 exec_lo, exec_lo, s28
	s_and_saveexec_b32 s28, s12
	s_cbranch_execnz .LBB6_7192
	s_branch .LBB6_7193
.LBB6_8006:                             ;   in Loop: Header=BB6_5278 Depth=2
	s_or_saveexec_b32 s28, s28
	v_mov_b32_e32 v2, 0x7f800001
	s_xor_b32 exec_lo, exec_lo, s28
	s_cbranch_execz .LBB6_7197
.LBB6_8007:                             ;   in Loop: Header=BB6_5278 Depth=2
	v_cmp_ne_u16_sdwa s29, v11, v30 src0_sel:BYTE_1 src1_sel:DWORD
	v_mov_b32_e32 v2, 0
	s_andn2_b32 s12, s12, exec_lo
	s_and_b32 s29, s29, exec_lo
	s_or_b32 s12, s12, s29
	s_or_b32 exec_lo, exec_lo, s28
	s_and_saveexec_b32 s28, s12
	s_cbranch_execnz .LBB6_7198
	s_branch .LBB6_7199
.LBB6_8008:                             ;   in Loop: Header=BB6_5278 Depth=2
	s_or_saveexec_b32 s28, s28
	v_mov_b32_e32 v110, 0x7f800001
	s_xor_b32 exec_lo, exec_lo, s28
	s_cbranch_execz .LBB6_7205
.LBB6_8009:                             ;   in Loop: Header=BB6_5278 Depth=2
	v_cmp_ne_u16_sdwa s29, v15, v30 src0_sel:BYTE_1 src1_sel:DWORD
	v_mov_b32_e32 v110, 0
	s_andn2_b32 s12, s12, exec_lo
	s_and_b32 s29, s29, exec_lo
	s_or_b32 s12, s12, s29
	s_or_b32 exec_lo, exec_lo, s28
	s_and_saveexec_b32 s28, s12
	s_cbranch_execnz .LBB6_7206
	s_branch .LBB6_7207
.LBB6_8010:                             ;   in Loop: Header=BB6_5278 Depth=2
	s_or_saveexec_b32 s28, s28
	v_mov_b32_e32 v2, 0x7f800001
	s_xor_b32 exec_lo, exec_lo, s28
	s_cbranch_execz .LBB6_7211
.LBB6_8011:                             ;   in Loop: Header=BB6_5278 Depth=2
	v_cmp_ne_u16_sdwa s29, v11, v30 src0_sel:BYTE_1 src1_sel:DWORD
	v_mov_b32_e32 v2, 0
	s_andn2_b32 s12, s12, exec_lo
	s_and_b32 s29, s29, exec_lo
	s_or_b32 s12, s12, s29
	s_or_b32 exec_lo, exec_lo, s28
	s_and_saveexec_b32 s28, s12
	s_cbranch_execnz .LBB6_7212
	s_branch .LBB6_7213
.LBB6_8012:                             ;   in Loop: Header=BB6_5278 Depth=2
	s_or_saveexec_b32 s12, s12
	v_mov_b32_e32 v120, 0x7f800001
	s_xor_b32 exec_lo, exec_lo, s12
	s_cbranch_execz .LBB6_7227
.LBB6_8013:                             ;   in Loop: Header=BB6_5278 Depth=2
	v_cmp_ne_u16_e32 vcc_lo, 0, v111
	v_mov_b32_e32 v120, 0
	s_andn2_b32 s28, s28, exec_lo
	s_and_b32 s29, vcc_lo, exec_lo
	s_or_b32 s28, s28, s29
	s_or_b32 exec_lo, exec_lo, s12
	s_and_saveexec_b32 s12, s28
	s_cbranch_execnz .LBB6_7228
	s_branch .LBB6_7229
.LBB6_8014:                             ;   in Loop: Header=BB6_5278 Depth=2
	s_or_saveexec_b32 s28, s28
	v_mov_b32_e32 v2, 0x7f800001
	s_xor_b32 exec_lo, exec_lo, s28
	s_cbranch_execz .LBB6_7233
.LBB6_8015:                             ;   in Loop: Header=BB6_5278 Depth=2
	v_cmp_ne_u16_e32 vcc_lo, 0, v3
	v_mov_b32_e32 v2, 0
	s_andn2_b32 s12, s12, exec_lo
	s_and_b32 s29, vcc_lo, exec_lo
	s_or_b32 s12, s12, s29
	s_or_b32 exec_lo, exec_lo, s28
	s_and_saveexec_b32 s28, s12
	s_cbranch_execnz .LBB6_7234
	s_branch .LBB6_7235
.LBB6_8016:                             ;   in Loop: Header=BB6_5278 Depth=2
	s_or_saveexec_b32 s28, s28
	v_mov_b32_e32 v120, 0x7f800001
	s_xor_b32 exec_lo, exec_lo, s28
	s_cbranch_execz .LBB6_7241
.LBB6_8017:                             ;   in Loop: Header=BB6_5278 Depth=2
	v_cmp_ne_u16_e32 vcc_lo, 0, v111
	v_mov_b32_e32 v120, 0
	s_andn2_b32 s12, s12, exec_lo
	s_and_b32 s29, vcc_lo, exec_lo
	s_or_b32 s12, s12, s29
	s_or_b32 exec_lo, exec_lo, s28
	s_and_saveexec_b32 s28, s12
	s_cbranch_execnz .LBB6_7242
	s_branch .LBB6_7243
.LBB6_8018:                             ;   in Loop: Header=BB6_5278 Depth=2
	s_or_saveexec_b32 s28, s28
	v_mov_b32_e32 v2, 0x7f800001
	s_xor_b32 exec_lo, exec_lo, s28
	s_cbranch_execz .LBB6_7247
.LBB6_8019:                             ;   in Loop: Header=BB6_5278 Depth=2
	v_cmp_ne_u16_e32 vcc_lo, 0, v3
	v_mov_b32_e32 v2, 0
	s_andn2_b32 s12, s12, exec_lo
	s_and_b32 s29, vcc_lo, exec_lo
	s_or_b32 s12, s12, s29
	s_or_b32 exec_lo, exec_lo, s28
	s_and_saveexec_b32 s28, s12
	s_cbranch_execnz .LBB6_7248
	s_branch .LBB6_7249
.LBB6_8020:                             ;   in Loop: Header=BB6_5278 Depth=2
	s_or_saveexec_b32 s28, s28
	v_mov_b32_e32 v120, 0x7f800001
	s_xor_b32 exec_lo, exec_lo, s28
	s_cbranch_execz .LBB6_7263
.LBB6_8021:                             ;   in Loop: Header=BB6_5278 Depth=2
	v_cmp_ne_u16_sdwa s29, v15, v30 src0_sel:BYTE_3 src1_sel:DWORD
	v_mov_b32_e32 v120, 0
	s_andn2_b32 s12, s12, exec_lo
	s_and_b32 s29, s29, exec_lo
	s_or_b32 s12, s12, s29
	s_or_b32 exec_lo, exec_lo, s28
	s_and_saveexec_b32 s28, s12
	s_cbranch_execnz .LBB6_7264
	s_branch .LBB6_7265
.LBB6_8022:                             ;   in Loop: Header=BB6_5278 Depth=2
	s_or_saveexec_b32 s28, s28
	v_mov_b32_e32 v2, 0x7f800001
	s_xor_b32 exec_lo, exec_lo, s28
	s_cbranch_execz .LBB6_7269
.LBB6_8023:                             ;   in Loop: Header=BB6_5278 Depth=2
	v_cmp_ne_u16_sdwa s29, v11, v30 src0_sel:BYTE_3 src1_sel:DWORD
	v_mov_b32_e32 v2, 0
	s_andn2_b32 s12, s12, exec_lo
	s_and_b32 s29, s29, exec_lo
	s_or_b32 s12, s12, s29
	s_or_b32 exec_lo, exec_lo, s28
	s_and_saveexec_b32 s28, s12
	s_cbranch_execnz .LBB6_7270
	s_branch .LBB6_7271
.LBB6_8024:                             ;   in Loop: Header=BB6_5278 Depth=2
	s_or_saveexec_b32 s28, s28
	v_mov_b32_e32 v120, 0x7f800001
	s_xor_b32 exec_lo, exec_lo, s28
	s_cbranch_execz .LBB6_7277
.LBB6_8025:                             ;   in Loop: Header=BB6_5278 Depth=2
	v_cmp_ne_u16_sdwa s29, v15, v30 src0_sel:BYTE_3 src1_sel:DWORD
	v_mov_b32_e32 v120, 0
	s_andn2_b32 s12, s12, exec_lo
	s_and_b32 s29, s29, exec_lo
	s_or_b32 s12, s12, s29
	s_or_b32 exec_lo, exec_lo, s28
	s_and_saveexec_b32 s28, s12
	s_cbranch_execnz .LBB6_7278
	s_branch .LBB6_7279
.LBB6_8026:                             ;   in Loop: Header=BB6_5278 Depth=2
	s_or_saveexec_b32 s28, s28
	v_mov_b32_e32 v2, 0x7f800001
	s_xor_b32 exec_lo, exec_lo, s28
	s_cbranch_execz .LBB6_7283
.LBB6_8027:                             ;   in Loop: Header=BB6_5278 Depth=2
	v_cmp_ne_u16_sdwa s29, v11, v30 src0_sel:BYTE_3 src1_sel:DWORD
	v_mov_b32_e32 v2, 0
	s_andn2_b32 s12, s12, exec_lo
	s_and_b32 s29, s29, exec_lo
	s_or_b32 s12, s12, s29
	s_or_b32 exec_lo, exec_lo, s28
	s_and_saveexec_b32 s28, s12
	s_cbranch_execnz .LBB6_7284
	s_branch .LBB6_7285
.LBB6_8028:                             ;   in Loop: Header=BB6_5278 Depth=2
	s_or_saveexec_b32 s28, s28
	v_mov_b32_e32 v15, 0x7f800001
	s_xor_b32 exec_lo, exec_lo, s28
	s_cbranch_execz .LBB6_7299
.LBB6_8029:                             ;   in Loop: Header=BB6_5278 Depth=2
	v_cmp_ne_u16_sdwa s29, v16, v30 src0_sel:BYTE_0 src1_sel:DWORD
	v_mov_b32_e32 v15, 0
	s_andn2_b32 s12, s12, exec_lo
	s_and_b32 s29, s29, exec_lo
	s_or_b32 s12, s12, s29
	s_or_b32 exec_lo, exec_lo, s28
	s_and_saveexec_b32 s28, s12
	s_cbranch_execnz .LBB6_7300
	s_branch .LBB6_7301
.LBB6_8030:                             ;   in Loop: Header=BB6_5278 Depth=2
	s_or_saveexec_b32 s28, s28
	v_mov_b32_e32 v2, 0x7f800001
	s_xor_b32 exec_lo, exec_lo, s28
	s_cbranch_execz .LBB6_7305
.LBB6_8031:                             ;   in Loop: Header=BB6_5278 Depth=2
	v_cmp_ne_u16_sdwa s29, v12, v30 src0_sel:BYTE_0 src1_sel:DWORD
	v_mov_b32_e32 v2, 0
	s_andn2_b32 s12, s12, exec_lo
	s_and_b32 s29, s29, exec_lo
	s_or_b32 s12, s12, s29
	s_or_b32 exec_lo, exec_lo, s28
	s_and_saveexec_b32 s28, s12
	s_cbranch_execnz .LBB6_7306
	s_branch .LBB6_7307
.LBB6_8032:                             ;   in Loop: Header=BB6_5278 Depth=2
	s_or_saveexec_b32 s28, s28
	v_mov_b32_e32 v15, 0x7f800001
	s_xor_b32 exec_lo, exec_lo, s28
	s_cbranch_execz .LBB6_7313
.LBB6_8033:                             ;   in Loop: Header=BB6_5278 Depth=2
	v_cmp_ne_u16_sdwa s29, v16, v30 src0_sel:BYTE_0 src1_sel:DWORD
	v_mov_b32_e32 v15, 0
	s_andn2_b32 s12, s12, exec_lo
	s_and_b32 s29, s29, exec_lo
	s_or_b32 s12, s12, s29
	s_or_b32 exec_lo, exec_lo, s28
	s_and_saveexec_b32 s28, s12
	s_cbranch_execnz .LBB6_7314
	s_branch .LBB6_7315
.LBB6_8034:                             ;   in Loop: Header=BB6_5278 Depth=2
	s_or_saveexec_b32 s28, s28
	v_mov_b32_e32 v2, 0x7f800001
	s_xor_b32 exec_lo, exec_lo, s28
	s_cbranch_execz .LBB6_7319
.LBB6_8035:                             ;   in Loop: Header=BB6_5278 Depth=2
	v_cmp_ne_u16_sdwa s29, v12, v30 src0_sel:BYTE_0 src1_sel:DWORD
	v_mov_b32_e32 v2, 0
	s_andn2_b32 s12, s12, exec_lo
	s_and_b32 s29, s29, exec_lo
	s_or_b32 s12, s12, s29
	s_or_b32 exec_lo, exec_lo, s28
	s_and_saveexec_b32 s28, s12
	s_cbranch_execnz .LBB6_7320
	s_branch .LBB6_7321
.LBB6_8036:                             ;   in Loop: Header=BB6_5278 Depth=2
	s_or_saveexec_b32 s28, s28
	v_mov_b32_e32 v120, 0x7f800001
	s_xor_b32 exec_lo, exec_lo, s28
	s_cbranch_execz .LBB6_7335
.LBB6_8037:                             ;   in Loop: Header=BB6_5278 Depth=2
	v_cmp_ne_u16_sdwa s29, v16, v30 src0_sel:BYTE_1 src1_sel:DWORD
	v_mov_b32_e32 v120, 0
	s_andn2_b32 s12, s12, exec_lo
	s_and_b32 s29, s29, exec_lo
	s_or_b32 s12, s12, s29
	s_or_b32 exec_lo, exec_lo, s28
	s_and_saveexec_b32 s28, s12
	s_cbranch_execnz .LBB6_7336
	s_branch .LBB6_7337
.LBB6_8038:                             ;   in Loop: Header=BB6_5278 Depth=2
	s_or_saveexec_b32 s28, s28
	v_mov_b32_e32 v2, 0x7f800001
	s_xor_b32 exec_lo, exec_lo, s28
	s_cbranch_execz .LBB6_7341
.LBB6_8039:                             ;   in Loop: Header=BB6_5278 Depth=2
	v_cmp_ne_u16_sdwa s29, v12, v30 src0_sel:BYTE_1 src1_sel:DWORD
	v_mov_b32_e32 v2, 0
	s_andn2_b32 s12, s12, exec_lo
	s_and_b32 s29, s29, exec_lo
	s_or_b32 s12, s12, s29
	s_or_b32 exec_lo, exec_lo, s28
	s_and_saveexec_b32 s28, s12
	s_cbranch_execnz .LBB6_7342
	s_branch .LBB6_7343
.LBB6_8040:                             ;   in Loop: Header=BB6_5278 Depth=2
	s_or_saveexec_b32 s28, s28
	v_mov_b32_e32 v120, 0x7f800001
	s_xor_b32 exec_lo, exec_lo, s28
	s_cbranch_execz .LBB6_7349
.LBB6_8041:                             ;   in Loop: Header=BB6_5278 Depth=2
	v_cmp_ne_u16_sdwa s29, v16, v30 src0_sel:BYTE_1 src1_sel:DWORD
	v_mov_b32_e32 v120, 0
	s_andn2_b32 s12, s12, exec_lo
	s_and_b32 s29, s29, exec_lo
	s_or_b32 s12, s12, s29
	s_or_b32 exec_lo, exec_lo, s28
	s_and_saveexec_b32 s28, s12
	s_cbranch_execnz .LBB6_7350
	s_branch .LBB6_7351
.LBB6_8042:                             ;   in Loop: Header=BB6_5278 Depth=2
	s_or_saveexec_b32 s28, s28
	v_mov_b32_e32 v2, 0x7f800001
	s_xor_b32 exec_lo, exec_lo, s28
	s_cbranch_execz .LBB6_7355
.LBB6_8043:                             ;   in Loop: Header=BB6_5278 Depth=2
	v_cmp_ne_u16_sdwa s29, v12, v30 src0_sel:BYTE_1 src1_sel:DWORD
	v_mov_b32_e32 v2, 0
	s_andn2_b32 s12, s12, exec_lo
	s_and_b32 s29, s29, exec_lo
	s_or_b32 s12, s12, s29
	s_or_b32 exec_lo, exec_lo, s28
	s_and_saveexec_b32 s28, s12
	s_cbranch_execnz .LBB6_7356
	s_branch .LBB6_7357
.LBB6_8044:                             ;   in Loop: Header=BB6_5278 Depth=2
	s_or_saveexec_b32 s12, s12
	v_mov_b32_e32 v122, 0x7f800001
	s_xor_b32 exec_lo, exec_lo, s12
	s_cbranch_execz .LBB6_7371
.LBB6_8045:                             ;   in Loop: Header=BB6_5278 Depth=2
	v_cmp_ne_u16_e32 vcc_lo, 0, v121
	v_mov_b32_e32 v122, 0
	s_andn2_b32 s28, s28, exec_lo
	s_and_b32 s29, vcc_lo, exec_lo
	s_or_b32 s28, s28, s29
	s_or_b32 exec_lo, exec_lo, s12
	s_and_saveexec_b32 s12, s28
	s_cbranch_execnz .LBB6_7372
	s_branch .LBB6_7373
.LBB6_8046:                             ;   in Loop: Header=BB6_5278 Depth=2
	s_or_saveexec_b32 s12, s12
	v_mov_b32_e32 v2, 0x7f800001
	s_xor_b32 exec_lo, exec_lo, s12
	s_cbranch_execz .LBB6_7377
.LBB6_8047:                             ;   in Loop: Header=BB6_5278 Depth=2
	v_cmp_ne_u16_e32 vcc_lo, 0, v3
	v_mov_b32_e32 v2, 0
	s_andn2_b32 s28, s28, exec_lo
	s_and_b32 s29, vcc_lo, exec_lo
	s_or_b32 s28, s28, s29
	s_or_b32 exec_lo, exec_lo, s12
	s_and_saveexec_b32 s12, s28
	s_cbranch_execnz .LBB6_7378
	s_branch .LBB6_7379
.LBB6_8048:                             ;   in Loop: Header=BB6_5278 Depth=2
	s_or_saveexec_b32 s28, s28
	v_mov_b32_e32 v122, 0x7f800001
	s_xor_b32 exec_lo, exec_lo, s28
	s_cbranch_execz .LBB6_7385
.LBB6_8049:                             ;   in Loop: Header=BB6_5278 Depth=2
	v_cmp_ne_u16_e32 vcc_lo, 0, v121
	v_mov_b32_e32 v122, 0
	s_andn2_b32 s12, s12, exec_lo
	s_and_b32 s29, vcc_lo, exec_lo
	s_or_b32 s12, s12, s29
	s_or_b32 exec_lo, exec_lo, s28
	s_and_saveexec_b32 s28, s12
	s_cbranch_execnz .LBB6_7386
	s_branch .LBB6_7387
.LBB6_8050:                             ;   in Loop: Header=BB6_5278 Depth=2
	s_or_saveexec_b32 s12, s12
	v_mov_b32_e32 v2, 0x7f800001
	s_xor_b32 exec_lo, exec_lo, s12
	s_cbranch_execz .LBB6_7391
.LBB6_8051:                             ;   in Loop: Header=BB6_5278 Depth=2
	v_cmp_ne_u16_e32 vcc_lo, 0, v3
	v_mov_b32_e32 v2, 0
	s_andn2_b32 s28, s28, exec_lo
	s_and_b32 s29, vcc_lo, exec_lo
	s_or_b32 s28, s28, s29
	s_or_b32 exec_lo, exec_lo, s12
	s_and_saveexec_b32 s12, s28
	s_cbranch_execnz .LBB6_7392
	s_branch .LBB6_7393
.LBB6_8052:                             ;   in Loop: Header=BB6_5278 Depth=2
	s_or_saveexec_b32 s28, s28
	v_mov_b32_e32 v122, 0x7f800001
	s_xor_b32 exec_lo, exec_lo, s28
	s_cbranch_execz .LBB6_7407
.LBB6_8053:                             ;   in Loop: Header=BB6_5278 Depth=2
	v_cmp_ne_u16_sdwa s29, v16, v30 src0_sel:BYTE_3 src1_sel:DWORD
	v_mov_b32_e32 v122, 0
	s_andn2_b32 s12, s12, exec_lo
	s_and_b32 s29, s29, exec_lo
	s_or_b32 s12, s12, s29
	s_or_b32 exec_lo, exec_lo, s28
	s_and_saveexec_b32 s28, s12
	s_cbranch_execnz .LBB6_7408
	s_branch .LBB6_7409
.LBB6_8054:                             ;   in Loop: Header=BB6_5278 Depth=2
	s_or_saveexec_b32 s28, s28
	v_mov_b32_e32 v2, 0x7f800001
	s_xor_b32 exec_lo, exec_lo, s28
	s_cbranch_execz .LBB6_7413
.LBB6_8055:                             ;   in Loop: Header=BB6_5278 Depth=2
	v_cmp_ne_u16_sdwa s29, v12, v30 src0_sel:BYTE_3 src1_sel:DWORD
	v_mov_b32_e32 v2, 0
	s_andn2_b32 s12, s12, exec_lo
	s_and_b32 s29, s29, exec_lo
	s_or_b32 s12, s12, s29
	s_or_b32 exec_lo, exec_lo, s28
	s_and_saveexec_b32 s28, s12
	s_cbranch_execnz .LBB6_7414
	s_branch .LBB6_7415
.LBB6_8056:                             ;   in Loop: Header=BB6_5278 Depth=2
	s_or_saveexec_b32 s28, s28
	v_mov_b32_e32 v122, 0x7f800001
	s_xor_b32 exec_lo, exec_lo, s28
	s_cbranch_execz .LBB6_7421
.LBB6_8057:                             ;   in Loop: Header=BB6_5278 Depth=2
	v_cmp_ne_u16_sdwa s29, v16, v30 src0_sel:BYTE_3 src1_sel:DWORD
	v_mov_b32_e32 v122, 0
	s_andn2_b32 s12, s12, exec_lo
	s_and_b32 s29, s29, exec_lo
	s_or_b32 s12, s12, s29
	s_or_b32 exec_lo, exec_lo, s28
	s_and_saveexec_b32 s28, s12
	s_cbranch_execnz .LBB6_7422
	s_branch .LBB6_7423
.LBB6_8058:                             ;   in Loop: Header=BB6_5278 Depth=2
	s_or_saveexec_b32 s28, s28
	v_mov_b32_e32 v2, 0x7f800001
	s_xor_b32 exec_lo, exec_lo, s28
	s_cbranch_execz .LBB6_7427
.LBB6_8059:                             ;   in Loop: Header=BB6_5278 Depth=2
	v_cmp_ne_u16_sdwa s29, v12, v30 src0_sel:BYTE_3 src1_sel:DWORD
	v_mov_b32_e32 v2, 0
	s_andn2_b32 s12, s12, exec_lo
	s_and_b32 s29, s29, exec_lo
	s_or_b32 s12, s12, s29
	s_or_b32 exec_lo, exec_lo, s28
	s_and_saveexec_b32 s28, s12
	s_cbranch_execnz .LBB6_7428
	s_branch .LBB6_7429
.LBB6_8060:                             ;   in Loop: Header=BB6_5278 Depth=2
	s_or_saveexec_b32 s28, s28
	v_mov_b32_e32 v16, 0x7f800001
	s_xor_b32 exec_lo, exec_lo, s28
	s_cbranch_execz .LBB6_7443
.LBB6_8061:                             ;   in Loop: Header=BB6_5278 Depth=2
	v_cmp_ne_u16_sdwa s29, v17, v30 src0_sel:BYTE_0 src1_sel:DWORD
	v_mov_b32_e32 v16, 0
	s_andn2_b32 s12, s12, exec_lo
	s_and_b32 s29, s29, exec_lo
	s_or_b32 s12, s12, s29
	s_or_b32 exec_lo, exec_lo, s28
	s_and_saveexec_b32 s28, s12
	s_cbranch_execnz .LBB6_7444
	s_branch .LBB6_7445
.LBB6_8062:                             ;   in Loop: Header=BB6_5278 Depth=2
	s_or_saveexec_b32 s12, s12
	v_mov_b32_e32 v2, 0x7f800001
	s_xor_b32 exec_lo, exec_lo, s12
	s_cbranch_execz .LBB6_7449
.LBB6_8063:                             ;   in Loop: Header=BB6_5278 Depth=2
	v_cmp_ne_u16_sdwa s29, v13, v30 src0_sel:BYTE_0 src1_sel:DWORD
	v_mov_b32_e32 v2, 0
	s_andn2_b32 s28, s28, exec_lo
	s_and_b32 s29, s29, exec_lo
	s_or_b32 s28, s28, s29
	s_or_b32 exec_lo, exec_lo, s12
	s_and_saveexec_b32 s12, s28
	s_cbranch_execnz .LBB6_7450
	s_branch .LBB6_7451
.LBB6_8064:                             ;   in Loop: Header=BB6_5278 Depth=2
	s_or_saveexec_b32 s28, s28
	v_mov_b32_e32 v16, 0x7f800001
	s_xor_b32 exec_lo, exec_lo, s28
	s_cbranch_execz .LBB6_7457
.LBB6_8065:                             ;   in Loop: Header=BB6_5278 Depth=2
	v_cmp_ne_u16_sdwa s29, v17, v30 src0_sel:BYTE_0 src1_sel:DWORD
	v_mov_b32_e32 v16, 0
	s_andn2_b32 s12, s12, exec_lo
	s_and_b32 s29, s29, exec_lo
	s_or_b32 s12, s12, s29
	s_or_b32 exec_lo, exec_lo, s28
	s_and_saveexec_b32 s28, s12
	s_cbranch_execnz .LBB6_7458
	s_branch .LBB6_7459
.LBB6_8066:                             ;   in Loop: Header=BB6_5278 Depth=2
	s_or_saveexec_b32 s12, s12
	v_mov_b32_e32 v2, 0x7f800001
	s_xor_b32 exec_lo, exec_lo, s12
	s_cbranch_execz .LBB6_7463
.LBB6_8067:                             ;   in Loop: Header=BB6_5278 Depth=2
	v_cmp_ne_u16_sdwa s29, v13, v30 src0_sel:BYTE_0 src1_sel:DWORD
	v_mov_b32_e32 v2, 0
	s_andn2_b32 s28, s28, exec_lo
	s_and_b32 s29, s29, exec_lo
	s_or_b32 s28, s28, s29
	s_or_b32 exec_lo, exec_lo, s12
	s_and_saveexec_b32 s12, s28
	s_cbranch_execnz .LBB6_7464
	s_branch .LBB6_7465
.LBB6_8068:                             ;   in Loop: Header=BB6_5278 Depth=2
	s_or_saveexec_b32 s28, s28
	v_mov_b32_e32 v122, 0x7f800001
	s_xor_b32 exec_lo, exec_lo, s28
	s_cbranch_execz .LBB6_7479
.LBB6_8069:                             ;   in Loop: Header=BB6_5278 Depth=2
	v_cmp_ne_u16_sdwa s29, v17, v30 src0_sel:BYTE_1 src1_sel:DWORD
	v_mov_b32_e32 v122, 0
	s_andn2_b32 s12, s12, exec_lo
	s_and_b32 s29, s29, exec_lo
	s_or_b32 s12, s12, s29
	s_or_b32 exec_lo, exec_lo, s28
	s_and_saveexec_b32 s28, s12
	s_cbranch_execnz .LBB6_7480
	s_branch .LBB6_7481
.LBB6_8070:                             ;   in Loop: Header=BB6_5278 Depth=2
	s_or_saveexec_b32 s28, s28
	v_mov_b32_e32 v2, 0x7f800001
	s_xor_b32 exec_lo, exec_lo, s28
	s_cbranch_execz .LBB6_7485
.LBB6_8071:                             ;   in Loop: Header=BB6_5278 Depth=2
	v_cmp_ne_u16_sdwa s29, v13, v30 src0_sel:BYTE_1 src1_sel:DWORD
	v_mov_b32_e32 v2, 0
	s_andn2_b32 s12, s12, exec_lo
	s_and_b32 s29, s29, exec_lo
	s_or_b32 s12, s12, s29
	s_or_b32 exec_lo, exec_lo, s28
	s_and_saveexec_b32 s28, s12
	s_cbranch_execnz .LBB6_7486
	s_branch .LBB6_7487
.LBB6_8072:                             ;   in Loop: Header=BB6_5278 Depth=2
	s_or_saveexec_b32 s28, s28
	v_mov_b32_e32 v122, 0x7f800001
	s_xor_b32 exec_lo, exec_lo, s28
	s_cbranch_execz .LBB6_7493
.LBB6_8073:                             ;   in Loop: Header=BB6_5278 Depth=2
	v_cmp_ne_u16_sdwa s29, v17, v30 src0_sel:BYTE_1 src1_sel:DWORD
	v_mov_b32_e32 v122, 0
	s_andn2_b32 s12, s12, exec_lo
	s_and_b32 s29, s29, exec_lo
	s_or_b32 s12, s12, s29
	s_or_b32 exec_lo, exec_lo, s28
	s_and_saveexec_b32 s28, s12
	s_cbranch_execnz .LBB6_7494
	s_branch .LBB6_7495
.LBB6_8074:                             ;   in Loop: Header=BB6_5278 Depth=2
	s_or_saveexec_b32 s28, s28
	v_mov_b32_e32 v2, 0x7f800001
	s_xor_b32 exec_lo, exec_lo, s28
	s_cbranch_execz .LBB6_7499
.LBB6_8075:                             ;   in Loop: Header=BB6_5278 Depth=2
	v_cmp_ne_u16_sdwa s29, v13, v30 src0_sel:BYTE_1 src1_sel:DWORD
	v_mov_b32_e32 v2, 0
	s_andn2_b32 s12, s12, exec_lo
	s_and_b32 s29, s29, exec_lo
	s_or_b32 s12, s12, s29
	s_or_b32 exec_lo, exec_lo, s28
	s_and_saveexec_b32 s28, s12
	s_cbranch_execnz .LBB6_7500
	s_branch .LBB6_7501
.LBB6_8076:                             ;   in Loop: Header=BB6_5278 Depth=2
	s_or_saveexec_b32 s12, s12
	v_mov_b32_e32 v124, 0x7f800001
	s_xor_b32 exec_lo, exec_lo, s12
	s_cbranch_execz .LBB6_7515
.LBB6_8077:                             ;   in Loop: Header=BB6_5278 Depth=2
	v_cmp_ne_u16_e32 vcc_lo, 0, v123
	v_mov_b32_e32 v124, 0
	s_andn2_b32 s28, s28, exec_lo
	s_and_b32 s29, vcc_lo, exec_lo
	s_or_b32 s28, s28, s29
	s_or_b32 exec_lo, exec_lo, s12
	s_and_saveexec_b32 s12, s28
	s_cbranch_execnz .LBB6_7516
	s_branch .LBB6_7517
.LBB6_8078:                             ;   in Loop: Header=BB6_5278 Depth=2
	s_or_saveexec_b32 s12, s12
	v_mov_b32_e32 v2, 0x7f800001
	s_xor_b32 exec_lo, exec_lo, s12
	s_cbranch_execz .LBB6_7521
.LBB6_8079:                             ;   in Loop: Header=BB6_5278 Depth=2
	v_cmp_ne_u16_e32 vcc_lo, 0, v3
	v_mov_b32_e32 v2, 0
	s_andn2_b32 s28, s28, exec_lo
	s_and_b32 s29, vcc_lo, exec_lo
	s_or_b32 s28, s28, s29
	s_or_b32 exec_lo, exec_lo, s12
	s_and_saveexec_b32 s12, s28
	s_cbranch_execnz .LBB6_7522
	s_branch .LBB6_7523
.LBB6_8080:                             ;   in Loop: Header=BB6_5278 Depth=2
	s_or_saveexec_b32 s12, s12
	v_mov_b32_e32 v124, 0x7f800001
	s_xor_b32 exec_lo, exec_lo, s12
	s_cbranch_execz .LBB6_7529
.LBB6_8081:                             ;   in Loop: Header=BB6_5278 Depth=2
	v_cmp_ne_u16_e32 vcc_lo, 0, v123
	v_mov_b32_e32 v124, 0
	s_andn2_b32 s28, s28, exec_lo
	s_and_b32 s29, vcc_lo, exec_lo
	s_or_b32 s28, s28, s29
	s_or_b32 exec_lo, exec_lo, s12
	s_and_saveexec_b32 s12, s28
	s_cbranch_execnz .LBB6_7530
	s_branch .LBB6_7531
.LBB6_8082:                             ;   in Loop: Header=BB6_5278 Depth=2
	s_or_saveexec_b32 s12, s12
	v_mov_b32_e32 v2, 0x7f800001
	s_xor_b32 exec_lo, exec_lo, s12
	s_cbranch_execz .LBB6_7535
.LBB6_8083:                             ;   in Loop: Header=BB6_5278 Depth=2
	v_cmp_ne_u16_e32 vcc_lo, 0, v3
	v_mov_b32_e32 v2, 0
	s_andn2_b32 s28, s28, exec_lo
	s_and_b32 s29, vcc_lo, exec_lo
	s_or_b32 s28, s28, s29
	s_or_b32 exec_lo, exec_lo, s12
	s_and_saveexec_b32 s12, s28
	s_cbranch_execnz .LBB6_7536
	s_branch .LBB6_7537
.LBB6_8084:                             ;   in Loop: Header=BB6_5278 Depth=2
	s_or_saveexec_b32 s28, s28
	v_mov_b32_e32 v124, 0x7f800001
	s_xor_b32 exec_lo, exec_lo, s28
	s_cbranch_execz .LBB6_7551
.LBB6_8085:                             ;   in Loop: Header=BB6_5278 Depth=2
	v_cmp_ne_u16_sdwa s29, v17, v30 src0_sel:BYTE_3 src1_sel:DWORD
	v_mov_b32_e32 v124, 0
	s_andn2_b32 s12, s12, exec_lo
	s_and_b32 s29, s29, exec_lo
	s_or_b32 s12, s12, s29
	s_or_b32 exec_lo, exec_lo, s28
	s_and_saveexec_b32 s28, s12
	s_cbranch_execnz .LBB6_7552
	s_branch .LBB6_7553
.LBB6_8086:                             ;   in Loop: Header=BB6_5278 Depth=2
	s_or_saveexec_b32 s28, s28
	v_mov_b32_e32 v2, 0x7f800001
	s_xor_b32 exec_lo, exec_lo, s28
	s_cbranch_execz .LBB6_7557
.LBB6_8087:                             ;   in Loop: Header=BB6_5278 Depth=2
	v_cmp_ne_u16_sdwa s29, v13, v30 src0_sel:BYTE_3 src1_sel:DWORD
	v_mov_b32_e32 v2, 0
	s_andn2_b32 s12, s12, exec_lo
	s_and_b32 s29, s29, exec_lo
	s_or_b32 s12, s12, s29
	s_or_b32 exec_lo, exec_lo, s28
	s_and_saveexec_b32 s28, s12
	s_cbranch_execnz .LBB6_7558
	s_branch .LBB6_7559
.LBB6_8088:                             ;   in Loop: Header=BB6_5278 Depth=2
	s_or_saveexec_b32 s28, s28
	v_mov_b32_e32 v124, 0x7f800001
	s_xor_b32 exec_lo, exec_lo, s28
	s_cbranch_execz .LBB6_7565
.LBB6_8089:                             ;   in Loop: Header=BB6_5278 Depth=2
	v_cmp_ne_u16_sdwa s29, v17, v30 src0_sel:BYTE_3 src1_sel:DWORD
	v_mov_b32_e32 v124, 0
	s_andn2_b32 s12, s12, exec_lo
	s_and_b32 s29, s29, exec_lo
	s_or_b32 s12, s12, s29
	s_or_b32 exec_lo, exec_lo, s28
	s_and_saveexec_b32 s28, s12
	s_cbranch_execnz .LBB6_7566
	s_branch .LBB6_7567
.LBB6_8090:                             ;   in Loop: Header=BB6_5278 Depth=2
	s_or_saveexec_b32 s28, s28
	v_mov_b32_e32 v2, 0x7f800001
	s_xor_b32 exec_lo, exec_lo, s28
	s_cbranch_execz .LBB6_7571
.LBB6_8091:                             ;   in Loop: Header=BB6_5278 Depth=2
	v_cmp_ne_u16_sdwa s29, v13, v30 src0_sel:BYTE_3 src1_sel:DWORD
	v_mov_b32_e32 v2, 0
	s_andn2_b32 s12, s12, exec_lo
	s_and_b32 s29, s29, exec_lo
	s_or_b32 s12, s12, s29
	s_or_b32 exec_lo, exec_lo, s28
	s_and_saveexec_b32 s28, s12
	s_cbranch_execnz .LBB6_7572
	s_branch .LBB6_7573
.LBB6_8092:                             ;   in Loop: Header=BB6_5201 Depth=1
	s_or_b32 exec_lo, exec_lo, s26
.LBB6_8093:                             ;   in Loop: Header=BB6_5201 Depth=1
	s_or_b32 exec_lo, exec_lo, s13
	v_and_b32_e32 v10, 0x3ffff800, v57
	v_mov_b32_e32 v16, 0
	s_mov_b32 s12, 0
	s_mov_b32 s26, exec_lo
                                        ; implicit-def: $vgpr17
                                        ; implicit-def: $vgpr18
	v_cmpx_ne_u32_e64 v57, v10
	s_cbranch_execz .LBB6_8803
; %bb.8094:                             ;   in Loop: Header=BB6_5201 Depth=1
	v_lshlrev_b32_e32 v2, 5, v58
	v_and_b32_e32 v25, 0x1ff, v57
	v_bfe_u32 v12, v57, 9, 2
	s_mov_b32 s27, exec_lo
	v_sub_nc_u32_e32 v2, v112, v2
	v_cmp_lt_u32_e64 s12, 15, v25
	v_ashrrev_i32_e32 v3, 31, v2
	v_add_co_ci_u32_e64 v12, null, 0, v12, s12
	v_lshrrev_b32_e32 v3, 27, v3
	v_add_nc_u32_e32 v3, v2, v3
	v_and_b32_e32 v11, 0xffffffe0, v3
	v_ashrrev_i32_e32 v3, 5, v3
	v_sub_nc_u32_e32 v24, v2, v11
	v_and_b32_e32 v11, 0x7ff, v57
	v_sub_nc_u32_e32 v26, v12, v3
	v_lshlrev_b32_e32 v2, 4, v24
	v_lshl_add_u32 v2, v3, 9, v2
	v_sub_nc_u32_e32 v27, v11, v2
	v_cmpx_lt_i32_e32 15, v27
	s_cbranch_execz .LBB6_8802
; %bb.8095:                             ;   in Loop: Header=BB6_5201 Depth=1
	s_trap 2
	ds_read_b64 v[11:12], v0
	v_add_nc_u32_e32 v2, v2, v10
	s_bitcmp1_b32 s25, 0
	s_mov_b32 s28, 0
	s_cselect_b32 s29, -1, 0
	v_ashrrev_i32_e32 v3, 31, v2
	v_add_co_u32 v18, vcc_lo, v2, v85
	v_add_co_ci_u32_e64 v19, null, v3, v86, vcc_lo
	s_waitcnt lgkmcnt(0)
	v_add_co_u32 v20, vcc_lo, v11, v2
	v_add_co_ci_u32_e64 v21, null, v12, v3, vcc_lo
	v_add_co_u32 v22, vcc_lo, v2, v96
	v_add_co_ci_u32_e64 v23, null, v3, v97, vcc_lo
	s_branch .LBB6_8099
.LBB6_8096:                             ;   in Loop: Header=BB6_8099 Depth=2
	s_or_b32 exec_lo, exec_lo, s13
	v_lshrrev_b32_e32 v2, 21, v12
	v_min_i32_e32 v3, 31, v11
	v_cmp_gt_i32_e32 vcc_lo, 32, v11
	v_and_b32_sdwa v10, v10, v44 dst_sel:DWORD dst_unused:UNUSED_PAD src0_sel:BYTE_3 src1_sel:DWORD
	v_lshlrev_b32_e32 v3, 2, v3
	v_cndmask_b32_e32 v2, 3, v2, vcc_lo
	v_and_b32_e32 v3, 0xfc, v3
	v_and_b32_e32 v12, 3, v2
	v_or_b32_e32 v2, v11, v2
	v_or3_b32 v3, v10, v3, v12
	v_cmp_ne_u32_e32 vcc_lo, 0, v2
	v_lshlrev_b32_e32 v3, 8, v3
	v_cndmask_b32_e32 v2, 0, v3, vcc_lo
.LBB6_8097:                             ;   in Loop: Header=BB6_8099 Depth=2
	s_or_b32 exec_lo, exec_lo, s41
.LBB6_8098:                             ;   in Loop: Header=BB6_8099 Depth=2
	s_or_b32 exec_lo, exec_lo, s40
	v_or_b32_sdwa v3, v15, v35 dst_sel:WORD_1 dst_unused:UNUSED_PAD src0_sel:DWORD src1_sel:DWORD
	v_or_b32_sdwa v10, v14, v32 dst_sel:WORD_1 dst_unused:UNUSED_PAD src0_sel:DWORD src1_sel:DWORD
	;; [unrolled: 1-line block ×4, first 2 shown]
	v_sub_nc_u32_e32 v27, v27, v119
	v_or3_b32 v11, v34, v33, v3
	v_or3_b32 v10, v29, v28, v10
	;; [unrolled: 1-line block ×4, first 2 shown]
	v_add_co_u32 v18, vcc_lo, v18, v119
	v_add_co_ci_u32_e64 v19, null, 0, v19, vcc_lo
	v_add_co_u32 v20, vcc_lo, v20, v119
	global_store_dwordx4 v[22:23], v[10:13], off glc slc
	v_add_co_ci_u32_e64 v21, null, 0, v21, vcc_lo
	v_cmp_gt_i32_e32 vcc_lo, 16, v27
	v_add_co_u32 v22, s13, v22, v119
	v_add_co_ci_u32_e64 v23, null, 0, v23, s13
	v_sub_nc_u32_e32 v26, v26, v113
	s_or_b32 s28, vcc_lo, s28
	s_andn2_b32 exec_lo, exec_lo, s28
	s_cbranch_execz .LBB6_8801
.LBB6_8099:                             ;   Parent Loop BB6_5201 Depth=1
                                        ; =>  This Inner Loop Header: Depth=2
	global_load_dwordx4 v[10:13], v[20:21], off slc
	global_load_dwordx4 v[14:17], v[18:19], off slc
	s_mov_b32 s13, -1
	s_waitcnt vmcnt(1)
	v_and_b32_e32 v2, 3, v10
	v_bfe_u32 v29, v10, 2, 5
	v_lshlrev_b32_e32 v32, 24, v10
	s_waitcnt vmcnt(0)
	v_cmp_gt_i16_sdwa s40, v14, v43 src0_sel:BYTE_0 src1_sel:DWORD
	v_ffbh_u32_e32 v3, v2
	v_cmp_eq_u32_e32 vcc_lo, 0, v29
	v_min_u32_e32 v3, 32, v3
	v_subrev_nc_u32_e32 v28, 29, v3
	v_sub_nc_u32_e32 v3, 30, v3
	v_lshlrev_b32_e32 v28, v28, v10
	v_cndmask_b32_e32 v3, v29, v3, vcc_lo
                                        ; implicit-def: $vgpr29
	v_and_b32_e32 v28, 3, v28
	v_lshl_add_u32 v3, v3, 23, 0x37800000
	v_cndmask_b32_e32 v2, v2, v28, vcc_lo
	v_and_b32_e32 v28, 0x80000000, v32
	s_and_b32 vcc_lo, exec_lo, s29
	v_lshlrev_b32_e32 v2, 21, v2
	v_or3_b32 v28, v28, v3, v2
	s_cbranch_vccz .LBB6_8113
; %bb.8100:                             ;   in Loop: Header=BB6_8099 Depth=2
	s_mov_b32 s13, 0
	s_and_saveexec_b32 s41, s40
	s_xor_b32 s40, exec_lo, s41
	s_cbranch_execz .LBB6_8673
; %bb.8101:                             ;   in Loop: Header=BB6_8099 Depth=2
	v_cmp_eq_u16_sdwa s42, v14, v44 src0_sel:BYTE_0 src1_sel:DWORD
	s_mov_b32 s13, -1
	s_and_saveexec_b32 s41, s42
; %bb.8102:                             ;   in Loop: Header=BB6_8099 Depth=2
	s_xor_b32 s13, exec_lo, -1
; %bb.8103:                             ;   in Loop: Header=BB6_8099 Depth=2
	s_or_b32 exec_lo, exec_lo, s41
	s_and_b32 s13, s13, exec_lo
	s_or_saveexec_b32 s40, s40
	v_mov_b32_e32 v29, 0x7f800001
	s_xor_b32 exec_lo, exec_lo, s40
	s_cbranch_execnz .LBB6_8674
.LBB6_8104:                             ;   in Loop: Header=BB6_8099 Depth=2
	s_or_b32 exec_lo, exec_lo, s40
	s_and_saveexec_b32 s40, s13
	s_cbranch_execz .LBB6_8106
.LBB6_8105:                             ;   in Loop: Header=BB6_8099 Depth=2
	v_and_b32_e32 v2, 3, v14
	v_bfe_u32 v32, v14, 2, 5
	v_lshlrev_b32_e32 v33, 24, v14
	v_ffbh_u32_e32 v3, v2
	v_cmp_eq_u32_e32 vcc_lo, 0, v32
	v_min_u32_e32 v3, 32, v3
	v_subrev_nc_u32_e32 v29, 29, v3
	v_sub_nc_u32_e32 v3, 30, v3
	v_lshlrev_b32_e32 v29, v29, v14
	v_cndmask_b32_e32 v3, v32, v3, vcc_lo
	v_and_b32_e32 v29, 3, v29
	v_lshl_add_u32 v3, v3, 23, 0x37800000
	v_cndmask_b32_e32 v2, v2, v29, vcc_lo
	v_and_b32_e32 v29, 0x80000000, v33
	v_lshlrev_b32_e32 v2, 21, v2
	v_or3_b32 v29, v29, v3, v2
.LBB6_8106:                             ;   in Loop: Header=BB6_8099 Depth=2
	s_or_b32 exec_lo, exec_lo, s40
	v_cmp_gt_i16_sdwa s40, v10, v43 src0_sel:BYTE_0 src1_sel:DWORD
	s_mov_b32 s13, 0
	s_and_saveexec_b32 s41, s40
	s_xor_b32 s40, exec_lo, s41
	s_cbranch_execz .LBB6_8675
; %bb.8107:                             ;   in Loop: Header=BB6_8099 Depth=2
	v_cmp_eq_u16_sdwa s42, v10, v44 src0_sel:BYTE_0 src1_sel:DWORD
	s_mov_b32 s13, -1
	s_and_saveexec_b32 s41, s42
; %bb.8108:                             ;   in Loop: Header=BB6_8099 Depth=2
	s_xor_b32 s13, exec_lo, -1
; %bb.8109:                             ;   in Loop: Header=BB6_8099 Depth=2
	s_or_b32 exec_lo, exec_lo, s41
	s_and_b32 s13, s13, exec_lo
	s_or_saveexec_b32 s40, s40
	v_mov_b32_e32 v2, 0x7f800001
	s_xor_b32 exec_lo, exec_lo, s40
	s_cbranch_execnz .LBB6_8676
.LBB6_8110:                             ;   in Loop: Header=BB6_8099 Depth=2
	s_or_b32 exec_lo, exec_lo, s40
	s_and_saveexec_b32 s40, s13
.LBB6_8111:                             ;   in Loop: Header=BB6_8099 Depth=2
	v_mov_b32_e32 v2, v28
.LBB6_8112:                             ;   in Loop: Header=BB6_8099 Depth=2
	s_or_b32 exec_lo, exec_lo, s40
	v_max_f32_e32 v2, v2, v2
	v_max_f32_e32 v3, v29, v29
	s_mov_b32 s13, 0
	v_max_f32_e32 v29, v3, v2
.LBB6_8113:                             ;   in Loop: Header=BB6_8099 Depth=2
	s_and_b32 vcc_lo, exec_lo, s13
	s_cbranch_vccz .LBB6_8127
; %bb.8114:                             ;   in Loop: Header=BB6_8099 Depth=2
	v_cmp_gt_i16_sdwa s40, v14, v43 src0_sel:BYTE_0 src1_sel:DWORD
	s_mov_b32 s13, 0
	s_and_saveexec_b32 s41, s40
	s_xor_b32 s40, exec_lo, s41
	s_cbranch_execz .LBB6_8677
; %bb.8115:                             ;   in Loop: Header=BB6_8099 Depth=2
	v_cmp_eq_u16_sdwa s42, v14, v44 src0_sel:BYTE_0 src1_sel:DWORD
	s_mov_b32 s13, -1
	s_and_saveexec_b32 s41, s42
; %bb.8116:                             ;   in Loop: Header=BB6_8099 Depth=2
	s_xor_b32 s13, exec_lo, -1
; %bb.8117:                             ;   in Loop: Header=BB6_8099 Depth=2
	s_or_b32 exec_lo, exec_lo, s41
	s_and_b32 s13, s13, exec_lo
	s_or_saveexec_b32 s40, s40
	v_mov_b32_e32 v29, 0x7f800001
	s_xor_b32 exec_lo, exec_lo, s40
	s_cbranch_execnz .LBB6_8678
.LBB6_8118:                             ;   in Loop: Header=BB6_8099 Depth=2
	s_or_b32 exec_lo, exec_lo, s40
	s_and_saveexec_b32 s40, s13
	s_cbranch_execz .LBB6_8120
.LBB6_8119:                             ;   in Loop: Header=BB6_8099 Depth=2
	v_and_b32_e32 v2, 3, v14
	v_bfe_u32 v32, v14, 2, 5
	v_lshlrev_b32_e32 v33, 24, v14
	v_ffbh_u32_e32 v3, v2
	v_cmp_eq_u32_e32 vcc_lo, 0, v32
	v_min_u32_e32 v3, 32, v3
	v_subrev_nc_u32_e32 v29, 29, v3
	v_sub_nc_u32_e32 v3, 30, v3
	v_lshlrev_b32_e32 v29, v29, v14
	v_cndmask_b32_e32 v3, v32, v3, vcc_lo
	v_and_b32_e32 v29, 3, v29
	v_lshl_add_u32 v3, v3, 23, 0x37800000
	v_cndmask_b32_e32 v2, v2, v29, vcc_lo
	v_and_b32_e32 v29, 0x80000000, v33
	v_lshlrev_b32_e32 v2, 21, v2
	v_or3_b32 v29, v29, v3, v2
.LBB6_8120:                             ;   in Loop: Header=BB6_8099 Depth=2
	s_or_b32 exec_lo, exec_lo, s40
	v_cmp_gt_i16_sdwa s40, v10, v43 src0_sel:BYTE_0 src1_sel:DWORD
	s_mov_b32 s13, 0
	s_and_saveexec_b32 s41, s40
	s_xor_b32 s40, exec_lo, s41
	s_cbranch_execz .LBB6_8679
; %bb.8121:                             ;   in Loop: Header=BB6_8099 Depth=2
	v_cmp_eq_u16_sdwa s42, v10, v44 src0_sel:BYTE_0 src1_sel:DWORD
	s_mov_b32 s13, -1
	s_and_saveexec_b32 s41, s42
; %bb.8122:                             ;   in Loop: Header=BB6_8099 Depth=2
	s_xor_b32 s13, exec_lo, -1
; %bb.8123:                             ;   in Loop: Header=BB6_8099 Depth=2
	s_or_b32 exec_lo, exec_lo, s41
	s_and_b32 s13, s13, exec_lo
	s_or_saveexec_b32 s40, s40
	v_mov_b32_e32 v2, 0x7f800001
	s_xor_b32 exec_lo, exec_lo, s40
	s_cbranch_execnz .LBB6_8680
.LBB6_8124:                             ;   in Loop: Header=BB6_8099 Depth=2
	s_or_b32 exec_lo, exec_lo, s40
	s_and_saveexec_b32 s40, s13
.LBB6_8125:                             ;   in Loop: Header=BB6_8099 Depth=2
	v_mov_b32_e32 v2, v28
.LBB6_8126:                             ;   in Loop: Header=BB6_8099 Depth=2
	s_or_b32 exec_lo, exec_lo, s40
	v_max_f32_e32 v2, v2, v2
	v_max_f32_e32 v3, v29, v29
	v_min_f32_e32 v29, v3, v2
.LBB6_8127:                             ;   in Loop: Header=BB6_8099 Depth=2
	v_and_b32_e32 v2, 0x7f800000, v29
	v_mov_b32_e32 v28, 0x80
	s_mov_b32 s40, exec_lo
	v_cmpx_ne_u32_e32 0x7f800000, v2
	s_cbranch_execz .LBB6_8135
; %bb.8128:                             ;   in Loop: Header=BB6_8099 Depth=2
	v_mov_b32_e32 v28, 0
	s_mov_b32 s41, exec_lo
	v_cmpx_ne_u32_e32 0, v29
	s_cbranch_execz .LBB6_8134
; %bb.8129:                             ;   in Loop: Header=BB6_8099 Depth=2
	v_bfe_u32 v2, v29, 23, 8
	v_and_b32_e32 v3, 0x7fffff, v29
	v_sub_nc_u32_e32 v28, 0x70, v2
	v_cmp_gt_u32_e32 vcc_lo, 0x71, v2
	v_or_b32_e32 v32, 0x800000, v3
	v_cndmask_b32_e32 v28, 0, v28, vcc_lo
	v_cmp_eq_u32_e32 vcc_lo, 0, v2
	v_add_nc_u32_e32 v2, 0xffffff91, v2
	v_cndmask_b32_e64 v28, v28, 0x6f, vcc_lo
	v_cndmask_b32_e32 v3, v32, v3, vcc_lo
	v_cndmask_b32_e64 v2, v2, 0xffffff92, vcc_lo
	v_lshl_add_u32 v33, 0x200000, v28, -1
	v_lshrrev_b32_e32 v32, v28, v3
	v_lshlrev_b32_e64 v35, v28, 0x100000
	v_add_nc_u32_e32 v2, v28, v2
	v_and_b32_e32 v3, v33, v3
	v_bfe_u32 v34, v32, 21, 1
	v_cmp_eq_u32_e64 s13, v3, v35
	v_add_nc_u32_e32 v33, -1, v34
	v_cndmask_b32_e64 v3, 0, v33, s13
	v_lshrrev_b32_e32 v33, 23, v32
	s_mov_b32 s13, exec_lo
	v_add_nc_u32_e32 v3, v3, v32
	v_and_b32_e32 v28, 0x1fffff, v3
	v_xor_b32_e32 v3, 1, v33
	v_add_nc_u32_e32 v32, v28, v32
                                        ; implicit-def: $vgpr28
	v_cmpx_ne_u32_e64 v2, v3
	s_xor_b32 s13, exec_lo, s13
; %bb.8130:                             ;   in Loop: Header=BB6_8099 Depth=2
	v_cmp_lt_u32_e32 vcc_lo, 0xffffff, v32
	v_sub_nc_u32_e32 v2, v2, v3
	v_cndmask_b32_e64 v3, 0, 1, vcc_lo
	v_add_co_ci_u32_e64 v28, null, 0, v2, vcc_lo
	v_lshrrev_b32_e32 v32, v3, v32
; %bb.8131:                             ;   in Loop: Header=BB6_8099 Depth=2
	s_andn2_saveexec_b32 s13, s13
; %bb.8132:                             ;   in Loop: Header=BB6_8099 Depth=2
	v_bfe_u32 v28, v32, 23, 1
; %bb.8133:                             ;   in Loop: Header=BB6_8099 Depth=2
	s_or_b32 exec_lo, exec_lo, s13
	v_lshrrev_b32_e32 v2, 21, v32
	v_min_i32_e32 v3, 31, v28
	v_cmp_gt_i32_e32 vcc_lo, 32, v28
	v_and_b32_sdwa v29, v29, v44 dst_sel:DWORD dst_unused:UNUSED_PAD src0_sel:BYTE_3 src1_sel:DWORD
	v_lshlrev_b32_e32 v3, 2, v3
	v_cndmask_b32_e32 v2, 3, v2, vcc_lo
	v_and_b32_e32 v3, 0xfc, v3
	v_and_b32_e32 v32, 3, v2
	v_or_b32_e32 v2, v28, v2
	v_or3_b32 v3, v3, v29, v32
	v_cmp_ne_u32_e32 vcc_lo, 0, v2
	v_cndmask_b32_e32 v28, 0, v3, vcc_lo
.LBB6_8134:                             ;   in Loop: Header=BB6_8099 Depth=2
	s_or_b32 exec_lo, exec_lo, s41
.LBB6_8135:                             ;   in Loop: Header=BB6_8099 Depth=2
	s_or_b32 exec_lo, exec_lo, s40
	v_and_b32_sdwa v2, v45, v10 dst_sel:DWORD dst_unused:UNUSED_PAD src0_sel:DWORD src1_sel:BYTE_1
	v_cmp_gt_i16_sdwa s40, v14, v43 src0_sel:BYTE_1 src1_sel:DWORD
	s_mov_b32 s13, -1
	v_and_b32_e32 v3, 3, v2
	v_bfe_u32 v33, v2, 2, 5
	v_ffbh_u32_e32 v29, v3
	v_cmp_eq_u32_e32 vcc_lo, 0, v33
	v_min_u32_e32 v29, 32, v29
	v_subrev_nc_u32_e32 v32, 29, v29
	v_sub_nc_u32_e32 v29, 30, v29
	v_lshlrev_b32_e32 v2, v32, v2
	v_lshlrev_b32_sdwa v32, v47, v10 dst_sel:DWORD dst_unused:UNUSED_PAD src0_sel:DWORD src1_sel:BYTE_1
	v_cndmask_b32_e32 v29, v33, v29, vcc_lo
	v_and_b32_e32 v2, 3, v2
	v_lshl_add_u32 v29, v29, 23, 0x37800000
	v_cndmask_b32_e32 v2, v3, v2, vcc_lo
	v_and_b32_e32 v3, 0x80000000, v32
	s_and_b32 vcc_lo, exec_lo, s29
                                        ; implicit-def: $vgpr32
	v_lshlrev_b32_e32 v2, 21, v2
	v_or3_b32 v29, v3, v29, v2
	s_cbranch_vccz .LBB6_8149
; %bb.8136:                             ;   in Loop: Header=BB6_8099 Depth=2
	s_mov_b32 s13, 0
	s_and_saveexec_b32 s41, s40
	s_xor_b32 s40, exec_lo, s41
	s_cbranch_execz .LBB6_8681
; %bb.8137:                             ;   in Loop: Header=BB6_8099 Depth=2
	v_cmp_eq_u16_sdwa s42, v14, v44 src0_sel:BYTE_1 src1_sel:DWORD
	s_mov_b32 s13, -1
	s_and_saveexec_b32 s41, s42
; %bb.8138:                             ;   in Loop: Header=BB6_8099 Depth=2
	s_xor_b32 s13, exec_lo, -1
; %bb.8139:                             ;   in Loop: Header=BB6_8099 Depth=2
	s_or_b32 exec_lo, exec_lo, s41
	s_and_b32 s13, s13, exec_lo
	s_or_saveexec_b32 s40, s40
	v_mov_b32_e32 v32, 0x7f800001
	s_xor_b32 exec_lo, exec_lo, s40
	s_cbranch_execnz .LBB6_8682
.LBB6_8140:                             ;   in Loop: Header=BB6_8099 Depth=2
	s_or_b32 exec_lo, exec_lo, s40
	s_and_saveexec_b32 s40, s13
	s_cbranch_execz .LBB6_8142
.LBB6_8141:                             ;   in Loop: Header=BB6_8099 Depth=2
	v_and_b32_sdwa v2, v45, v14 dst_sel:DWORD dst_unused:UNUSED_PAD src0_sel:DWORD src1_sel:BYTE_1
	v_and_b32_e32 v3, 3, v2
	v_bfe_u32 v34, v2, 2, 5
	v_ffbh_u32_e32 v32, v3
	v_cmp_eq_u32_e32 vcc_lo, 0, v34
	v_min_u32_e32 v32, 32, v32
	v_subrev_nc_u32_e32 v33, 29, v32
	v_sub_nc_u32_e32 v32, 30, v32
	v_lshlrev_b32_e32 v2, v33, v2
	v_lshlrev_b32_e32 v33, 16, v14
	v_cndmask_b32_e32 v32, v34, v32, vcc_lo
	v_and_b32_e32 v2, 3, v2
	v_lshl_add_u32 v32, v32, 23, 0x37800000
	v_cndmask_b32_e32 v2, v3, v2, vcc_lo
	v_and_b32_e32 v3, 0x80000000, v33
	v_lshlrev_b32_e32 v2, 21, v2
	v_or3_b32 v32, v3, v32, v2
.LBB6_8142:                             ;   in Loop: Header=BB6_8099 Depth=2
	s_or_b32 exec_lo, exec_lo, s40
	v_cmp_gt_i16_sdwa s40, v10, v43 src0_sel:BYTE_1 src1_sel:DWORD
	s_mov_b32 s13, 0
	s_and_saveexec_b32 s41, s40
	s_xor_b32 s40, exec_lo, s41
	s_cbranch_execz .LBB6_8683
; %bb.8143:                             ;   in Loop: Header=BB6_8099 Depth=2
	v_cmp_eq_u16_sdwa s42, v10, v44 src0_sel:BYTE_1 src1_sel:DWORD
	s_mov_b32 s13, -1
	s_and_saveexec_b32 s41, s42
; %bb.8144:                             ;   in Loop: Header=BB6_8099 Depth=2
	s_xor_b32 s13, exec_lo, -1
; %bb.8145:                             ;   in Loop: Header=BB6_8099 Depth=2
	s_or_b32 exec_lo, exec_lo, s41
	s_and_b32 s13, s13, exec_lo
	s_or_saveexec_b32 s40, s40
	v_mov_b32_e32 v2, 0x7f800001
	s_xor_b32 exec_lo, exec_lo, s40
	s_cbranch_execnz .LBB6_8684
.LBB6_8146:                             ;   in Loop: Header=BB6_8099 Depth=2
	s_or_b32 exec_lo, exec_lo, s40
	s_and_saveexec_b32 s40, s13
.LBB6_8147:                             ;   in Loop: Header=BB6_8099 Depth=2
	v_mov_b32_e32 v2, v29
.LBB6_8148:                             ;   in Loop: Header=BB6_8099 Depth=2
	s_or_b32 exec_lo, exec_lo, s40
	v_max_f32_e32 v2, v2, v2
	v_max_f32_e32 v3, v32, v32
	s_mov_b32 s13, 0
	v_max_f32_e32 v32, v3, v2
.LBB6_8149:                             ;   in Loop: Header=BB6_8099 Depth=2
	s_and_b32 vcc_lo, exec_lo, s13
	s_cbranch_vccz .LBB6_8163
; %bb.8150:                             ;   in Loop: Header=BB6_8099 Depth=2
	v_cmp_gt_i16_sdwa s40, v14, v43 src0_sel:BYTE_1 src1_sel:DWORD
	s_mov_b32 s13, 0
	s_and_saveexec_b32 s41, s40
	s_xor_b32 s40, exec_lo, s41
	s_cbranch_execz .LBB6_8685
; %bb.8151:                             ;   in Loop: Header=BB6_8099 Depth=2
	v_cmp_eq_u16_sdwa s42, v14, v44 src0_sel:BYTE_1 src1_sel:DWORD
	s_mov_b32 s13, -1
	s_and_saveexec_b32 s41, s42
; %bb.8152:                             ;   in Loop: Header=BB6_8099 Depth=2
	s_xor_b32 s13, exec_lo, -1
; %bb.8153:                             ;   in Loop: Header=BB6_8099 Depth=2
	s_or_b32 exec_lo, exec_lo, s41
	s_and_b32 s13, s13, exec_lo
	s_or_saveexec_b32 s40, s40
	v_mov_b32_e32 v32, 0x7f800001
	s_xor_b32 exec_lo, exec_lo, s40
	s_cbranch_execnz .LBB6_8686
.LBB6_8154:                             ;   in Loop: Header=BB6_8099 Depth=2
	s_or_b32 exec_lo, exec_lo, s40
	s_and_saveexec_b32 s40, s13
	s_cbranch_execz .LBB6_8156
.LBB6_8155:                             ;   in Loop: Header=BB6_8099 Depth=2
	v_and_b32_sdwa v2, v45, v14 dst_sel:DWORD dst_unused:UNUSED_PAD src0_sel:DWORD src1_sel:BYTE_1
	v_and_b32_e32 v3, 3, v2
	v_bfe_u32 v34, v2, 2, 5
	v_ffbh_u32_e32 v32, v3
	v_cmp_eq_u32_e32 vcc_lo, 0, v34
	v_min_u32_e32 v32, 32, v32
	v_subrev_nc_u32_e32 v33, 29, v32
	v_sub_nc_u32_e32 v32, 30, v32
	v_lshlrev_b32_e32 v2, v33, v2
	v_lshlrev_b32_e32 v33, 16, v14
	v_cndmask_b32_e32 v32, v34, v32, vcc_lo
	v_and_b32_e32 v2, 3, v2
	v_lshl_add_u32 v32, v32, 23, 0x37800000
	v_cndmask_b32_e32 v2, v3, v2, vcc_lo
	v_and_b32_e32 v3, 0x80000000, v33
	v_lshlrev_b32_e32 v2, 21, v2
	v_or3_b32 v32, v3, v32, v2
.LBB6_8156:                             ;   in Loop: Header=BB6_8099 Depth=2
	s_or_b32 exec_lo, exec_lo, s40
	v_cmp_gt_i16_sdwa s40, v10, v43 src0_sel:BYTE_1 src1_sel:DWORD
	s_mov_b32 s13, 0
	s_and_saveexec_b32 s41, s40
	s_xor_b32 s40, exec_lo, s41
	s_cbranch_execz .LBB6_8687
; %bb.8157:                             ;   in Loop: Header=BB6_8099 Depth=2
	v_cmp_eq_u16_sdwa s42, v10, v44 src0_sel:BYTE_1 src1_sel:DWORD
	s_mov_b32 s13, -1
	s_and_saveexec_b32 s41, s42
; %bb.8158:                             ;   in Loop: Header=BB6_8099 Depth=2
	s_xor_b32 s13, exec_lo, -1
; %bb.8159:                             ;   in Loop: Header=BB6_8099 Depth=2
	s_or_b32 exec_lo, exec_lo, s41
	s_and_b32 s13, s13, exec_lo
	s_or_saveexec_b32 s40, s40
	v_mov_b32_e32 v2, 0x7f800001
	s_xor_b32 exec_lo, exec_lo, s40
	s_cbranch_execnz .LBB6_8688
.LBB6_8160:                             ;   in Loop: Header=BB6_8099 Depth=2
	s_or_b32 exec_lo, exec_lo, s40
	s_and_saveexec_b32 s40, s13
.LBB6_8161:                             ;   in Loop: Header=BB6_8099 Depth=2
	v_mov_b32_e32 v2, v29
.LBB6_8162:                             ;   in Loop: Header=BB6_8099 Depth=2
	s_or_b32 exec_lo, exec_lo, s40
	v_max_f32_e32 v2, v2, v2
	v_max_f32_e32 v3, v32, v32
	v_min_f32_e32 v32, v3, v2
.LBB6_8163:                             ;   in Loop: Header=BB6_8099 Depth=2
	v_and_b32_e32 v2, 0x7f800000, v32
	v_mov_b32_e32 v29, 0x8000
	s_mov_b32 s40, exec_lo
	v_cmpx_ne_u32_e32 0x7f800000, v2
	s_cbranch_execz .LBB6_8171
; %bb.8164:                             ;   in Loop: Header=BB6_8099 Depth=2
	v_mov_b32_e32 v29, 0
	s_mov_b32 s41, exec_lo
	v_cmpx_ne_u32_e32 0, v32
	s_cbranch_execz .LBB6_8170
; %bb.8165:                             ;   in Loop: Header=BB6_8099 Depth=2
	v_bfe_u32 v2, v32, 23, 8
	v_and_b32_e32 v3, 0x7fffff, v32
	v_sub_nc_u32_e32 v29, 0x70, v2
	v_cmp_gt_u32_e32 vcc_lo, 0x71, v2
	v_or_b32_e32 v33, 0x800000, v3
	v_cndmask_b32_e32 v29, 0, v29, vcc_lo
	v_cmp_eq_u32_e32 vcc_lo, 0, v2
	v_add_nc_u32_e32 v2, 0xffffff91, v2
	v_cndmask_b32_e64 v29, v29, 0x6f, vcc_lo
	v_cndmask_b32_e32 v3, v33, v3, vcc_lo
	v_cndmask_b32_e64 v2, v2, 0xffffff92, vcc_lo
	v_lshl_add_u32 v34, 0x200000, v29, -1
	v_lshrrev_b32_e32 v33, v29, v3
	v_lshlrev_b32_e64 v36, v29, 0x100000
	v_add_nc_u32_e32 v2, v29, v2
	v_and_b32_e32 v3, v34, v3
	v_bfe_u32 v35, v33, 21, 1
	v_cmp_eq_u32_e64 s13, v3, v36
	v_add_nc_u32_e32 v34, -1, v35
	v_cndmask_b32_e64 v3, 0, v34, s13
	v_lshrrev_b32_e32 v34, 23, v33
	s_mov_b32 s13, exec_lo
	v_add_nc_u32_e32 v3, v3, v33
	v_and_b32_e32 v29, 0x1fffff, v3
	v_xor_b32_e32 v3, 1, v34
	v_add_nc_u32_e32 v33, v29, v33
                                        ; implicit-def: $vgpr29
	v_cmpx_ne_u32_e64 v2, v3
	s_xor_b32 s13, exec_lo, s13
; %bb.8166:                             ;   in Loop: Header=BB6_8099 Depth=2
	v_cmp_lt_u32_e32 vcc_lo, 0xffffff, v33
	v_sub_nc_u32_e32 v2, v2, v3
	v_cndmask_b32_e64 v3, 0, 1, vcc_lo
	v_add_co_ci_u32_e64 v29, null, 0, v2, vcc_lo
	v_lshrrev_b32_e32 v33, v3, v33
; %bb.8167:                             ;   in Loop: Header=BB6_8099 Depth=2
	s_andn2_saveexec_b32 s13, s13
; %bb.8168:                             ;   in Loop: Header=BB6_8099 Depth=2
	v_bfe_u32 v29, v33, 23, 1
; %bb.8169:                             ;   in Loop: Header=BB6_8099 Depth=2
	s_or_b32 exec_lo, exec_lo, s13
	v_lshrrev_b32_e32 v2, 21, v33
	v_min_i32_e32 v3, 31, v29
	v_cmp_gt_i32_e32 vcc_lo, 32, v29
	v_and_b32_sdwa v32, v32, v44 dst_sel:DWORD dst_unused:UNUSED_PAD src0_sel:BYTE_3 src1_sel:DWORD
	v_lshlrev_b32_e32 v3, 2, v3
	v_cndmask_b32_e32 v2, 3, v2, vcc_lo
	v_and_b32_e32 v3, 0xfc, v3
	v_and_b32_e32 v33, 3, v2
	v_or_b32_e32 v2, v29, v2
	v_or3_b32 v3, v32, v3, v33
	v_cmp_ne_u32_e32 vcc_lo, 0, v2
	v_lshlrev_b32_e32 v3, 8, v3
	v_cndmask_b32_e32 v29, 0, v3, vcc_lo
.LBB6_8170:                             ;   in Loop: Header=BB6_8099 Depth=2
	s_or_b32 exec_lo, exec_lo, s41
.LBB6_8171:                             ;   in Loop: Header=BB6_8099 Depth=2
	s_or_b32 exec_lo, exec_lo, s40
	v_bfe_u32 v2, v10, 16, 2
	v_bfe_u32 v33, v10, 18, 5
	v_lshlrev_b32_e32 v34, 8, v10
	s_mov_b32 s40, -1
	v_ffbh_u32_e32 v3, v2
	v_cmp_eq_u32_e32 vcc_lo, 0, v33
	v_min_u32_e32 v3, 32, v3
	v_subrev_nc_u32_e32 v32, 29, v3
	v_sub_nc_u32_e32 v3, 30, v3
	v_lshlrev_b32_sdwa v32, v32, v10 dst_sel:DWORD dst_unused:UNUSED_PAD src0_sel:DWORD src1_sel:WORD_1
	v_cndmask_b32_e32 v3, v33, v3, vcc_lo
	v_and_b32_sdwa v33, v14, v46 dst_sel:DWORD dst_unused:UNUSED_PAD src0_sel:WORD_1 src1_sel:DWORD
	v_and_b32_e32 v32, 3, v32
	v_lshl_add_u32 v3, v3, 23, 0x37800000
	v_cmp_lt_i16_e64 s13, 0x7f, v33
	v_cndmask_b32_e32 v2, v2, v32, vcc_lo
	v_and_b32_e32 v32, 0x80000000, v34
	s_and_b32 vcc_lo, exec_lo, s29
                                        ; implicit-def: $vgpr34
	v_lshlrev_b32_e32 v2, 21, v2
	v_or3_b32 v32, v32, v3, v2
	s_cbranch_vccz .LBB6_8185
; %bb.8172:                             ;   in Loop: Header=BB6_8099 Depth=2
	s_mov_b32 s40, 0
	s_and_saveexec_b32 s41, s13
	s_xor_b32 s13, exec_lo, s41
	s_cbranch_execz .LBB6_8689
; %bb.8173:                             ;   in Loop: Header=BB6_8099 Depth=2
	s_mov_b32 s40, -1
	s_mov_b32 s41, exec_lo
	v_cmpx_eq_u16_e32 0x80, v33
; %bb.8174:                             ;   in Loop: Header=BB6_8099 Depth=2
	s_xor_b32 s40, exec_lo, -1
; %bb.8175:                             ;   in Loop: Header=BB6_8099 Depth=2
	s_or_b32 exec_lo, exec_lo, s41
	s_and_b32 s40, s40, exec_lo
	s_or_saveexec_b32 s13, s13
	v_mov_b32_e32 v34, 0x7f800001
	s_xor_b32 exec_lo, exec_lo, s13
	s_cbranch_execnz .LBB6_8690
.LBB6_8176:                             ;   in Loop: Header=BB6_8099 Depth=2
	s_or_b32 exec_lo, exec_lo, s13
	s_and_saveexec_b32 s13, s40
	s_cbranch_execz .LBB6_8178
.LBB6_8177:                             ;   in Loop: Header=BB6_8099 Depth=2
	v_bfe_u32 v2, v14, 16, 2
	v_bfe_u32 v35, v14, 18, 5
	v_lshlrev_b32_sdwa v36, v47, v14 dst_sel:DWORD dst_unused:UNUSED_PAD src0_sel:DWORD src1_sel:WORD_1
	v_ffbh_u32_e32 v3, v2
	v_cmp_eq_u32_e32 vcc_lo, 0, v35
	v_min_u32_e32 v3, 32, v3
	v_subrev_nc_u32_e32 v34, 29, v3
	v_sub_nc_u32_e32 v3, 30, v3
	v_lshlrev_b32_sdwa v34, v34, v14 dst_sel:DWORD dst_unused:UNUSED_PAD src0_sel:DWORD src1_sel:WORD_1
	v_cndmask_b32_e32 v3, v35, v3, vcc_lo
	v_and_b32_e32 v34, 3, v34
	v_lshl_add_u32 v3, v3, 23, 0x37800000
	v_cndmask_b32_e32 v2, v2, v34, vcc_lo
	v_and_b32_e32 v34, 0x80000000, v36
	v_lshlrev_b32_e32 v2, 21, v2
	v_or3_b32 v34, v34, v3, v2
.LBB6_8178:                             ;   in Loop: Header=BB6_8099 Depth=2
	s_or_b32 exec_lo, exec_lo, s13
	v_and_b32_sdwa v3, v10, v46 dst_sel:DWORD dst_unused:UNUSED_PAD src0_sel:WORD_1 src1_sel:DWORD
	s_mov_b32 s13, 0
	s_mov_b32 s40, exec_lo
	v_cmpx_lt_i16_e32 0x7f, v3
	s_xor_b32 s40, exec_lo, s40
	s_cbranch_execz .LBB6_8691
; %bb.8179:                             ;   in Loop: Header=BB6_8099 Depth=2
	s_mov_b32 s13, -1
	s_mov_b32 s41, exec_lo
	v_cmpx_eq_u16_e32 0x80, v3
; %bb.8180:                             ;   in Loop: Header=BB6_8099 Depth=2
	s_xor_b32 s13, exec_lo, -1
; %bb.8181:                             ;   in Loop: Header=BB6_8099 Depth=2
	s_or_b32 exec_lo, exec_lo, s41
	s_and_b32 s13, s13, exec_lo
                                        ; implicit-def: $vgpr3
	s_or_saveexec_b32 s40, s40
	v_mov_b32_e32 v2, 0x7f800001
	s_xor_b32 exec_lo, exec_lo, s40
	s_cbranch_execnz .LBB6_8692
.LBB6_8182:                             ;   in Loop: Header=BB6_8099 Depth=2
	s_or_b32 exec_lo, exec_lo, s40
	s_and_saveexec_b32 s40, s13
.LBB6_8183:                             ;   in Loop: Header=BB6_8099 Depth=2
	v_mov_b32_e32 v2, v32
.LBB6_8184:                             ;   in Loop: Header=BB6_8099 Depth=2
	s_or_b32 exec_lo, exec_lo, s40
	v_max_f32_e32 v2, v2, v2
	v_max_f32_e32 v3, v34, v34
	s_mov_b32 s40, 0
	v_max_f32_e32 v34, v3, v2
.LBB6_8185:                             ;   in Loop: Header=BB6_8099 Depth=2
	s_and_b32 vcc_lo, exec_lo, s40
	s_cbranch_vccz .LBB6_8199
; %bb.8186:                             ;   in Loop: Header=BB6_8099 Depth=2
	s_mov_b32 s13, 0
	s_mov_b32 s40, exec_lo
	v_cmpx_lt_i16_e32 0x7f, v33
	s_xor_b32 s40, exec_lo, s40
	s_cbranch_execz .LBB6_8693
; %bb.8187:                             ;   in Loop: Header=BB6_8099 Depth=2
	s_mov_b32 s13, -1
	s_mov_b32 s41, exec_lo
	v_cmpx_eq_u16_e32 0x80, v33
; %bb.8188:                             ;   in Loop: Header=BB6_8099 Depth=2
	s_xor_b32 s13, exec_lo, -1
; %bb.8189:                             ;   in Loop: Header=BB6_8099 Depth=2
	s_or_b32 exec_lo, exec_lo, s41
	s_and_b32 s13, s13, exec_lo
                                        ; implicit-def: $vgpr33
	s_or_saveexec_b32 s40, s40
	v_mov_b32_e32 v34, 0x7f800001
	s_xor_b32 exec_lo, exec_lo, s40
	s_cbranch_execnz .LBB6_8694
.LBB6_8190:                             ;   in Loop: Header=BB6_8099 Depth=2
	s_or_b32 exec_lo, exec_lo, s40
	s_and_saveexec_b32 s40, s13
	s_cbranch_execz .LBB6_8192
.LBB6_8191:                             ;   in Loop: Header=BB6_8099 Depth=2
	v_bfe_u32 v2, v14, 16, 2
	v_bfe_u32 v34, v14, 18, 5
	v_lshlrev_b32_sdwa v35, v47, v14 dst_sel:DWORD dst_unused:UNUSED_PAD src0_sel:DWORD src1_sel:WORD_1
	v_ffbh_u32_e32 v3, v2
	v_cmp_eq_u32_e32 vcc_lo, 0, v34
	v_min_u32_e32 v3, 32, v3
	v_subrev_nc_u32_e32 v33, 29, v3
	v_sub_nc_u32_e32 v3, 30, v3
	v_lshlrev_b32_sdwa v33, v33, v14 dst_sel:DWORD dst_unused:UNUSED_PAD src0_sel:DWORD src1_sel:WORD_1
	v_cndmask_b32_e32 v3, v34, v3, vcc_lo
	v_and_b32_e32 v33, 3, v33
	v_lshl_add_u32 v3, v3, 23, 0x37800000
	v_cndmask_b32_e32 v2, v2, v33, vcc_lo
	v_and_b32_e32 v33, 0x80000000, v35
	v_lshlrev_b32_e32 v2, 21, v2
	v_or3_b32 v34, v33, v3, v2
.LBB6_8192:                             ;   in Loop: Header=BB6_8099 Depth=2
	s_or_b32 exec_lo, exec_lo, s40
	v_and_b32_sdwa v3, v10, v46 dst_sel:DWORD dst_unused:UNUSED_PAD src0_sel:WORD_1 src1_sel:DWORD
	s_mov_b32 s13, 0
	s_mov_b32 s40, exec_lo
	v_cmpx_lt_i16_e32 0x7f, v3
	s_xor_b32 s40, exec_lo, s40
	s_cbranch_execz .LBB6_8695
; %bb.8193:                             ;   in Loop: Header=BB6_8099 Depth=2
	s_mov_b32 s13, -1
	s_mov_b32 s41, exec_lo
	v_cmpx_eq_u16_e32 0x80, v3
; %bb.8194:                             ;   in Loop: Header=BB6_8099 Depth=2
	s_xor_b32 s13, exec_lo, -1
; %bb.8195:                             ;   in Loop: Header=BB6_8099 Depth=2
	s_or_b32 exec_lo, exec_lo, s41
	s_and_b32 s13, s13, exec_lo
                                        ; implicit-def: $vgpr3
	s_or_saveexec_b32 s40, s40
	v_mov_b32_e32 v2, 0x7f800001
	s_xor_b32 exec_lo, exec_lo, s40
	s_cbranch_execnz .LBB6_8696
.LBB6_8196:                             ;   in Loop: Header=BB6_8099 Depth=2
	s_or_b32 exec_lo, exec_lo, s40
	s_and_saveexec_b32 s40, s13
.LBB6_8197:                             ;   in Loop: Header=BB6_8099 Depth=2
	v_mov_b32_e32 v2, v32
.LBB6_8198:                             ;   in Loop: Header=BB6_8099 Depth=2
	s_or_b32 exec_lo, exec_lo, s40
	v_max_f32_e32 v2, v2, v2
	v_max_f32_e32 v3, v34, v34
	v_min_f32_e32 v34, v3, v2
.LBB6_8199:                             ;   in Loop: Header=BB6_8099 Depth=2
	v_and_b32_e32 v2, 0x7f800000, v34
	v_mov_b32_e32 v32, 0x80
	s_mov_b32 s40, exec_lo
	v_cmpx_ne_u32_e32 0x7f800000, v2
	s_cbranch_execz .LBB6_8207
; %bb.8200:                             ;   in Loop: Header=BB6_8099 Depth=2
	v_mov_b32_e32 v32, 0
	s_mov_b32 s41, exec_lo
	v_cmpx_ne_u32_e32 0, v34
	s_cbranch_execz .LBB6_8206
; %bb.8201:                             ;   in Loop: Header=BB6_8099 Depth=2
	v_bfe_u32 v2, v34, 23, 8
	v_and_b32_e32 v3, 0x7fffff, v34
	v_sub_nc_u32_e32 v32, 0x70, v2
	v_cmp_gt_u32_e32 vcc_lo, 0x71, v2
	v_or_b32_e32 v33, 0x800000, v3
	v_cndmask_b32_e32 v32, 0, v32, vcc_lo
	v_cmp_eq_u32_e32 vcc_lo, 0, v2
	v_add_nc_u32_e32 v2, 0xffffff91, v2
	v_cndmask_b32_e64 v32, v32, 0x6f, vcc_lo
	v_cndmask_b32_e32 v3, v33, v3, vcc_lo
	v_cndmask_b32_e64 v2, v2, 0xffffff92, vcc_lo
	v_lshl_add_u32 v35, 0x200000, v32, -1
	v_lshrrev_b32_e32 v33, v32, v3
	v_lshlrev_b32_e64 v37, v32, 0x100000
	v_add_nc_u32_e32 v2, v32, v2
	v_and_b32_e32 v3, v35, v3
	v_bfe_u32 v36, v33, 21, 1
	v_cmp_eq_u32_e64 s13, v3, v37
	v_add_nc_u32_e32 v35, -1, v36
	v_cndmask_b32_e64 v3, 0, v35, s13
	v_lshrrev_b32_e32 v35, 23, v33
	s_mov_b32 s13, exec_lo
	v_add_nc_u32_e32 v3, v3, v33
	v_and_b32_e32 v32, 0x1fffff, v3
	v_xor_b32_e32 v3, 1, v35
	v_add_nc_u32_e32 v33, v32, v33
                                        ; implicit-def: $vgpr32
	v_cmpx_ne_u32_e64 v2, v3
	s_xor_b32 s13, exec_lo, s13
; %bb.8202:                             ;   in Loop: Header=BB6_8099 Depth=2
	v_cmp_lt_u32_e32 vcc_lo, 0xffffff, v33
	v_sub_nc_u32_e32 v2, v2, v3
	v_cndmask_b32_e64 v3, 0, 1, vcc_lo
	v_add_co_ci_u32_e64 v32, null, 0, v2, vcc_lo
	v_lshrrev_b32_e32 v33, v3, v33
; %bb.8203:                             ;   in Loop: Header=BB6_8099 Depth=2
	s_andn2_saveexec_b32 s13, s13
; %bb.8204:                             ;   in Loop: Header=BB6_8099 Depth=2
	v_bfe_u32 v32, v33, 23, 1
; %bb.8205:                             ;   in Loop: Header=BB6_8099 Depth=2
	s_or_b32 exec_lo, exec_lo, s13
	v_lshrrev_b32_e32 v2, 21, v33
	v_min_i32_e32 v3, 31, v32
	v_cmp_gt_i32_e32 vcc_lo, 32, v32
	v_and_b32_sdwa v33, v34, v44 dst_sel:DWORD dst_unused:UNUSED_PAD src0_sel:BYTE_3 src1_sel:DWORD
	v_lshlrev_b32_e32 v3, 2, v3
	v_cndmask_b32_e32 v2, 3, v2, vcc_lo
	v_and_b32_e32 v3, 0xfc, v3
	v_and_b32_e32 v34, 3, v2
	v_or_b32_e32 v2, v32, v2
	v_or3_b32 v3, v3, v33, v34
	v_cmp_ne_u32_e32 vcc_lo, 0, v2
	v_cndmask_b32_e32 v32, 0, v3, vcc_lo
.LBB6_8206:                             ;   in Loop: Header=BB6_8099 Depth=2
	s_or_b32 exec_lo, exec_lo, s41
.LBB6_8207:                             ;   in Loop: Header=BB6_8099 Depth=2
	s_or_b32 exec_lo, exec_lo, s40
	v_bfe_u32 v2, v10, 24, 2
	v_bfe_u32 v34, v10, 26, 5
	v_cmp_gt_i16_sdwa s40, v14, v43 src0_sel:BYTE_3 src1_sel:DWORD
	s_mov_b32 s13, -1
	v_ffbh_u32_e32 v3, v2
	v_cmp_eq_u32_e32 vcc_lo, 0, v34
	v_min_u32_e32 v3, 32, v3
	v_subrev_nc_u32_e32 v33, 29, v3
	v_sub_nc_u32_e32 v3, 30, v3
	v_lshlrev_b32_sdwa v33, v33, v10 dst_sel:DWORD dst_unused:UNUSED_PAD src0_sel:DWORD src1_sel:BYTE_3
	v_cndmask_b32_e32 v3, v34, v3, vcc_lo
                                        ; implicit-def: $vgpr34
	v_and_b32_e32 v33, 3, v33
	v_lshl_add_u32 v3, v3, 23, 0x37800000
	v_cndmask_b32_e32 v2, v2, v33, vcc_lo
	v_and_b32_e32 v33, 0x80000000, v10
	s_and_b32 vcc_lo, exec_lo, s29
	v_lshlrev_b32_e32 v2, 21, v2
	v_or3_b32 v33, v33, v3, v2
	s_cbranch_vccz .LBB6_8221
; %bb.8208:                             ;   in Loop: Header=BB6_8099 Depth=2
	s_mov_b32 s13, 0
	s_and_saveexec_b32 s41, s40
	s_xor_b32 s40, exec_lo, s41
	s_cbranch_execz .LBB6_8697
; %bb.8209:                             ;   in Loop: Header=BB6_8099 Depth=2
	v_cmp_eq_u16_sdwa s42, v14, v44 src0_sel:BYTE_3 src1_sel:DWORD
	s_mov_b32 s13, -1
	s_and_saveexec_b32 s41, s42
; %bb.8210:                             ;   in Loop: Header=BB6_8099 Depth=2
	s_xor_b32 s13, exec_lo, -1
; %bb.8211:                             ;   in Loop: Header=BB6_8099 Depth=2
	s_or_b32 exec_lo, exec_lo, s41
	s_and_b32 s13, s13, exec_lo
	s_or_saveexec_b32 s40, s40
	v_mov_b32_e32 v34, 0x7f800001
	s_xor_b32 exec_lo, exec_lo, s40
	s_cbranch_execnz .LBB6_8698
.LBB6_8212:                             ;   in Loop: Header=BB6_8099 Depth=2
	s_or_b32 exec_lo, exec_lo, s40
	s_and_saveexec_b32 s40, s13
	s_cbranch_execz .LBB6_8214
.LBB6_8213:                             ;   in Loop: Header=BB6_8099 Depth=2
	v_bfe_u32 v2, v14, 24, 2
	v_bfe_u32 v35, v14, 26, 5
	v_ffbh_u32_e32 v3, v2
	v_cmp_eq_u32_e32 vcc_lo, 0, v35
	v_min_u32_e32 v3, 32, v3
	v_subrev_nc_u32_e32 v34, 29, v3
	v_sub_nc_u32_e32 v3, 30, v3
	v_lshlrev_b32_sdwa v34, v34, v14 dst_sel:DWORD dst_unused:UNUSED_PAD src0_sel:DWORD src1_sel:BYTE_3
	v_cndmask_b32_e32 v3, v35, v3, vcc_lo
	v_and_b32_e32 v34, 3, v34
	v_lshl_add_u32 v3, v3, 23, 0x37800000
	v_cndmask_b32_e32 v2, v2, v34, vcc_lo
	v_and_b32_e32 v34, 0x80000000, v14
	v_lshlrev_b32_e32 v2, 21, v2
	v_or3_b32 v34, v34, v3, v2
.LBB6_8214:                             ;   in Loop: Header=BB6_8099 Depth=2
	s_or_b32 exec_lo, exec_lo, s40
	v_cmp_gt_i16_sdwa s40, v10, v43 src0_sel:BYTE_3 src1_sel:DWORD
	s_mov_b32 s13, 0
	s_and_saveexec_b32 s41, s40
	s_xor_b32 s40, exec_lo, s41
	s_cbranch_execz .LBB6_8699
; %bb.8215:                             ;   in Loop: Header=BB6_8099 Depth=2
	v_cmp_eq_u16_sdwa s42, v10, v44 src0_sel:BYTE_3 src1_sel:DWORD
	s_mov_b32 s13, -1
	s_and_saveexec_b32 s41, s42
; %bb.8216:                             ;   in Loop: Header=BB6_8099 Depth=2
	s_xor_b32 s13, exec_lo, -1
; %bb.8217:                             ;   in Loop: Header=BB6_8099 Depth=2
	s_or_b32 exec_lo, exec_lo, s41
	s_and_b32 s13, s13, exec_lo
	s_or_saveexec_b32 s40, s40
	v_mov_b32_e32 v2, 0x7f800001
	s_xor_b32 exec_lo, exec_lo, s40
	s_cbranch_execnz .LBB6_8700
.LBB6_8218:                             ;   in Loop: Header=BB6_8099 Depth=2
	s_or_b32 exec_lo, exec_lo, s40
	s_and_saveexec_b32 s40, s13
.LBB6_8219:                             ;   in Loop: Header=BB6_8099 Depth=2
	v_mov_b32_e32 v2, v33
.LBB6_8220:                             ;   in Loop: Header=BB6_8099 Depth=2
	s_or_b32 exec_lo, exec_lo, s40
	v_max_f32_e32 v2, v2, v2
	v_max_f32_e32 v3, v34, v34
	s_mov_b32 s13, 0
	v_max_f32_e32 v34, v3, v2
.LBB6_8221:                             ;   in Loop: Header=BB6_8099 Depth=2
	s_and_b32 vcc_lo, exec_lo, s13
	s_cbranch_vccz .LBB6_8235
; %bb.8222:                             ;   in Loop: Header=BB6_8099 Depth=2
	v_cmp_gt_i16_sdwa s40, v14, v43 src0_sel:BYTE_3 src1_sel:DWORD
	s_mov_b32 s13, 0
	s_and_saveexec_b32 s41, s40
	s_xor_b32 s40, exec_lo, s41
	s_cbranch_execz .LBB6_8701
; %bb.8223:                             ;   in Loop: Header=BB6_8099 Depth=2
	v_cmp_eq_u16_sdwa s42, v14, v44 src0_sel:BYTE_3 src1_sel:DWORD
	s_mov_b32 s13, -1
	s_and_saveexec_b32 s41, s42
; %bb.8224:                             ;   in Loop: Header=BB6_8099 Depth=2
	s_xor_b32 s13, exec_lo, -1
; %bb.8225:                             ;   in Loop: Header=BB6_8099 Depth=2
	s_or_b32 exec_lo, exec_lo, s41
	s_and_b32 s13, s13, exec_lo
	s_or_saveexec_b32 s40, s40
	v_mov_b32_e32 v34, 0x7f800001
	s_xor_b32 exec_lo, exec_lo, s40
	s_cbranch_execnz .LBB6_8702
.LBB6_8226:                             ;   in Loop: Header=BB6_8099 Depth=2
	s_or_b32 exec_lo, exec_lo, s40
	s_and_saveexec_b32 s40, s13
	s_cbranch_execz .LBB6_8228
.LBB6_8227:                             ;   in Loop: Header=BB6_8099 Depth=2
	v_bfe_u32 v2, v14, 24, 2
	v_bfe_u32 v35, v14, 26, 5
	v_ffbh_u32_e32 v3, v2
	v_cmp_eq_u32_e32 vcc_lo, 0, v35
	v_min_u32_e32 v3, 32, v3
	v_subrev_nc_u32_e32 v34, 29, v3
	v_sub_nc_u32_e32 v3, 30, v3
	v_lshlrev_b32_sdwa v34, v34, v14 dst_sel:DWORD dst_unused:UNUSED_PAD src0_sel:DWORD src1_sel:BYTE_3
	v_cndmask_b32_e32 v3, v35, v3, vcc_lo
	v_and_b32_e32 v14, 0x80000000, v14
	v_and_b32_e32 v34, 3, v34
	v_lshl_add_u32 v3, v3, 23, 0x37800000
	v_cndmask_b32_e32 v2, v2, v34, vcc_lo
	v_lshlrev_b32_e32 v2, 21, v2
	v_or3_b32 v34, v14, v3, v2
.LBB6_8228:                             ;   in Loop: Header=BB6_8099 Depth=2
	s_or_b32 exec_lo, exec_lo, s40
	v_cmp_gt_i16_sdwa s40, v10, v43 src0_sel:BYTE_3 src1_sel:DWORD
	s_mov_b32 s13, 0
	s_and_saveexec_b32 s41, s40
	s_xor_b32 s40, exec_lo, s41
	s_cbranch_execz .LBB6_8703
; %bb.8229:                             ;   in Loop: Header=BB6_8099 Depth=2
	v_cmp_eq_u16_sdwa s42, v10, v44 src0_sel:BYTE_3 src1_sel:DWORD
	s_mov_b32 s13, -1
	s_and_saveexec_b32 s41, s42
; %bb.8230:                             ;   in Loop: Header=BB6_8099 Depth=2
	s_xor_b32 s13, exec_lo, -1
; %bb.8231:                             ;   in Loop: Header=BB6_8099 Depth=2
	s_or_b32 exec_lo, exec_lo, s41
	s_and_b32 s13, s13, exec_lo
	s_or_saveexec_b32 s40, s40
	v_mov_b32_e32 v2, 0x7f800001
	s_xor_b32 exec_lo, exec_lo, s40
	s_cbranch_execnz .LBB6_8704
.LBB6_8232:                             ;   in Loop: Header=BB6_8099 Depth=2
	s_or_b32 exec_lo, exec_lo, s40
	s_and_saveexec_b32 s40, s13
.LBB6_8233:                             ;   in Loop: Header=BB6_8099 Depth=2
	v_mov_b32_e32 v2, v33
.LBB6_8234:                             ;   in Loop: Header=BB6_8099 Depth=2
	s_or_b32 exec_lo, exec_lo, s40
	v_max_f32_e32 v2, v2, v2
	v_max_f32_e32 v3, v34, v34
	v_min_f32_e32 v34, v3, v2
.LBB6_8235:                             ;   in Loop: Header=BB6_8099 Depth=2
	v_and_b32_e32 v2, 0x7f800000, v34
	v_mov_b32_e32 v14, 0x8000
	s_mov_b32 s40, exec_lo
	v_cmpx_ne_u32_e32 0x7f800000, v2
	s_cbranch_execz .LBB6_8243
; %bb.8236:                             ;   in Loop: Header=BB6_8099 Depth=2
	v_mov_b32_e32 v14, 0
	s_mov_b32 s41, exec_lo
	v_cmpx_ne_u32_e32 0, v34
	s_cbranch_execz .LBB6_8242
; %bb.8237:                             ;   in Loop: Header=BB6_8099 Depth=2
	v_bfe_u32 v2, v34, 23, 8
	v_and_b32_e32 v3, 0x7fffff, v34
	v_sub_nc_u32_e32 v10, 0x70, v2
	v_cmp_gt_u32_e32 vcc_lo, 0x71, v2
	v_or_b32_e32 v14, 0x800000, v3
	v_cndmask_b32_e32 v10, 0, v10, vcc_lo
	v_cmp_eq_u32_e32 vcc_lo, 0, v2
	v_add_nc_u32_e32 v2, 0xffffff91, v2
	v_cndmask_b32_e64 v10, v10, 0x6f, vcc_lo
	v_cndmask_b32_e32 v3, v14, v3, vcc_lo
	v_cndmask_b32_e64 v2, v2, 0xffffff92, vcc_lo
	v_lshl_add_u32 v33, 0x200000, v10, -1
	v_lshrrev_b32_e32 v14, v10, v3
	v_lshlrev_b32_e64 v36, v10, 0x100000
	v_add_nc_u32_e32 v2, v10, v2
	v_and_b32_e32 v3, v33, v3
	v_bfe_u32 v35, v14, 21, 1
	v_cmp_eq_u32_e64 s13, v3, v36
	v_add_nc_u32_e32 v33, -1, v35
	v_cndmask_b32_e64 v3, 0, v33, s13
	v_lshrrev_b32_e32 v33, 23, v14
	s_mov_b32 s13, exec_lo
	v_add_nc_u32_e32 v3, v3, v14
	v_and_b32_e32 v10, 0x1fffff, v3
	v_xor_b32_e32 v3, 1, v33
	v_add_nc_u32_e32 v14, v10, v14
                                        ; implicit-def: $vgpr10
	v_cmpx_ne_u32_e64 v2, v3
	s_xor_b32 s13, exec_lo, s13
; %bb.8238:                             ;   in Loop: Header=BB6_8099 Depth=2
	v_cmp_lt_u32_e32 vcc_lo, 0xffffff, v14
	v_sub_nc_u32_e32 v2, v2, v3
	v_cndmask_b32_e64 v3, 0, 1, vcc_lo
	v_add_co_ci_u32_e64 v10, null, 0, v2, vcc_lo
	v_lshrrev_b32_e32 v14, v3, v14
; %bb.8239:                             ;   in Loop: Header=BB6_8099 Depth=2
	s_andn2_saveexec_b32 s13, s13
; %bb.8240:                             ;   in Loop: Header=BB6_8099 Depth=2
	v_bfe_u32 v10, v14, 23, 1
; %bb.8241:                             ;   in Loop: Header=BB6_8099 Depth=2
	s_or_b32 exec_lo, exec_lo, s13
	v_lshrrev_b32_e32 v2, 21, v14
	v_min_i32_e32 v3, 31, v10
	v_cmp_gt_i32_e32 vcc_lo, 32, v10
	v_and_b32_sdwa v14, v34, v44 dst_sel:DWORD dst_unused:UNUSED_PAD src0_sel:BYTE_3 src1_sel:DWORD
	v_lshlrev_b32_e32 v3, 2, v3
	v_cndmask_b32_e32 v2, 3, v2, vcc_lo
	v_and_b32_e32 v3, 0xfc, v3
	v_and_b32_e32 v33, 3, v2
	v_or_b32_e32 v2, v10, v2
	v_or3_b32 v3, v14, v3, v33
	v_cmp_ne_u32_e32 vcc_lo, 0, v2
	v_lshlrev_b32_e32 v3, 8, v3
	v_cndmask_b32_e32 v14, 0, v3, vcc_lo
.LBB6_8242:                             ;   in Loop: Header=BB6_8099 Depth=2
	s_or_b32 exec_lo, exec_lo, s41
.LBB6_8243:                             ;   in Loop: Header=BB6_8099 Depth=2
	s_or_b32 exec_lo, exec_lo, s40
	v_and_b32_e32 v2, 3, v11
	v_bfe_u32 v33, v11, 2, 5
	v_lshlrev_b32_e32 v34, 24, v11
	v_cmp_gt_i16_sdwa s40, v15, v43 src0_sel:BYTE_0 src1_sel:DWORD
	s_mov_b32 s13, -1
	v_ffbh_u32_e32 v3, v2
	v_cmp_eq_u32_e32 vcc_lo, 0, v33
	v_min_u32_e32 v3, 32, v3
	v_subrev_nc_u32_e32 v10, 29, v3
	v_sub_nc_u32_e32 v3, 30, v3
	v_lshlrev_b32_e32 v10, v10, v11
	v_cndmask_b32_e32 v3, v33, v3, vcc_lo
	v_and_b32_e32 v10, 3, v10
	v_lshl_add_u32 v3, v3, 23, 0x37800000
	v_cndmask_b32_e32 v2, v2, v10, vcc_lo
	v_and_b32_e32 v10, 0x80000000, v34
	s_and_b32 vcc_lo, exec_lo, s29
                                        ; implicit-def: $vgpr34
	v_lshlrev_b32_e32 v2, 21, v2
	v_or3_b32 v10, v10, v3, v2
	s_cbranch_vccz .LBB6_8257
; %bb.8244:                             ;   in Loop: Header=BB6_8099 Depth=2
	s_mov_b32 s13, 0
	s_and_saveexec_b32 s41, s40
	s_xor_b32 s40, exec_lo, s41
	s_cbranch_execz .LBB6_8705
; %bb.8245:                             ;   in Loop: Header=BB6_8099 Depth=2
	v_cmp_eq_u16_sdwa s42, v15, v44 src0_sel:BYTE_0 src1_sel:DWORD
	s_mov_b32 s13, -1
	s_and_saveexec_b32 s41, s42
; %bb.8246:                             ;   in Loop: Header=BB6_8099 Depth=2
	s_xor_b32 s13, exec_lo, -1
; %bb.8247:                             ;   in Loop: Header=BB6_8099 Depth=2
	s_or_b32 exec_lo, exec_lo, s41
	s_and_b32 s13, s13, exec_lo
	s_or_saveexec_b32 s40, s40
	v_mov_b32_e32 v33, 0x7f800001
	s_xor_b32 exec_lo, exec_lo, s40
	s_cbranch_execnz .LBB6_8706
.LBB6_8248:                             ;   in Loop: Header=BB6_8099 Depth=2
	s_or_b32 exec_lo, exec_lo, s40
	s_and_saveexec_b32 s40, s13
	s_cbranch_execz .LBB6_8250
.LBB6_8249:                             ;   in Loop: Header=BB6_8099 Depth=2
	v_and_b32_e32 v2, 3, v15
	v_bfe_u32 v34, v15, 2, 5
	v_lshlrev_b32_e32 v35, 24, v15
	v_ffbh_u32_e32 v3, v2
	v_cmp_eq_u32_e32 vcc_lo, 0, v34
	v_min_u32_e32 v3, 32, v3
	v_subrev_nc_u32_e32 v33, 29, v3
	v_sub_nc_u32_e32 v3, 30, v3
	v_lshlrev_b32_e32 v33, v33, v15
	v_cndmask_b32_e32 v3, v34, v3, vcc_lo
	v_and_b32_e32 v33, 3, v33
	v_lshl_add_u32 v3, v3, 23, 0x37800000
	v_cndmask_b32_e32 v2, v2, v33, vcc_lo
	v_and_b32_e32 v33, 0x80000000, v35
	v_lshlrev_b32_e32 v2, 21, v2
	v_or3_b32 v33, v33, v3, v2
.LBB6_8250:                             ;   in Loop: Header=BB6_8099 Depth=2
	s_or_b32 exec_lo, exec_lo, s40
	v_cmp_gt_i16_sdwa s40, v11, v43 src0_sel:BYTE_0 src1_sel:DWORD
	s_mov_b32 s13, 0
	s_and_saveexec_b32 s41, s40
	s_xor_b32 s40, exec_lo, s41
	s_cbranch_execz .LBB6_8707
; %bb.8251:                             ;   in Loop: Header=BB6_8099 Depth=2
	v_cmp_eq_u16_sdwa s42, v11, v44 src0_sel:BYTE_0 src1_sel:DWORD
	s_mov_b32 s13, -1
	s_and_saveexec_b32 s41, s42
; %bb.8252:                             ;   in Loop: Header=BB6_8099 Depth=2
	s_xor_b32 s13, exec_lo, -1
; %bb.8253:                             ;   in Loop: Header=BB6_8099 Depth=2
	s_or_b32 exec_lo, exec_lo, s41
	s_and_b32 s13, s13, exec_lo
	s_or_saveexec_b32 s40, s40
	v_mov_b32_e32 v2, 0x7f800001
	s_xor_b32 exec_lo, exec_lo, s40
	s_cbranch_execnz .LBB6_8708
.LBB6_8254:                             ;   in Loop: Header=BB6_8099 Depth=2
	s_or_b32 exec_lo, exec_lo, s40
	s_and_saveexec_b32 s40, s13
.LBB6_8255:                             ;   in Loop: Header=BB6_8099 Depth=2
	v_mov_b32_e32 v2, v10
.LBB6_8256:                             ;   in Loop: Header=BB6_8099 Depth=2
	s_or_b32 exec_lo, exec_lo, s40
	v_max_f32_e32 v2, v2, v2
	v_max_f32_e32 v3, v33, v33
	s_mov_b32 s13, 0
	v_max_f32_e32 v34, v3, v2
.LBB6_8257:                             ;   in Loop: Header=BB6_8099 Depth=2
	s_and_b32 vcc_lo, exec_lo, s13
	s_cbranch_vccz .LBB6_8271
; %bb.8258:                             ;   in Loop: Header=BB6_8099 Depth=2
	v_cmp_gt_i16_sdwa s40, v15, v43 src0_sel:BYTE_0 src1_sel:DWORD
	s_mov_b32 s13, 0
	s_and_saveexec_b32 s41, s40
	s_xor_b32 s40, exec_lo, s41
	s_cbranch_execz .LBB6_8709
; %bb.8259:                             ;   in Loop: Header=BB6_8099 Depth=2
	v_cmp_eq_u16_sdwa s42, v15, v44 src0_sel:BYTE_0 src1_sel:DWORD
	s_mov_b32 s13, -1
	s_and_saveexec_b32 s41, s42
; %bb.8260:                             ;   in Loop: Header=BB6_8099 Depth=2
	s_xor_b32 s13, exec_lo, -1
; %bb.8261:                             ;   in Loop: Header=BB6_8099 Depth=2
	s_or_b32 exec_lo, exec_lo, s41
	s_and_b32 s13, s13, exec_lo
	s_or_saveexec_b32 s40, s40
	v_mov_b32_e32 v33, 0x7f800001
	s_xor_b32 exec_lo, exec_lo, s40
	s_cbranch_execnz .LBB6_8710
.LBB6_8262:                             ;   in Loop: Header=BB6_8099 Depth=2
	s_or_b32 exec_lo, exec_lo, s40
	s_and_saveexec_b32 s40, s13
	s_cbranch_execz .LBB6_8264
.LBB6_8263:                             ;   in Loop: Header=BB6_8099 Depth=2
	v_and_b32_e32 v2, 3, v15
	v_bfe_u32 v34, v15, 2, 5
	v_lshlrev_b32_e32 v35, 24, v15
	v_ffbh_u32_e32 v3, v2
	v_cmp_eq_u32_e32 vcc_lo, 0, v34
	v_min_u32_e32 v3, 32, v3
	v_subrev_nc_u32_e32 v33, 29, v3
	v_sub_nc_u32_e32 v3, 30, v3
	v_lshlrev_b32_e32 v33, v33, v15
	v_cndmask_b32_e32 v3, v34, v3, vcc_lo
	v_and_b32_e32 v33, 3, v33
	v_lshl_add_u32 v3, v3, 23, 0x37800000
	v_cndmask_b32_e32 v2, v2, v33, vcc_lo
	v_and_b32_e32 v33, 0x80000000, v35
	v_lshlrev_b32_e32 v2, 21, v2
	v_or3_b32 v33, v33, v3, v2
.LBB6_8264:                             ;   in Loop: Header=BB6_8099 Depth=2
	s_or_b32 exec_lo, exec_lo, s40
	v_cmp_gt_i16_sdwa s40, v11, v43 src0_sel:BYTE_0 src1_sel:DWORD
	s_mov_b32 s13, 0
	s_and_saveexec_b32 s41, s40
	s_xor_b32 s40, exec_lo, s41
	s_cbranch_execz .LBB6_8711
; %bb.8265:                             ;   in Loop: Header=BB6_8099 Depth=2
	v_cmp_eq_u16_sdwa s42, v11, v44 src0_sel:BYTE_0 src1_sel:DWORD
	s_mov_b32 s13, -1
	s_and_saveexec_b32 s41, s42
; %bb.8266:                             ;   in Loop: Header=BB6_8099 Depth=2
	s_xor_b32 s13, exec_lo, -1
; %bb.8267:                             ;   in Loop: Header=BB6_8099 Depth=2
	s_or_b32 exec_lo, exec_lo, s41
	s_and_b32 s13, s13, exec_lo
	s_or_saveexec_b32 s40, s40
	v_mov_b32_e32 v2, 0x7f800001
	s_xor_b32 exec_lo, exec_lo, s40
	s_cbranch_execnz .LBB6_8712
.LBB6_8268:                             ;   in Loop: Header=BB6_8099 Depth=2
	s_or_b32 exec_lo, exec_lo, s40
	s_and_saveexec_b32 s40, s13
.LBB6_8269:                             ;   in Loop: Header=BB6_8099 Depth=2
	v_mov_b32_e32 v2, v10
.LBB6_8270:                             ;   in Loop: Header=BB6_8099 Depth=2
	s_or_b32 exec_lo, exec_lo, s40
	v_max_f32_e32 v2, v2, v2
	v_max_f32_e32 v3, v33, v33
	v_min_f32_e32 v34, v3, v2
.LBB6_8271:                             ;   in Loop: Header=BB6_8099 Depth=2
	v_and_b32_e32 v2, 0x7f800000, v34
	v_mov_b32_e32 v33, 0x80
	s_mov_b32 s40, exec_lo
	v_cmpx_ne_u32_e32 0x7f800000, v2
	s_cbranch_execz .LBB6_8279
; %bb.8272:                             ;   in Loop: Header=BB6_8099 Depth=2
	v_mov_b32_e32 v33, 0
	s_mov_b32 s41, exec_lo
	v_cmpx_ne_u32_e32 0, v34
	s_cbranch_execz .LBB6_8278
; %bb.8273:                             ;   in Loop: Header=BB6_8099 Depth=2
	v_bfe_u32 v2, v34, 23, 8
	v_and_b32_e32 v3, 0x7fffff, v34
	v_sub_nc_u32_e32 v10, 0x70, v2
	v_cmp_gt_u32_e32 vcc_lo, 0x71, v2
	v_or_b32_e32 v33, 0x800000, v3
	v_cndmask_b32_e32 v10, 0, v10, vcc_lo
	v_cmp_eq_u32_e32 vcc_lo, 0, v2
	v_add_nc_u32_e32 v2, 0xffffff91, v2
	v_cndmask_b32_e64 v10, v10, 0x6f, vcc_lo
	v_cndmask_b32_e32 v3, v33, v3, vcc_lo
	v_cndmask_b32_e64 v2, v2, 0xffffff92, vcc_lo
	v_lshl_add_u32 v35, 0x200000, v10, -1
	v_lshrrev_b32_e32 v33, v10, v3
	v_lshlrev_b32_e64 v37, v10, 0x100000
	v_add_nc_u32_e32 v2, v10, v2
	v_and_b32_e32 v3, v35, v3
	v_bfe_u32 v36, v33, 21, 1
	v_cmp_eq_u32_e64 s13, v3, v37
	v_add_nc_u32_e32 v35, -1, v36
	v_cndmask_b32_e64 v3, 0, v35, s13
	v_lshrrev_b32_e32 v35, 23, v33
	s_mov_b32 s13, exec_lo
	v_add_nc_u32_e32 v3, v3, v33
	v_and_b32_e32 v10, 0x1fffff, v3
	v_xor_b32_e32 v3, 1, v35
	v_add_nc_u32_e32 v33, v10, v33
                                        ; implicit-def: $vgpr10
	v_cmpx_ne_u32_e64 v2, v3
	s_xor_b32 s13, exec_lo, s13
; %bb.8274:                             ;   in Loop: Header=BB6_8099 Depth=2
	v_cmp_lt_u32_e32 vcc_lo, 0xffffff, v33
	v_sub_nc_u32_e32 v2, v2, v3
	v_cndmask_b32_e64 v3, 0, 1, vcc_lo
	v_add_co_ci_u32_e64 v10, null, 0, v2, vcc_lo
	v_lshrrev_b32_e32 v33, v3, v33
; %bb.8275:                             ;   in Loop: Header=BB6_8099 Depth=2
	s_andn2_saveexec_b32 s13, s13
; %bb.8276:                             ;   in Loop: Header=BB6_8099 Depth=2
	v_bfe_u32 v10, v33, 23, 1
; %bb.8277:                             ;   in Loop: Header=BB6_8099 Depth=2
	s_or_b32 exec_lo, exec_lo, s13
	v_lshrrev_b32_e32 v2, 21, v33
	v_min_i32_e32 v3, 31, v10
	v_cmp_gt_i32_e32 vcc_lo, 32, v10
	v_and_b32_sdwa v33, v34, v44 dst_sel:DWORD dst_unused:UNUSED_PAD src0_sel:BYTE_3 src1_sel:DWORD
	v_lshlrev_b32_e32 v3, 2, v3
	v_cndmask_b32_e32 v2, 3, v2, vcc_lo
	v_and_b32_e32 v3, 0xfc, v3
	v_and_b32_e32 v34, 3, v2
	v_or_b32_e32 v2, v10, v2
	v_or3_b32 v3, v3, v33, v34
	v_cmp_ne_u32_e32 vcc_lo, 0, v2
	v_cndmask_b32_e32 v33, 0, v3, vcc_lo
.LBB6_8278:                             ;   in Loop: Header=BB6_8099 Depth=2
	s_or_b32 exec_lo, exec_lo, s41
.LBB6_8279:                             ;   in Loop: Header=BB6_8099 Depth=2
	s_or_b32 exec_lo, exec_lo, s40
	v_and_b32_sdwa v2, v45, v11 dst_sel:DWORD dst_unused:UNUSED_PAD src0_sel:DWORD src1_sel:BYTE_1
	v_cmp_gt_i16_sdwa s40, v15, v43 src0_sel:BYTE_1 src1_sel:DWORD
	s_mov_b32 s13, -1
	v_and_b32_e32 v3, 3, v2
	v_bfe_u32 v35, v2, 2, 5
	v_ffbh_u32_e32 v10, v3
	v_cmp_eq_u32_e32 vcc_lo, 0, v35
	v_min_u32_e32 v10, 32, v10
	v_subrev_nc_u32_e32 v34, 29, v10
	v_sub_nc_u32_e32 v10, 30, v10
	v_lshlrev_b32_e32 v2, v34, v2
	v_lshlrev_b32_sdwa v34, v47, v11 dst_sel:DWORD dst_unused:UNUSED_PAD src0_sel:DWORD src1_sel:BYTE_1
	v_cndmask_b32_e32 v10, v35, v10, vcc_lo
                                        ; implicit-def: $vgpr35
	v_and_b32_e32 v2, 3, v2
	v_lshl_add_u32 v10, v10, 23, 0x37800000
	v_cndmask_b32_e32 v2, v3, v2, vcc_lo
	v_and_b32_e32 v3, 0x80000000, v34
	s_and_b32 vcc_lo, exec_lo, s29
	v_lshlrev_b32_e32 v2, 21, v2
	v_or3_b32 v10, v3, v10, v2
	s_cbranch_vccz .LBB6_8293
; %bb.8280:                             ;   in Loop: Header=BB6_8099 Depth=2
	s_mov_b32 s13, 0
	s_and_saveexec_b32 s41, s40
	s_xor_b32 s40, exec_lo, s41
	s_cbranch_execz .LBB6_8713
; %bb.8281:                             ;   in Loop: Header=BB6_8099 Depth=2
	v_cmp_eq_u16_sdwa s42, v15, v44 src0_sel:BYTE_1 src1_sel:DWORD
	s_mov_b32 s13, -1
	s_and_saveexec_b32 s41, s42
; %bb.8282:                             ;   in Loop: Header=BB6_8099 Depth=2
	s_xor_b32 s13, exec_lo, -1
; %bb.8283:                             ;   in Loop: Header=BB6_8099 Depth=2
	s_or_b32 exec_lo, exec_lo, s41
	s_and_b32 s13, s13, exec_lo
	s_or_saveexec_b32 s40, s40
	v_mov_b32_e32 v34, 0x7f800001
	s_xor_b32 exec_lo, exec_lo, s40
	s_cbranch_execnz .LBB6_8714
.LBB6_8284:                             ;   in Loop: Header=BB6_8099 Depth=2
	s_or_b32 exec_lo, exec_lo, s40
	s_and_saveexec_b32 s40, s13
	s_cbranch_execz .LBB6_8286
.LBB6_8285:                             ;   in Loop: Header=BB6_8099 Depth=2
	v_and_b32_sdwa v2, v45, v15 dst_sel:DWORD dst_unused:UNUSED_PAD src0_sel:DWORD src1_sel:BYTE_1
	v_and_b32_e32 v3, 3, v2
	v_bfe_u32 v36, v2, 2, 5
	v_ffbh_u32_e32 v34, v3
	v_cmp_eq_u32_e32 vcc_lo, 0, v36
	v_min_u32_e32 v34, 32, v34
	v_subrev_nc_u32_e32 v35, 29, v34
	v_sub_nc_u32_e32 v34, 30, v34
	v_lshlrev_b32_e32 v2, v35, v2
	v_lshlrev_b32_e32 v35, 16, v15
	v_cndmask_b32_e32 v34, v36, v34, vcc_lo
	v_and_b32_e32 v2, 3, v2
	v_lshl_add_u32 v34, v34, 23, 0x37800000
	v_cndmask_b32_e32 v2, v3, v2, vcc_lo
	v_and_b32_e32 v3, 0x80000000, v35
	v_lshlrev_b32_e32 v2, 21, v2
	v_or3_b32 v34, v3, v34, v2
.LBB6_8286:                             ;   in Loop: Header=BB6_8099 Depth=2
	s_or_b32 exec_lo, exec_lo, s40
	v_cmp_gt_i16_sdwa s40, v11, v43 src0_sel:BYTE_1 src1_sel:DWORD
	s_mov_b32 s13, 0
	s_and_saveexec_b32 s41, s40
	s_xor_b32 s40, exec_lo, s41
	s_cbranch_execz .LBB6_8715
; %bb.8287:                             ;   in Loop: Header=BB6_8099 Depth=2
	v_cmp_eq_u16_sdwa s42, v11, v44 src0_sel:BYTE_1 src1_sel:DWORD
	s_mov_b32 s13, -1
	s_and_saveexec_b32 s41, s42
; %bb.8288:                             ;   in Loop: Header=BB6_8099 Depth=2
	s_xor_b32 s13, exec_lo, -1
; %bb.8289:                             ;   in Loop: Header=BB6_8099 Depth=2
	s_or_b32 exec_lo, exec_lo, s41
	s_and_b32 s13, s13, exec_lo
	s_or_saveexec_b32 s40, s40
	v_mov_b32_e32 v2, 0x7f800001
	s_xor_b32 exec_lo, exec_lo, s40
	s_cbranch_execnz .LBB6_8716
.LBB6_8290:                             ;   in Loop: Header=BB6_8099 Depth=2
	s_or_b32 exec_lo, exec_lo, s40
	s_and_saveexec_b32 s40, s13
.LBB6_8291:                             ;   in Loop: Header=BB6_8099 Depth=2
	v_mov_b32_e32 v2, v10
.LBB6_8292:                             ;   in Loop: Header=BB6_8099 Depth=2
	s_or_b32 exec_lo, exec_lo, s40
	v_max_f32_e32 v2, v2, v2
	v_max_f32_e32 v3, v34, v34
	s_mov_b32 s13, 0
	v_max_f32_e32 v35, v3, v2
.LBB6_8293:                             ;   in Loop: Header=BB6_8099 Depth=2
	s_and_b32 vcc_lo, exec_lo, s13
	s_cbranch_vccz .LBB6_8307
; %bb.8294:                             ;   in Loop: Header=BB6_8099 Depth=2
	v_cmp_gt_i16_sdwa s40, v15, v43 src0_sel:BYTE_1 src1_sel:DWORD
	s_mov_b32 s13, 0
	s_and_saveexec_b32 s41, s40
	s_xor_b32 s40, exec_lo, s41
	s_cbranch_execz .LBB6_8717
; %bb.8295:                             ;   in Loop: Header=BB6_8099 Depth=2
	v_cmp_eq_u16_sdwa s42, v15, v44 src0_sel:BYTE_1 src1_sel:DWORD
	s_mov_b32 s13, -1
	s_and_saveexec_b32 s41, s42
; %bb.8296:                             ;   in Loop: Header=BB6_8099 Depth=2
	s_xor_b32 s13, exec_lo, -1
; %bb.8297:                             ;   in Loop: Header=BB6_8099 Depth=2
	s_or_b32 exec_lo, exec_lo, s41
	s_and_b32 s13, s13, exec_lo
	s_or_saveexec_b32 s40, s40
	v_mov_b32_e32 v34, 0x7f800001
	s_xor_b32 exec_lo, exec_lo, s40
	s_cbranch_execnz .LBB6_8718
.LBB6_8298:                             ;   in Loop: Header=BB6_8099 Depth=2
	s_or_b32 exec_lo, exec_lo, s40
	s_and_saveexec_b32 s40, s13
	s_cbranch_execz .LBB6_8300
.LBB6_8299:                             ;   in Loop: Header=BB6_8099 Depth=2
	v_and_b32_sdwa v2, v45, v15 dst_sel:DWORD dst_unused:UNUSED_PAD src0_sel:DWORD src1_sel:BYTE_1
	v_and_b32_e32 v3, 3, v2
	v_bfe_u32 v36, v2, 2, 5
	v_ffbh_u32_e32 v34, v3
	v_cmp_eq_u32_e32 vcc_lo, 0, v36
	v_min_u32_e32 v34, 32, v34
	v_subrev_nc_u32_e32 v35, 29, v34
	v_sub_nc_u32_e32 v34, 30, v34
	v_lshlrev_b32_e32 v2, v35, v2
	v_lshlrev_b32_e32 v35, 16, v15
	v_cndmask_b32_e32 v34, v36, v34, vcc_lo
	v_and_b32_e32 v2, 3, v2
	v_lshl_add_u32 v34, v34, 23, 0x37800000
	v_cndmask_b32_e32 v2, v3, v2, vcc_lo
	v_and_b32_e32 v3, 0x80000000, v35
	v_lshlrev_b32_e32 v2, 21, v2
	v_or3_b32 v34, v3, v34, v2
.LBB6_8300:                             ;   in Loop: Header=BB6_8099 Depth=2
	s_or_b32 exec_lo, exec_lo, s40
	v_cmp_gt_i16_sdwa s40, v11, v43 src0_sel:BYTE_1 src1_sel:DWORD
	s_mov_b32 s13, 0
	s_and_saveexec_b32 s41, s40
	s_xor_b32 s40, exec_lo, s41
	s_cbranch_execz .LBB6_8719
; %bb.8301:                             ;   in Loop: Header=BB6_8099 Depth=2
	v_cmp_eq_u16_sdwa s42, v11, v44 src0_sel:BYTE_1 src1_sel:DWORD
	s_mov_b32 s13, -1
	s_and_saveexec_b32 s41, s42
; %bb.8302:                             ;   in Loop: Header=BB6_8099 Depth=2
	s_xor_b32 s13, exec_lo, -1
; %bb.8303:                             ;   in Loop: Header=BB6_8099 Depth=2
	s_or_b32 exec_lo, exec_lo, s41
	s_and_b32 s13, s13, exec_lo
	s_or_saveexec_b32 s40, s40
	v_mov_b32_e32 v2, 0x7f800001
	s_xor_b32 exec_lo, exec_lo, s40
	s_cbranch_execnz .LBB6_8720
.LBB6_8304:                             ;   in Loop: Header=BB6_8099 Depth=2
	s_or_b32 exec_lo, exec_lo, s40
	s_and_saveexec_b32 s40, s13
.LBB6_8305:                             ;   in Loop: Header=BB6_8099 Depth=2
	v_mov_b32_e32 v2, v10
.LBB6_8306:                             ;   in Loop: Header=BB6_8099 Depth=2
	s_or_b32 exec_lo, exec_lo, s40
	v_max_f32_e32 v2, v2, v2
	v_max_f32_e32 v3, v34, v34
	v_min_f32_e32 v35, v3, v2
.LBB6_8307:                             ;   in Loop: Header=BB6_8099 Depth=2
	v_and_b32_e32 v2, 0x7f800000, v35
	v_mov_b32_e32 v34, 0x8000
	s_mov_b32 s40, exec_lo
	v_cmpx_ne_u32_e32 0x7f800000, v2
	s_cbranch_execz .LBB6_8315
; %bb.8308:                             ;   in Loop: Header=BB6_8099 Depth=2
	v_mov_b32_e32 v34, 0
	s_mov_b32 s41, exec_lo
	v_cmpx_ne_u32_e32 0, v35
	s_cbranch_execz .LBB6_8314
; %bb.8309:                             ;   in Loop: Header=BB6_8099 Depth=2
	v_bfe_u32 v2, v35, 23, 8
	v_and_b32_e32 v3, 0x7fffff, v35
	v_sub_nc_u32_e32 v10, 0x70, v2
	v_cmp_gt_u32_e32 vcc_lo, 0x71, v2
	v_or_b32_e32 v34, 0x800000, v3
	v_cndmask_b32_e32 v10, 0, v10, vcc_lo
	v_cmp_eq_u32_e32 vcc_lo, 0, v2
	v_add_nc_u32_e32 v2, 0xffffff91, v2
	v_cndmask_b32_e64 v10, v10, 0x6f, vcc_lo
	v_cndmask_b32_e32 v3, v34, v3, vcc_lo
	v_cndmask_b32_e64 v2, v2, 0xffffff92, vcc_lo
	v_lshl_add_u32 v36, 0x200000, v10, -1
	v_lshrrev_b32_e32 v34, v10, v3
	v_lshlrev_b32_e64 v38, v10, 0x100000
	v_add_nc_u32_e32 v2, v10, v2
	v_and_b32_e32 v3, v36, v3
	v_bfe_u32 v37, v34, 21, 1
	v_cmp_eq_u32_e64 s13, v3, v38
	v_add_nc_u32_e32 v36, -1, v37
	v_cndmask_b32_e64 v3, 0, v36, s13
	v_lshrrev_b32_e32 v36, 23, v34
	s_mov_b32 s13, exec_lo
	v_add_nc_u32_e32 v3, v3, v34
	v_and_b32_e32 v10, 0x1fffff, v3
	v_xor_b32_e32 v3, 1, v36
	v_add_nc_u32_e32 v34, v10, v34
                                        ; implicit-def: $vgpr10
	v_cmpx_ne_u32_e64 v2, v3
	s_xor_b32 s13, exec_lo, s13
; %bb.8310:                             ;   in Loop: Header=BB6_8099 Depth=2
	v_cmp_lt_u32_e32 vcc_lo, 0xffffff, v34
	v_sub_nc_u32_e32 v2, v2, v3
	v_cndmask_b32_e64 v3, 0, 1, vcc_lo
	v_add_co_ci_u32_e64 v10, null, 0, v2, vcc_lo
	v_lshrrev_b32_e32 v34, v3, v34
; %bb.8311:                             ;   in Loop: Header=BB6_8099 Depth=2
	s_andn2_saveexec_b32 s13, s13
; %bb.8312:                             ;   in Loop: Header=BB6_8099 Depth=2
	v_bfe_u32 v10, v34, 23, 1
; %bb.8313:                             ;   in Loop: Header=BB6_8099 Depth=2
	s_or_b32 exec_lo, exec_lo, s13
	v_lshrrev_b32_e32 v2, 21, v34
	v_min_i32_e32 v3, 31, v10
	v_cmp_gt_i32_e32 vcc_lo, 32, v10
	v_and_b32_sdwa v34, v35, v44 dst_sel:DWORD dst_unused:UNUSED_PAD src0_sel:BYTE_3 src1_sel:DWORD
	v_lshlrev_b32_e32 v3, 2, v3
	v_cndmask_b32_e32 v2, 3, v2, vcc_lo
	v_and_b32_e32 v3, 0xfc, v3
	v_and_b32_e32 v35, 3, v2
	v_or_b32_e32 v2, v10, v2
	v_or3_b32 v3, v34, v3, v35
	v_cmp_ne_u32_e32 vcc_lo, 0, v2
	v_lshlrev_b32_e32 v3, 8, v3
	v_cndmask_b32_e32 v34, 0, v3, vcc_lo
.LBB6_8314:                             ;   in Loop: Header=BB6_8099 Depth=2
	s_or_b32 exec_lo, exec_lo, s41
.LBB6_8315:                             ;   in Loop: Header=BB6_8099 Depth=2
	s_or_b32 exec_lo, exec_lo, s40
	v_bfe_u32 v2, v11, 16, 2
	v_bfe_u32 v35, v11, 18, 5
	v_lshlrev_b32_e32 v36, 8, v11
	s_mov_b32 s40, -1
	v_ffbh_u32_e32 v3, v2
	v_cmp_eq_u32_e32 vcc_lo, 0, v35
	v_min_u32_e32 v3, 32, v3
	v_subrev_nc_u32_e32 v10, 29, v3
	v_sub_nc_u32_e32 v3, 30, v3
	v_lshlrev_b32_sdwa v10, v10, v11 dst_sel:DWORD dst_unused:UNUSED_PAD src0_sel:DWORD src1_sel:WORD_1
	v_cndmask_b32_e32 v3, v35, v3, vcc_lo
	v_and_b32_sdwa v35, v15, v46 dst_sel:DWORD dst_unused:UNUSED_PAD src0_sel:WORD_1 src1_sel:DWORD
	v_and_b32_e32 v10, 3, v10
	v_lshl_add_u32 v3, v3, 23, 0x37800000
	v_cmp_lt_i16_e64 s13, 0x7f, v35
	v_cndmask_b32_e32 v2, v2, v10, vcc_lo
	v_and_b32_e32 v10, 0x80000000, v36
	s_and_b32 vcc_lo, exec_lo, s29
                                        ; implicit-def: $vgpr36
	v_lshlrev_b32_e32 v2, 21, v2
	v_or3_b32 v10, v10, v3, v2
	s_cbranch_vccz .LBB6_8329
; %bb.8316:                             ;   in Loop: Header=BB6_8099 Depth=2
	s_mov_b32 s40, 0
	s_and_saveexec_b32 s41, s13
	s_xor_b32 s13, exec_lo, s41
	s_cbranch_execz .LBB6_8721
; %bb.8317:                             ;   in Loop: Header=BB6_8099 Depth=2
	s_mov_b32 s40, -1
	s_mov_b32 s41, exec_lo
	v_cmpx_eq_u16_e32 0x80, v35
; %bb.8318:                             ;   in Loop: Header=BB6_8099 Depth=2
	s_xor_b32 s40, exec_lo, -1
; %bb.8319:                             ;   in Loop: Header=BB6_8099 Depth=2
	s_or_b32 exec_lo, exec_lo, s41
	s_and_b32 s40, s40, exec_lo
	s_or_saveexec_b32 s13, s13
	v_mov_b32_e32 v36, 0x7f800001
	s_xor_b32 exec_lo, exec_lo, s13
	s_cbranch_execnz .LBB6_8722
.LBB6_8320:                             ;   in Loop: Header=BB6_8099 Depth=2
	s_or_b32 exec_lo, exec_lo, s13
	s_and_saveexec_b32 s13, s40
	s_cbranch_execz .LBB6_8322
.LBB6_8321:                             ;   in Loop: Header=BB6_8099 Depth=2
	v_bfe_u32 v2, v15, 16, 2
	v_bfe_u32 v37, v15, 18, 5
	v_lshlrev_b32_sdwa v38, v47, v15 dst_sel:DWORD dst_unused:UNUSED_PAD src0_sel:DWORD src1_sel:WORD_1
	v_ffbh_u32_e32 v3, v2
	v_cmp_eq_u32_e32 vcc_lo, 0, v37
	v_min_u32_e32 v3, 32, v3
	v_subrev_nc_u32_e32 v36, 29, v3
	v_sub_nc_u32_e32 v3, 30, v3
	v_lshlrev_b32_sdwa v36, v36, v15 dst_sel:DWORD dst_unused:UNUSED_PAD src0_sel:DWORD src1_sel:WORD_1
	v_cndmask_b32_e32 v3, v37, v3, vcc_lo
	v_and_b32_e32 v36, 3, v36
	v_lshl_add_u32 v3, v3, 23, 0x37800000
	v_cndmask_b32_e32 v2, v2, v36, vcc_lo
	v_and_b32_e32 v36, 0x80000000, v38
	v_lshlrev_b32_e32 v2, 21, v2
	v_or3_b32 v36, v36, v3, v2
.LBB6_8322:                             ;   in Loop: Header=BB6_8099 Depth=2
	s_or_b32 exec_lo, exec_lo, s13
	v_and_b32_sdwa v3, v11, v46 dst_sel:DWORD dst_unused:UNUSED_PAD src0_sel:WORD_1 src1_sel:DWORD
	s_mov_b32 s13, 0
	s_mov_b32 s40, exec_lo
	v_cmpx_lt_i16_e32 0x7f, v3
	s_xor_b32 s40, exec_lo, s40
	s_cbranch_execz .LBB6_8723
; %bb.8323:                             ;   in Loop: Header=BB6_8099 Depth=2
	s_mov_b32 s13, -1
	s_mov_b32 s41, exec_lo
	v_cmpx_eq_u16_e32 0x80, v3
; %bb.8324:                             ;   in Loop: Header=BB6_8099 Depth=2
	s_xor_b32 s13, exec_lo, -1
; %bb.8325:                             ;   in Loop: Header=BB6_8099 Depth=2
	s_or_b32 exec_lo, exec_lo, s41
	s_and_b32 s13, s13, exec_lo
                                        ; implicit-def: $vgpr3
	s_or_saveexec_b32 s40, s40
	v_mov_b32_e32 v2, 0x7f800001
	s_xor_b32 exec_lo, exec_lo, s40
	s_cbranch_execnz .LBB6_8724
.LBB6_8326:                             ;   in Loop: Header=BB6_8099 Depth=2
	s_or_b32 exec_lo, exec_lo, s40
	s_and_saveexec_b32 s40, s13
.LBB6_8327:                             ;   in Loop: Header=BB6_8099 Depth=2
	v_mov_b32_e32 v2, v10
.LBB6_8328:                             ;   in Loop: Header=BB6_8099 Depth=2
	s_or_b32 exec_lo, exec_lo, s40
	v_max_f32_e32 v2, v2, v2
	v_max_f32_e32 v3, v36, v36
	s_mov_b32 s40, 0
	v_max_f32_e32 v36, v3, v2
.LBB6_8329:                             ;   in Loop: Header=BB6_8099 Depth=2
	s_and_b32 vcc_lo, exec_lo, s40
	s_cbranch_vccz .LBB6_8343
; %bb.8330:                             ;   in Loop: Header=BB6_8099 Depth=2
	s_mov_b32 s13, 0
	s_mov_b32 s40, exec_lo
	v_cmpx_lt_i16_e32 0x7f, v35
	s_xor_b32 s40, exec_lo, s40
	s_cbranch_execz .LBB6_8725
; %bb.8331:                             ;   in Loop: Header=BB6_8099 Depth=2
	s_mov_b32 s13, -1
	s_mov_b32 s41, exec_lo
	v_cmpx_eq_u16_e32 0x80, v35
; %bb.8332:                             ;   in Loop: Header=BB6_8099 Depth=2
	s_xor_b32 s13, exec_lo, -1
; %bb.8333:                             ;   in Loop: Header=BB6_8099 Depth=2
	s_or_b32 exec_lo, exec_lo, s41
	s_and_b32 s13, s13, exec_lo
                                        ; implicit-def: $vgpr35
	s_or_saveexec_b32 s40, s40
	v_mov_b32_e32 v36, 0x7f800001
	s_xor_b32 exec_lo, exec_lo, s40
	s_cbranch_execnz .LBB6_8726
.LBB6_8334:                             ;   in Loop: Header=BB6_8099 Depth=2
	s_or_b32 exec_lo, exec_lo, s40
	s_and_saveexec_b32 s40, s13
	s_cbranch_execz .LBB6_8336
.LBB6_8335:                             ;   in Loop: Header=BB6_8099 Depth=2
	v_bfe_u32 v2, v15, 16, 2
	v_bfe_u32 v36, v15, 18, 5
	v_lshlrev_b32_sdwa v37, v47, v15 dst_sel:DWORD dst_unused:UNUSED_PAD src0_sel:DWORD src1_sel:WORD_1
	v_ffbh_u32_e32 v3, v2
	v_cmp_eq_u32_e32 vcc_lo, 0, v36
	v_min_u32_e32 v3, 32, v3
	v_subrev_nc_u32_e32 v35, 29, v3
	v_sub_nc_u32_e32 v3, 30, v3
	v_lshlrev_b32_sdwa v35, v35, v15 dst_sel:DWORD dst_unused:UNUSED_PAD src0_sel:DWORD src1_sel:WORD_1
	v_cndmask_b32_e32 v3, v36, v3, vcc_lo
	v_and_b32_e32 v35, 3, v35
	v_lshl_add_u32 v3, v3, 23, 0x37800000
	v_cndmask_b32_e32 v2, v2, v35, vcc_lo
	v_and_b32_e32 v35, 0x80000000, v37
	v_lshlrev_b32_e32 v2, 21, v2
	v_or3_b32 v36, v35, v3, v2
.LBB6_8336:                             ;   in Loop: Header=BB6_8099 Depth=2
	s_or_b32 exec_lo, exec_lo, s40
	v_and_b32_sdwa v3, v11, v46 dst_sel:DWORD dst_unused:UNUSED_PAD src0_sel:WORD_1 src1_sel:DWORD
	s_mov_b32 s13, 0
	s_mov_b32 s40, exec_lo
	v_cmpx_lt_i16_e32 0x7f, v3
	s_xor_b32 s40, exec_lo, s40
	s_cbranch_execz .LBB6_8727
; %bb.8337:                             ;   in Loop: Header=BB6_8099 Depth=2
	s_mov_b32 s13, -1
	s_mov_b32 s41, exec_lo
	v_cmpx_eq_u16_e32 0x80, v3
; %bb.8338:                             ;   in Loop: Header=BB6_8099 Depth=2
	s_xor_b32 s13, exec_lo, -1
; %bb.8339:                             ;   in Loop: Header=BB6_8099 Depth=2
	s_or_b32 exec_lo, exec_lo, s41
	s_and_b32 s13, s13, exec_lo
                                        ; implicit-def: $vgpr3
	s_or_saveexec_b32 s40, s40
	v_mov_b32_e32 v2, 0x7f800001
	s_xor_b32 exec_lo, exec_lo, s40
	s_cbranch_execnz .LBB6_8728
.LBB6_8340:                             ;   in Loop: Header=BB6_8099 Depth=2
	s_or_b32 exec_lo, exec_lo, s40
	s_and_saveexec_b32 s40, s13
.LBB6_8341:                             ;   in Loop: Header=BB6_8099 Depth=2
	v_mov_b32_e32 v2, v10
.LBB6_8342:                             ;   in Loop: Header=BB6_8099 Depth=2
	s_or_b32 exec_lo, exec_lo, s40
	v_max_f32_e32 v2, v2, v2
	v_max_f32_e32 v3, v36, v36
	v_min_f32_e32 v36, v3, v2
.LBB6_8343:                             ;   in Loop: Header=BB6_8099 Depth=2
	v_and_b32_e32 v2, 0x7f800000, v36
	v_mov_b32_e32 v35, 0x80
	s_mov_b32 s40, exec_lo
	v_cmpx_ne_u32_e32 0x7f800000, v2
	s_cbranch_execz .LBB6_8351
; %bb.8344:                             ;   in Loop: Header=BB6_8099 Depth=2
	v_mov_b32_e32 v35, 0
	s_mov_b32 s41, exec_lo
	v_cmpx_ne_u32_e32 0, v36
	s_cbranch_execz .LBB6_8350
; %bb.8345:                             ;   in Loop: Header=BB6_8099 Depth=2
	v_bfe_u32 v2, v36, 23, 8
	v_and_b32_e32 v3, 0x7fffff, v36
	v_sub_nc_u32_e32 v10, 0x70, v2
	v_cmp_gt_u32_e32 vcc_lo, 0x71, v2
	v_or_b32_e32 v35, 0x800000, v3
	v_cndmask_b32_e32 v10, 0, v10, vcc_lo
	v_cmp_eq_u32_e32 vcc_lo, 0, v2
	v_add_nc_u32_e32 v2, 0xffffff91, v2
	v_cndmask_b32_e64 v10, v10, 0x6f, vcc_lo
	v_cndmask_b32_e32 v3, v35, v3, vcc_lo
	v_cndmask_b32_e64 v2, v2, 0xffffff92, vcc_lo
	v_lshl_add_u32 v37, 0x200000, v10, -1
	v_lshrrev_b32_e32 v35, v10, v3
	v_lshlrev_b32_e64 v39, v10, 0x100000
	v_add_nc_u32_e32 v2, v10, v2
	v_and_b32_e32 v3, v37, v3
	v_bfe_u32 v38, v35, 21, 1
	v_cmp_eq_u32_e64 s13, v3, v39
	v_add_nc_u32_e32 v37, -1, v38
	v_cndmask_b32_e64 v3, 0, v37, s13
	v_lshrrev_b32_e32 v37, 23, v35
	s_mov_b32 s13, exec_lo
	v_add_nc_u32_e32 v3, v3, v35
	v_and_b32_e32 v10, 0x1fffff, v3
	v_xor_b32_e32 v3, 1, v37
	v_add_nc_u32_e32 v35, v10, v35
                                        ; implicit-def: $vgpr10
	v_cmpx_ne_u32_e64 v2, v3
	s_xor_b32 s13, exec_lo, s13
; %bb.8346:                             ;   in Loop: Header=BB6_8099 Depth=2
	v_cmp_lt_u32_e32 vcc_lo, 0xffffff, v35
	v_sub_nc_u32_e32 v2, v2, v3
	v_cndmask_b32_e64 v3, 0, 1, vcc_lo
	v_add_co_ci_u32_e64 v10, null, 0, v2, vcc_lo
	v_lshrrev_b32_e32 v35, v3, v35
; %bb.8347:                             ;   in Loop: Header=BB6_8099 Depth=2
	s_andn2_saveexec_b32 s13, s13
; %bb.8348:                             ;   in Loop: Header=BB6_8099 Depth=2
	v_bfe_u32 v10, v35, 23, 1
; %bb.8349:                             ;   in Loop: Header=BB6_8099 Depth=2
	s_or_b32 exec_lo, exec_lo, s13
	v_lshrrev_b32_e32 v2, 21, v35
	v_min_i32_e32 v3, 31, v10
	v_cmp_gt_i32_e32 vcc_lo, 32, v10
	v_and_b32_sdwa v35, v36, v44 dst_sel:DWORD dst_unused:UNUSED_PAD src0_sel:BYTE_3 src1_sel:DWORD
	v_lshlrev_b32_e32 v3, 2, v3
	v_cndmask_b32_e32 v2, 3, v2, vcc_lo
	v_and_b32_e32 v3, 0xfc, v3
	v_and_b32_e32 v36, 3, v2
	v_or_b32_e32 v2, v10, v2
	v_or3_b32 v3, v3, v35, v36
	v_cmp_ne_u32_e32 vcc_lo, 0, v2
	v_cndmask_b32_e32 v35, 0, v3, vcc_lo
.LBB6_8350:                             ;   in Loop: Header=BB6_8099 Depth=2
	s_or_b32 exec_lo, exec_lo, s41
.LBB6_8351:                             ;   in Loop: Header=BB6_8099 Depth=2
	s_or_b32 exec_lo, exec_lo, s40
	v_bfe_u32 v2, v11, 24, 2
	v_bfe_u32 v36, v11, 26, 5
	v_cmp_gt_i16_sdwa s40, v15, v43 src0_sel:BYTE_3 src1_sel:DWORD
	s_mov_b32 s13, -1
	v_ffbh_u32_e32 v3, v2
	v_cmp_eq_u32_e32 vcc_lo, 0, v36
	v_min_u32_e32 v3, 32, v3
	v_subrev_nc_u32_e32 v10, 29, v3
	v_sub_nc_u32_e32 v3, 30, v3
	v_lshlrev_b32_sdwa v10, v10, v11 dst_sel:DWORD dst_unused:UNUSED_PAD src0_sel:DWORD src1_sel:BYTE_3
	v_cndmask_b32_e32 v3, v36, v3, vcc_lo
                                        ; implicit-def: $vgpr36
	v_and_b32_e32 v10, 3, v10
	v_lshl_add_u32 v3, v3, 23, 0x37800000
	v_cndmask_b32_e32 v2, v2, v10, vcc_lo
	v_and_b32_e32 v10, 0x80000000, v11
	s_and_b32 vcc_lo, exec_lo, s29
	v_lshlrev_b32_e32 v2, 21, v2
	v_or3_b32 v10, v10, v3, v2
	s_cbranch_vccz .LBB6_8365
; %bb.8352:                             ;   in Loop: Header=BB6_8099 Depth=2
	s_mov_b32 s13, 0
	s_and_saveexec_b32 s41, s40
	s_xor_b32 s40, exec_lo, s41
	s_cbranch_execz .LBB6_8729
; %bb.8353:                             ;   in Loop: Header=BB6_8099 Depth=2
	v_cmp_eq_u16_sdwa s42, v15, v44 src0_sel:BYTE_3 src1_sel:DWORD
	s_mov_b32 s13, -1
	s_and_saveexec_b32 s41, s42
; %bb.8354:                             ;   in Loop: Header=BB6_8099 Depth=2
	s_xor_b32 s13, exec_lo, -1
; %bb.8355:                             ;   in Loop: Header=BB6_8099 Depth=2
	s_or_b32 exec_lo, exec_lo, s41
	s_and_b32 s13, s13, exec_lo
	s_or_saveexec_b32 s40, s40
	v_mov_b32_e32 v36, 0x7f800001
	s_xor_b32 exec_lo, exec_lo, s40
	s_cbranch_execnz .LBB6_8730
.LBB6_8356:                             ;   in Loop: Header=BB6_8099 Depth=2
	s_or_b32 exec_lo, exec_lo, s40
	s_and_saveexec_b32 s40, s13
	s_cbranch_execz .LBB6_8358
.LBB6_8357:                             ;   in Loop: Header=BB6_8099 Depth=2
	v_bfe_u32 v2, v15, 24, 2
	v_bfe_u32 v37, v15, 26, 5
	v_ffbh_u32_e32 v3, v2
	v_cmp_eq_u32_e32 vcc_lo, 0, v37
	v_min_u32_e32 v3, 32, v3
	v_subrev_nc_u32_e32 v36, 29, v3
	v_sub_nc_u32_e32 v3, 30, v3
	v_lshlrev_b32_sdwa v36, v36, v15 dst_sel:DWORD dst_unused:UNUSED_PAD src0_sel:DWORD src1_sel:BYTE_3
	v_cndmask_b32_e32 v3, v37, v3, vcc_lo
	v_and_b32_e32 v36, 3, v36
	v_lshl_add_u32 v3, v3, 23, 0x37800000
	v_cndmask_b32_e32 v2, v2, v36, vcc_lo
	v_and_b32_e32 v36, 0x80000000, v15
	v_lshlrev_b32_e32 v2, 21, v2
	v_or3_b32 v36, v36, v3, v2
.LBB6_8358:                             ;   in Loop: Header=BB6_8099 Depth=2
	s_or_b32 exec_lo, exec_lo, s40
	v_cmp_gt_i16_sdwa s40, v11, v43 src0_sel:BYTE_3 src1_sel:DWORD
	s_mov_b32 s13, 0
	s_and_saveexec_b32 s41, s40
	s_xor_b32 s40, exec_lo, s41
	s_cbranch_execz .LBB6_8731
; %bb.8359:                             ;   in Loop: Header=BB6_8099 Depth=2
	v_cmp_eq_u16_sdwa s42, v11, v44 src0_sel:BYTE_3 src1_sel:DWORD
	s_mov_b32 s13, -1
	s_and_saveexec_b32 s41, s42
; %bb.8360:                             ;   in Loop: Header=BB6_8099 Depth=2
	s_xor_b32 s13, exec_lo, -1
; %bb.8361:                             ;   in Loop: Header=BB6_8099 Depth=2
	s_or_b32 exec_lo, exec_lo, s41
	s_and_b32 s13, s13, exec_lo
	s_or_saveexec_b32 s40, s40
	v_mov_b32_e32 v2, 0x7f800001
	s_xor_b32 exec_lo, exec_lo, s40
	s_cbranch_execnz .LBB6_8732
.LBB6_8362:                             ;   in Loop: Header=BB6_8099 Depth=2
	s_or_b32 exec_lo, exec_lo, s40
	s_and_saveexec_b32 s40, s13
.LBB6_8363:                             ;   in Loop: Header=BB6_8099 Depth=2
	v_mov_b32_e32 v2, v10
.LBB6_8364:                             ;   in Loop: Header=BB6_8099 Depth=2
	s_or_b32 exec_lo, exec_lo, s40
	v_max_f32_e32 v2, v2, v2
	v_max_f32_e32 v3, v36, v36
	s_mov_b32 s13, 0
	v_max_f32_e32 v36, v3, v2
.LBB6_8365:                             ;   in Loop: Header=BB6_8099 Depth=2
	s_and_b32 vcc_lo, exec_lo, s13
	s_cbranch_vccz .LBB6_8379
; %bb.8366:                             ;   in Loop: Header=BB6_8099 Depth=2
	v_cmp_gt_i16_sdwa s40, v15, v43 src0_sel:BYTE_3 src1_sel:DWORD
	s_mov_b32 s13, 0
	s_and_saveexec_b32 s41, s40
	s_xor_b32 s40, exec_lo, s41
	s_cbranch_execz .LBB6_8733
; %bb.8367:                             ;   in Loop: Header=BB6_8099 Depth=2
	v_cmp_eq_u16_sdwa s42, v15, v44 src0_sel:BYTE_3 src1_sel:DWORD
	s_mov_b32 s13, -1
	s_and_saveexec_b32 s41, s42
; %bb.8368:                             ;   in Loop: Header=BB6_8099 Depth=2
	s_xor_b32 s13, exec_lo, -1
; %bb.8369:                             ;   in Loop: Header=BB6_8099 Depth=2
	s_or_b32 exec_lo, exec_lo, s41
	s_and_b32 s13, s13, exec_lo
	s_or_saveexec_b32 s40, s40
	v_mov_b32_e32 v36, 0x7f800001
	s_xor_b32 exec_lo, exec_lo, s40
	s_cbranch_execnz .LBB6_8734
.LBB6_8370:                             ;   in Loop: Header=BB6_8099 Depth=2
	s_or_b32 exec_lo, exec_lo, s40
	s_and_saveexec_b32 s40, s13
	s_cbranch_execz .LBB6_8372
.LBB6_8371:                             ;   in Loop: Header=BB6_8099 Depth=2
	v_bfe_u32 v2, v15, 24, 2
	v_bfe_u32 v37, v15, 26, 5
	v_ffbh_u32_e32 v3, v2
	v_cmp_eq_u32_e32 vcc_lo, 0, v37
	v_min_u32_e32 v3, 32, v3
	v_subrev_nc_u32_e32 v36, 29, v3
	v_sub_nc_u32_e32 v3, 30, v3
	v_lshlrev_b32_sdwa v36, v36, v15 dst_sel:DWORD dst_unused:UNUSED_PAD src0_sel:DWORD src1_sel:BYTE_3
	v_cndmask_b32_e32 v3, v37, v3, vcc_lo
	v_and_b32_e32 v15, 0x80000000, v15
	v_and_b32_e32 v36, 3, v36
	v_lshl_add_u32 v3, v3, 23, 0x37800000
	v_cndmask_b32_e32 v2, v2, v36, vcc_lo
	v_lshlrev_b32_e32 v2, 21, v2
	v_or3_b32 v36, v15, v3, v2
.LBB6_8372:                             ;   in Loop: Header=BB6_8099 Depth=2
	s_or_b32 exec_lo, exec_lo, s40
	v_cmp_gt_i16_sdwa s40, v11, v43 src0_sel:BYTE_3 src1_sel:DWORD
	s_mov_b32 s13, 0
	s_and_saveexec_b32 s41, s40
	s_xor_b32 s40, exec_lo, s41
	s_cbranch_execz .LBB6_8735
; %bb.8373:                             ;   in Loop: Header=BB6_8099 Depth=2
	v_cmp_eq_u16_sdwa s42, v11, v44 src0_sel:BYTE_3 src1_sel:DWORD
	s_mov_b32 s13, -1
	s_and_saveexec_b32 s41, s42
; %bb.8374:                             ;   in Loop: Header=BB6_8099 Depth=2
	s_xor_b32 s13, exec_lo, -1
; %bb.8375:                             ;   in Loop: Header=BB6_8099 Depth=2
	s_or_b32 exec_lo, exec_lo, s41
	s_and_b32 s13, s13, exec_lo
	s_or_saveexec_b32 s40, s40
	v_mov_b32_e32 v2, 0x7f800001
	s_xor_b32 exec_lo, exec_lo, s40
	s_cbranch_execnz .LBB6_8736
.LBB6_8376:                             ;   in Loop: Header=BB6_8099 Depth=2
	s_or_b32 exec_lo, exec_lo, s40
	s_and_saveexec_b32 s40, s13
.LBB6_8377:                             ;   in Loop: Header=BB6_8099 Depth=2
	v_mov_b32_e32 v2, v10
.LBB6_8378:                             ;   in Loop: Header=BB6_8099 Depth=2
	s_or_b32 exec_lo, exec_lo, s40
	v_max_f32_e32 v2, v2, v2
	v_max_f32_e32 v3, v36, v36
	v_min_f32_e32 v36, v3, v2
.LBB6_8379:                             ;   in Loop: Header=BB6_8099 Depth=2
	v_and_b32_e32 v2, 0x7f800000, v36
	v_mov_b32_e32 v15, 0x8000
	s_mov_b32 s40, exec_lo
	v_cmpx_ne_u32_e32 0x7f800000, v2
	s_cbranch_execz .LBB6_8387
; %bb.8380:                             ;   in Loop: Header=BB6_8099 Depth=2
	v_mov_b32_e32 v15, 0
	s_mov_b32 s41, exec_lo
	v_cmpx_ne_u32_e32 0, v36
	s_cbranch_execz .LBB6_8386
; %bb.8381:                             ;   in Loop: Header=BB6_8099 Depth=2
	v_bfe_u32 v2, v36, 23, 8
	v_and_b32_e32 v3, 0x7fffff, v36
	v_sub_nc_u32_e32 v10, 0x70, v2
	v_cmp_gt_u32_e32 vcc_lo, 0x71, v2
	v_or_b32_e32 v11, 0x800000, v3
	v_cndmask_b32_e32 v10, 0, v10, vcc_lo
	v_cmp_eq_u32_e32 vcc_lo, 0, v2
	v_add_nc_u32_e32 v2, 0xffffff91, v2
	v_cndmask_b32_e64 v10, v10, 0x6f, vcc_lo
	v_cndmask_b32_e32 v3, v11, v3, vcc_lo
	v_cndmask_b32_e64 v2, v2, 0xffffff92, vcc_lo
	v_lshl_add_u32 v15, 0x200000, v10, -1
	v_lshrrev_b32_e32 v11, v10, v3
	v_lshlrev_b32_e64 v38, v10, 0x100000
	v_add_nc_u32_e32 v2, v10, v2
	v_and_b32_e32 v3, v15, v3
	v_bfe_u32 v37, v11, 21, 1
	v_cmp_eq_u32_e64 s13, v3, v38
	v_add_nc_u32_e32 v15, -1, v37
	v_cndmask_b32_e64 v3, 0, v15, s13
	v_lshrrev_b32_e32 v15, 23, v11
	s_mov_b32 s13, exec_lo
	v_add_nc_u32_e32 v3, v3, v11
	v_and_b32_e32 v10, 0x1fffff, v3
	v_xor_b32_e32 v3, 1, v15
	v_add_nc_u32_e32 v11, v10, v11
                                        ; implicit-def: $vgpr10
	v_cmpx_ne_u32_e64 v2, v3
	s_xor_b32 s13, exec_lo, s13
; %bb.8382:                             ;   in Loop: Header=BB6_8099 Depth=2
	v_cmp_lt_u32_e32 vcc_lo, 0xffffff, v11
	v_sub_nc_u32_e32 v2, v2, v3
	v_cndmask_b32_e64 v3, 0, 1, vcc_lo
	v_add_co_ci_u32_e64 v10, null, 0, v2, vcc_lo
	v_lshrrev_b32_e32 v11, v3, v11
; %bb.8383:                             ;   in Loop: Header=BB6_8099 Depth=2
	s_andn2_saveexec_b32 s13, s13
; %bb.8384:                             ;   in Loop: Header=BB6_8099 Depth=2
	v_bfe_u32 v10, v11, 23, 1
; %bb.8385:                             ;   in Loop: Header=BB6_8099 Depth=2
	s_or_b32 exec_lo, exec_lo, s13
	v_lshrrev_b32_e32 v2, 21, v11
	v_min_i32_e32 v3, 31, v10
	v_cmp_gt_i32_e32 vcc_lo, 32, v10
	v_and_b32_sdwa v11, v36, v44 dst_sel:DWORD dst_unused:UNUSED_PAD src0_sel:BYTE_3 src1_sel:DWORD
	v_lshlrev_b32_e32 v3, 2, v3
	v_cndmask_b32_e32 v2, 3, v2, vcc_lo
	v_and_b32_e32 v3, 0xfc, v3
	v_and_b32_e32 v15, 3, v2
	v_or_b32_e32 v2, v10, v2
	v_or3_b32 v3, v11, v3, v15
	v_cmp_ne_u32_e32 vcc_lo, 0, v2
	v_lshlrev_b32_e32 v3, 8, v3
	v_cndmask_b32_e32 v15, 0, v3, vcc_lo
.LBB6_8386:                             ;   in Loop: Header=BB6_8099 Depth=2
	s_or_b32 exec_lo, exec_lo, s41
.LBB6_8387:                             ;   in Loop: Header=BB6_8099 Depth=2
	s_or_b32 exec_lo, exec_lo, s40
	v_and_b32_e32 v2, 3, v12
	v_bfe_u32 v11, v12, 2, 5
	v_lshlrev_b32_e32 v36, 24, v12
	v_cmp_gt_i16_sdwa s40, v16, v43 src0_sel:BYTE_0 src1_sel:DWORD
	s_mov_b32 s13, -1
	v_ffbh_u32_e32 v3, v2
	v_cmp_eq_u32_e32 vcc_lo, 0, v11
	v_min_u32_e32 v3, 32, v3
	v_subrev_nc_u32_e32 v10, 29, v3
	v_sub_nc_u32_e32 v3, 30, v3
	v_lshlrev_b32_e32 v10, v10, v12
	v_cndmask_b32_e32 v3, v11, v3, vcc_lo
                                        ; implicit-def: $vgpr11
	v_and_b32_e32 v10, 3, v10
	v_lshl_add_u32 v3, v3, 23, 0x37800000
	v_cndmask_b32_e32 v2, v2, v10, vcc_lo
	v_and_b32_e32 v10, 0x80000000, v36
	s_and_b32 vcc_lo, exec_lo, s29
	v_lshlrev_b32_e32 v2, 21, v2
	v_or3_b32 v10, v10, v3, v2
	s_cbranch_vccz .LBB6_8401
; %bb.8388:                             ;   in Loop: Header=BB6_8099 Depth=2
	s_mov_b32 s13, 0
	s_and_saveexec_b32 s41, s40
	s_xor_b32 s40, exec_lo, s41
	s_cbranch_execz .LBB6_8737
; %bb.8389:                             ;   in Loop: Header=BB6_8099 Depth=2
	v_cmp_eq_u16_sdwa s42, v16, v44 src0_sel:BYTE_0 src1_sel:DWORD
	s_mov_b32 s13, -1
	s_and_saveexec_b32 s41, s42
; %bb.8390:                             ;   in Loop: Header=BB6_8099 Depth=2
	s_xor_b32 s13, exec_lo, -1
; %bb.8391:                             ;   in Loop: Header=BB6_8099 Depth=2
	s_or_b32 exec_lo, exec_lo, s41
	s_and_b32 s13, s13, exec_lo
	s_or_saveexec_b32 s40, s40
	v_mov_b32_e32 v11, 0x7f800001
	s_xor_b32 exec_lo, exec_lo, s40
	s_cbranch_execnz .LBB6_8738
.LBB6_8392:                             ;   in Loop: Header=BB6_8099 Depth=2
	s_or_b32 exec_lo, exec_lo, s40
	s_and_saveexec_b32 s40, s13
	s_cbranch_execz .LBB6_8394
.LBB6_8393:                             ;   in Loop: Header=BB6_8099 Depth=2
	v_and_b32_e32 v2, 3, v16
	v_bfe_u32 v36, v16, 2, 5
	v_lshlrev_b32_e32 v37, 24, v16
	v_ffbh_u32_e32 v3, v2
	v_cmp_eq_u32_e32 vcc_lo, 0, v36
	v_min_u32_e32 v3, 32, v3
	v_subrev_nc_u32_e32 v11, 29, v3
	v_sub_nc_u32_e32 v3, 30, v3
	v_lshlrev_b32_e32 v11, v11, v16
	v_cndmask_b32_e32 v3, v36, v3, vcc_lo
	v_and_b32_e32 v11, 3, v11
	v_lshl_add_u32 v3, v3, 23, 0x37800000
	v_cndmask_b32_e32 v2, v2, v11, vcc_lo
	v_and_b32_e32 v11, 0x80000000, v37
	v_lshlrev_b32_e32 v2, 21, v2
	v_or3_b32 v11, v11, v3, v2
.LBB6_8394:                             ;   in Loop: Header=BB6_8099 Depth=2
	s_or_b32 exec_lo, exec_lo, s40
	v_cmp_gt_i16_sdwa s40, v12, v43 src0_sel:BYTE_0 src1_sel:DWORD
	s_mov_b32 s13, 0
	s_and_saveexec_b32 s41, s40
	s_xor_b32 s40, exec_lo, s41
	s_cbranch_execz .LBB6_8739
; %bb.8395:                             ;   in Loop: Header=BB6_8099 Depth=2
	v_cmp_eq_u16_sdwa s42, v12, v44 src0_sel:BYTE_0 src1_sel:DWORD
	s_mov_b32 s13, -1
	s_and_saveexec_b32 s41, s42
; %bb.8396:                             ;   in Loop: Header=BB6_8099 Depth=2
	s_xor_b32 s13, exec_lo, -1
; %bb.8397:                             ;   in Loop: Header=BB6_8099 Depth=2
	s_or_b32 exec_lo, exec_lo, s41
	s_and_b32 s13, s13, exec_lo
	s_or_saveexec_b32 s40, s40
	v_mov_b32_e32 v2, 0x7f800001
	s_xor_b32 exec_lo, exec_lo, s40
	s_cbranch_execnz .LBB6_8740
.LBB6_8398:                             ;   in Loop: Header=BB6_8099 Depth=2
	s_or_b32 exec_lo, exec_lo, s40
	s_and_saveexec_b32 s40, s13
.LBB6_8399:                             ;   in Loop: Header=BB6_8099 Depth=2
	v_mov_b32_e32 v2, v10
.LBB6_8400:                             ;   in Loop: Header=BB6_8099 Depth=2
	s_or_b32 exec_lo, exec_lo, s40
	v_max_f32_e32 v2, v2, v2
	v_max_f32_e32 v3, v11, v11
	s_mov_b32 s13, 0
	v_max_f32_e32 v11, v3, v2
.LBB6_8401:                             ;   in Loop: Header=BB6_8099 Depth=2
	s_and_b32 vcc_lo, exec_lo, s13
	s_cbranch_vccz .LBB6_8415
; %bb.8402:                             ;   in Loop: Header=BB6_8099 Depth=2
	v_cmp_gt_i16_sdwa s40, v16, v43 src0_sel:BYTE_0 src1_sel:DWORD
	s_mov_b32 s13, 0
	s_and_saveexec_b32 s41, s40
	s_xor_b32 s40, exec_lo, s41
	s_cbranch_execz .LBB6_8741
; %bb.8403:                             ;   in Loop: Header=BB6_8099 Depth=2
	v_cmp_eq_u16_sdwa s42, v16, v44 src0_sel:BYTE_0 src1_sel:DWORD
	s_mov_b32 s13, -1
	s_and_saveexec_b32 s41, s42
; %bb.8404:                             ;   in Loop: Header=BB6_8099 Depth=2
	s_xor_b32 s13, exec_lo, -1
; %bb.8405:                             ;   in Loop: Header=BB6_8099 Depth=2
	s_or_b32 exec_lo, exec_lo, s41
	s_and_b32 s13, s13, exec_lo
	s_or_saveexec_b32 s40, s40
	v_mov_b32_e32 v11, 0x7f800001
	s_xor_b32 exec_lo, exec_lo, s40
	s_cbranch_execnz .LBB6_8742
.LBB6_8406:                             ;   in Loop: Header=BB6_8099 Depth=2
	s_or_b32 exec_lo, exec_lo, s40
	s_and_saveexec_b32 s40, s13
	s_cbranch_execz .LBB6_8408
.LBB6_8407:                             ;   in Loop: Header=BB6_8099 Depth=2
	v_and_b32_e32 v2, 3, v16
	v_bfe_u32 v36, v16, 2, 5
	v_lshlrev_b32_e32 v37, 24, v16
	v_ffbh_u32_e32 v3, v2
	v_cmp_eq_u32_e32 vcc_lo, 0, v36
	v_min_u32_e32 v3, 32, v3
	v_subrev_nc_u32_e32 v11, 29, v3
	v_sub_nc_u32_e32 v3, 30, v3
	v_lshlrev_b32_e32 v11, v11, v16
	v_cndmask_b32_e32 v3, v36, v3, vcc_lo
	v_and_b32_e32 v11, 3, v11
	v_lshl_add_u32 v3, v3, 23, 0x37800000
	v_cndmask_b32_e32 v2, v2, v11, vcc_lo
	v_and_b32_e32 v11, 0x80000000, v37
	v_lshlrev_b32_e32 v2, 21, v2
	v_or3_b32 v11, v11, v3, v2
.LBB6_8408:                             ;   in Loop: Header=BB6_8099 Depth=2
	s_or_b32 exec_lo, exec_lo, s40
	v_cmp_gt_i16_sdwa s40, v12, v43 src0_sel:BYTE_0 src1_sel:DWORD
	s_mov_b32 s13, 0
	s_and_saveexec_b32 s41, s40
	s_xor_b32 s40, exec_lo, s41
	s_cbranch_execz .LBB6_8743
; %bb.8409:                             ;   in Loop: Header=BB6_8099 Depth=2
	v_cmp_eq_u16_sdwa s42, v12, v44 src0_sel:BYTE_0 src1_sel:DWORD
	s_mov_b32 s13, -1
	s_and_saveexec_b32 s41, s42
; %bb.8410:                             ;   in Loop: Header=BB6_8099 Depth=2
	s_xor_b32 s13, exec_lo, -1
; %bb.8411:                             ;   in Loop: Header=BB6_8099 Depth=2
	s_or_b32 exec_lo, exec_lo, s41
	s_and_b32 s13, s13, exec_lo
	s_or_saveexec_b32 s40, s40
	v_mov_b32_e32 v2, 0x7f800001
	s_xor_b32 exec_lo, exec_lo, s40
	s_cbranch_execnz .LBB6_8744
.LBB6_8412:                             ;   in Loop: Header=BB6_8099 Depth=2
	s_or_b32 exec_lo, exec_lo, s40
	s_and_saveexec_b32 s40, s13
.LBB6_8413:                             ;   in Loop: Header=BB6_8099 Depth=2
	v_mov_b32_e32 v2, v10
.LBB6_8414:                             ;   in Loop: Header=BB6_8099 Depth=2
	s_or_b32 exec_lo, exec_lo, s40
	v_max_f32_e32 v2, v2, v2
	v_max_f32_e32 v3, v11, v11
	v_min_f32_e32 v11, v3, v2
.LBB6_8415:                             ;   in Loop: Header=BB6_8099 Depth=2
	v_and_b32_e32 v2, 0x7f800000, v11
	v_mov_b32_e32 v36, 0x80
	s_mov_b32 s40, exec_lo
	v_cmpx_ne_u32_e32 0x7f800000, v2
	s_cbranch_execz .LBB6_8423
; %bb.8416:                             ;   in Loop: Header=BB6_8099 Depth=2
	v_mov_b32_e32 v36, 0
	s_mov_b32 s41, exec_lo
	v_cmpx_ne_u32_e32 0, v11
	s_cbranch_execz .LBB6_8422
; %bb.8417:                             ;   in Loop: Header=BB6_8099 Depth=2
	v_bfe_u32 v2, v11, 23, 8
	v_and_b32_e32 v3, 0x7fffff, v11
	v_sub_nc_u32_e32 v10, 0x70, v2
	v_cmp_gt_u32_e32 vcc_lo, 0x71, v2
	v_or_b32_e32 v36, 0x800000, v3
	v_cndmask_b32_e32 v10, 0, v10, vcc_lo
	v_cmp_eq_u32_e32 vcc_lo, 0, v2
	v_add_nc_u32_e32 v2, 0xffffff91, v2
	v_cndmask_b32_e64 v10, v10, 0x6f, vcc_lo
	v_cndmask_b32_e32 v3, v36, v3, vcc_lo
	v_cndmask_b32_e64 v2, v2, 0xffffff92, vcc_lo
	v_lshl_add_u32 v37, 0x200000, v10, -1
	v_lshrrev_b32_e32 v36, v10, v3
	v_lshlrev_b32_e64 v39, v10, 0x100000
	v_add_nc_u32_e32 v2, v10, v2
	v_and_b32_e32 v3, v37, v3
	v_bfe_u32 v38, v36, 21, 1
	v_cmp_eq_u32_e64 s13, v3, v39
	v_add_nc_u32_e32 v37, -1, v38
	v_cndmask_b32_e64 v3, 0, v37, s13
	v_lshrrev_b32_e32 v37, 23, v36
	s_mov_b32 s13, exec_lo
	v_add_nc_u32_e32 v3, v3, v36
	v_and_b32_e32 v10, 0x1fffff, v3
	v_xor_b32_e32 v3, 1, v37
	v_add_nc_u32_e32 v36, v10, v36
                                        ; implicit-def: $vgpr10
	v_cmpx_ne_u32_e64 v2, v3
	s_xor_b32 s13, exec_lo, s13
; %bb.8418:                             ;   in Loop: Header=BB6_8099 Depth=2
	v_cmp_lt_u32_e32 vcc_lo, 0xffffff, v36
	v_sub_nc_u32_e32 v2, v2, v3
	v_cndmask_b32_e64 v3, 0, 1, vcc_lo
	v_add_co_ci_u32_e64 v10, null, 0, v2, vcc_lo
	v_lshrrev_b32_e32 v36, v3, v36
; %bb.8419:                             ;   in Loop: Header=BB6_8099 Depth=2
	s_andn2_saveexec_b32 s13, s13
; %bb.8420:                             ;   in Loop: Header=BB6_8099 Depth=2
	v_bfe_u32 v10, v36, 23, 1
; %bb.8421:                             ;   in Loop: Header=BB6_8099 Depth=2
	s_or_b32 exec_lo, exec_lo, s13
	v_lshrrev_b32_e32 v2, 21, v36
	v_min_i32_e32 v3, 31, v10
	v_cmp_gt_i32_e32 vcc_lo, 32, v10
	v_and_b32_sdwa v11, v11, v44 dst_sel:DWORD dst_unused:UNUSED_PAD src0_sel:BYTE_3 src1_sel:DWORD
	v_lshlrev_b32_e32 v3, 2, v3
	v_cndmask_b32_e32 v2, 3, v2, vcc_lo
	v_and_b32_e32 v3, 0xfc, v3
	v_and_b32_e32 v36, 3, v2
	v_or_b32_e32 v2, v10, v2
	v_or3_b32 v3, v3, v11, v36
	v_cmp_ne_u32_e32 vcc_lo, 0, v2
	v_cndmask_b32_e32 v36, 0, v3, vcc_lo
.LBB6_8422:                             ;   in Loop: Header=BB6_8099 Depth=2
	s_or_b32 exec_lo, exec_lo, s41
.LBB6_8423:                             ;   in Loop: Header=BB6_8099 Depth=2
	s_or_b32 exec_lo, exec_lo, s40
	v_and_b32_sdwa v2, v45, v12 dst_sel:DWORD dst_unused:UNUSED_PAD src0_sel:DWORD src1_sel:BYTE_1
	v_cmp_gt_i16_sdwa s40, v16, v43 src0_sel:BYTE_1 src1_sel:DWORD
	s_mov_b32 s13, -1
	v_and_b32_e32 v3, 3, v2
	v_bfe_u32 v37, v2, 2, 5
	v_ffbh_u32_e32 v10, v3
	v_cmp_eq_u32_e32 vcc_lo, 0, v37
	v_min_u32_e32 v10, 32, v10
	v_subrev_nc_u32_e32 v11, 29, v10
	v_sub_nc_u32_e32 v10, 30, v10
	v_lshlrev_b32_e32 v2, v11, v2
	v_lshlrev_b32_sdwa v11, v47, v12 dst_sel:DWORD dst_unused:UNUSED_PAD src0_sel:DWORD src1_sel:BYTE_1
	v_cndmask_b32_e32 v10, v37, v10, vcc_lo
	v_and_b32_e32 v2, 3, v2
	v_lshl_add_u32 v10, v10, 23, 0x37800000
	v_cndmask_b32_e32 v2, v3, v2, vcc_lo
	v_and_b32_e32 v3, 0x80000000, v11
	s_and_b32 vcc_lo, exec_lo, s29
                                        ; implicit-def: $vgpr11
	v_lshlrev_b32_e32 v2, 21, v2
	v_or3_b32 v10, v3, v10, v2
	s_cbranch_vccz .LBB6_8437
; %bb.8424:                             ;   in Loop: Header=BB6_8099 Depth=2
	s_mov_b32 s13, 0
	s_and_saveexec_b32 s41, s40
	s_xor_b32 s40, exec_lo, s41
	s_cbranch_execz .LBB6_8745
; %bb.8425:                             ;   in Loop: Header=BB6_8099 Depth=2
	v_cmp_eq_u16_sdwa s42, v16, v44 src0_sel:BYTE_1 src1_sel:DWORD
	s_mov_b32 s13, -1
	s_and_saveexec_b32 s41, s42
; %bb.8426:                             ;   in Loop: Header=BB6_8099 Depth=2
	s_xor_b32 s13, exec_lo, -1
; %bb.8427:                             ;   in Loop: Header=BB6_8099 Depth=2
	s_or_b32 exec_lo, exec_lo, s41
	s_and_b32 s13, s13, exec_lo
	s_or_saveexec_b32 s40, s40
	v_mov_b32_e32 v11, 0x7f800001
	s_xor_b32 exec_lo, exec_lo, s40
	s_cbranch_execnz .LBB6_8746
.LBB6_8428:                             ;   in Loop: Header=BB6_8099 Depth=2
	s_or_b32 exec_lo, exec_lo, s40
	s_and_saveexec_b32 s40, s13
	s_cbranch_execz .LBB6_8430
.LBB6_8429:                             ;   in Loop: Header=BB6_8099 Depth=2
	v_and_b32_sdwa v2, v45, v16 dst_sel:DWORD dst_unused:UNUSED_PAD src0_sel:DWORD src1_sel:BYTE_1
	v_and_b32_e32 v3, 3, v2
	v_bfe_u32 v38, v2, 2, 5
	v_ffbh_u32_e32 v11, v3
	v_cmp_eq_u32_e32 vcc_lo, 0, v38
	v_min_u32_e32 v11, 32, v11
	v_subrev_nc_u32_e32 v37, 29, v11
	v_sub_nc_u32_e32 v11, 30, v11
	v_lshlrev_b32_e32 v2, v37, v2
	v_lshlrev_b32_e32 v37, 16, v16
	v_cndmask_b32_e32 v11, v38, v11, vcc_lo
	v_and_b32_e32 v2, 3, v2
	v_lshl_add_u32 v11, v11, 23, 0x37800000
	v_cndmask_b32_e32 v2, v3, v2, vcc_lo
	v_and_b32_e32 v3, 0x80000000, v37
	v_lshlrev_b32_e32 v2, 21, v2
	v_or3_b32 v11, v3, v11, v2
.LBB6_8430:                             ;   in Loop: Header=BB6_8099 Depth=2
	s_or_b32 exec_lo, exec_lo, s40
	v_cmp_gt_i16_sdwa s40, v12, v43 src0_sel:BYTE_1 src1_sel:DWORD
	s_mov_b32 s13, 0
	s_and_saveexec_b32 s41, s40
	s_xor_b32 s40, exec_lo, s41
	s_cbranch_execz .LBB6_8747
; %bb.8431:                             ;   in Loop: Header=BB6_8099 Depth=2
	v_cmp_eq_u16_sdwa s42, v12, v44 src0_sel:BYTE_1 src1_sel:DWORD
	s_mov_b32 s13, -1
	s_and_saveexec_b32 s41, s42
; %bb.8432:                             ;   in Loop: Header=BB6_8099 Depth=2
	s_xor_b32 s13, exec_lo, -1
; %bb.8433:                             ;   in Loop: Header=BB6_8099 Depth=2
	s_or_b32 exec_lo, exec_lo, s41
	s_and_b32 s13, s13, exec_lo
	s_or_saveexec_b32 s40, s40
	v_mov_b32_e32 v2, 0x7f800001
	s_xor_b32 exec_lo, exec_lo, s40
	s_cbranch_execnz .LBB6_8748
.LBB6_8434:                             ;   in Loop: Header=BB6_8099 Depth=2
	s_or_b32 exec_lo, exec_lo, s40
	s_and_saveexec_b32 s40, s13
.LBB6_8435:                             ;   in Loop: Header=BB6_8099 Depth=2
	v_mov_b32_e32 v2, v10
.LBB6_8436:                             ;   in Loop: Header=BB6_8099 Depth=2
	s_or_b32 exec_lo, exec_lo, s40
	v_max_f32_e32 v2, v2, v2
	v_max_f32_e32 v3, v11, v11
	s_mov_b32 s13, 0
	v_max_f32_e32 v11, v3, v2
.LBB6_8437:                             ;   in Loop: Header=BB6_8099 Depth=2
	s_and_b32 vcc_lo, exec_lo, s13
	s_cbranch_vccz .LBB6_8451
; %bb.8438:                             ;   in Loop: Header=BB6_8099 Depth=2
	v_cmp_gt_i16_sdwa s40, v16, v43 src0_sel:BYTE_1 src1_sel:DWORD
	s_mov_b32 s13, 0
	s_and_saveexec_b32 s41, s40
	s_xor_b32 s40, exec_lo, s41
	s_cbranch_execz .LBB6_8749
; %bb.8439:                             ;   in Loop: Header=BB6_8099 Depth=2
	v_cmp_eq_u16_sdwa s42, v16, v44 src0_sel:BYTE_1 src1_sel:DWORD
	s_mov_b32 s13, -1
	s_and_saveexec_b32 s41, s42
; %bb.8440:                             ;   in Loop: Header=BB6_8099 Depth=2
	s_xor_b32 s13, exec_lo, -1
; %bb.8441:                             ;   in Loop: Header=BB6_8099 Depth=2
	s_or_b32 exec_lo, exec_lo, s41
	s_and_b32 s13, s13, exec_lo
	s_or_saveexec_b32 s40, s40
	v_mov_b32_e32 v11, 0x7f800001
	s_xor_b32 exec_lo, exec_lo, s40
	s_cbranch_execnz .LBB6_8750
.LBB6_8442:                             ;   in Loop: Header=BB6_8099 Depth=2
	s_or_b32 exec_lo, exec_lo, s40
	s_and_saveexec_b32 s40, s13
	s_cbranch_execz .LBB6_8444
.LBB6_8443:                             ;   in Loop: Header=BB6_8099 Depth=2
	v_and_b32_sdwa v2, v45, v16 dst_sel:DWORD dst_unused:UNUSED_PAD src0_sel:DWORD src1_sel:BYTE_1
	v_and_b32_e32 v3, 3, v2
	v_bfe_u32 v38, v2, 2, 5
	v_ffbh_u32_e32 v11, v3
	v_cmp_eq_u32_e32 vcc_lo, 0, v38
	v_min_u32_e32 v11, 32, v11
	v_subrev_nc_u32_e32 v37, 29, v11
	v_sub_nc_u32_e32 v11, 30, v11
	v_lshlrev_b32_e32 v2, v37, v2
	v_lshlrev_b32_e32 v37, 16, v16
	v_cndmask_b32_e32 v11, v38, v11, vcc_lo
	v_and_b32_e32 v2, 3, v2
	v_lshl_add_u32 v11, v11, 23, 0x37800000
	v_cndmask_b32_e32 v2, v3, v2, vcc_lo
	v_and_b32_e32 v3, 0x80000000, v37
	v_lshlrev_b32_e32 v2, 21, v2
	v_or3_b32 v11, v3, v11, v2
.LBB6_8444:                             ;   in Loop: Header=BB6_8099 Depth=2
	s_or_b32 exec_lo, exec_lo, s40
	v_cmp_gt_i16_sdwa s40, v12, v43 src0_sel:BYTE_1 src1_sel:DWORD
	s_mov_b32 s13, 0
	s_and_saveexec_b32 s41, s40
	s_xor_b32 s40, exec_lo, s41
	s_cbranch_execz .LBB6_8751
; %bb.8445:                             ;   in Loop: Header=BB6_8099 Depth=2
	v_cmp_eq_u16_sdwa s42, v12, v44 src0_sel:BYTE_1 src1_sel:DWORD
	s_mov_b32 s13, -1
	s_and_saveexec_b32 s41, s42
; %bb.8446:                             ;   in Loop: Header=BB6_8099 Depth=2
	s_xor_b32 s13, exec_lo, -1
; %bb.8447:                             ;   in Loop: Header=BB6_8099 Depth=2
	s_or_b32 exec_lo, exec_lo, s41
	s_and_b32 s13, s13, exec_lo
	s_or_saveexec_b32 s40, s40
	v_mov_b32_e32 v2, 0x7f800001
	s_xor_b32 exec_lo, exec_lo, s40
	s_cbranch_execnz .LBB6_8752
.LBB6_8448:                             ;   in Loop: Header=BB6_8099 Depth=2
	s_or_b32 exec_lo, exec_lo, s40
	s_and_saveexec_b32 s40, s13
.LBB6_8449:                             ;   in Loop: Header=BB6_8099 Depth=2
	v_mov_b32_e32 v2, v10
.LBB6_8450:                             ;   in Loop: Header=BB6_8099 Depth=2
	s_or_b32 exec_lo, exec_lo, s40
	v_max_f32_e32 v2, v2, v2
	v_max_f32_e32 v3, v11, v11
	v_min_f32_e32 v11, v3, v2
.LBB6_8451:                             ;   in Loop: Header=BB6_8099 Depth=2
	v_and_b32_e32 v2, 0x7f800000, v11
	v_mov_b32_e32 v37, 0x8000
	s_mov_b32 s40, exec_lo
	v_cmpx_ne_u32_e32 0x7f800000, v2
	s_cbranch_execz .LBB6_8459
; %bb.8452:                             ;   in Loop: Header=BB6_8099 Depth=2
	v_mov_b32_e32 v37, 0
	s_mov_b32 s41, exec_lo
	v_cmpx_ne_u32_e32 0, v11
	s_cbranch_execz .LBB6_8458
; %bb.8453:                             ;   in Loop: Header=BB6_8099 Depth=2
	v_bfe_u32 v2, v11, 23, 8
	v_and_b32_e32 v3, 0x7fffff, v11
	v_sub_nc_u32_e32 v10, 0x70, v2
	v_cmp_gt_u32_e32 vcc_lo, 0x71, v2
	v_or_b32_e32 v37, 0x800000, v3
	v_cndmask_b32_e32 v10, 0, v10, vcc_lo
	v_cmp_eq_u32_e32 vcc_lo, 0, v2
	v_add_nc_u32_e32 v2, 0xffffff91, v2
	v_cndmask_b32_e64 v10, v10, 0x6f, vcc_lo
	v_cndmask_b32_e32 v3, v37, v3, vcc_lo
	v_cndmask_b32_e64 v2, v2, 0xffffff92, vcc_lo
	v_lshl_add_u32 v38, 0x200000, v10, -1
	v_lshrrev_b32_e32 v37, v10, v3
	v_lshlrev_b32_e64 v48, v10, 0x100000
	v_add_nc_u32_e32 v2, v10, v2
	v_and_b32_e32 v3, v38, v3
	v_bfe_u32 v39, v37, 21, 1
	v_cmp_eq_u32_e64 s13, v3, v48
	v_add_nc_u32_e32 v38, -1, v39
	v_cndmask_b32_e64 v3, 0, v38, s13
	v_lshrrev_b32_e32 v38, 23, v37
	s_mov_b32 s13, exec_lo
	v_add_nc_u32_e32 v3, v3, v37
	v_and_b32_e32 v10, 0x1fffff, v3
	v_xor_b32_e32 v3, 1, v38
	v_add_nc_u32_e32 v37, v10, v37
                                        ; implicit-def: $vgpr10
	v_cmpx_ne_u32_e64 v2, v3
	s_xor_b32 s13, exec_lo, s13
; %bb.8454:                             ;   in Loop: Header=BB6_8099 Depth=2
	v_cmp_lt_u32_e32 vcc_lo, 0xffffff, v37
	v_sub_nc_u32_e32 v2, v2, v3
	v_cndmask_b32_e64 v3, 0, 1, vcc_lo
	v_add_co_ci_u32_e64 v10, null, 0, v2, vcc_lo
	v_lshrrev_b32_e32 v37, v3, v37
; %bb.8455:                             ;   in Loop: Header=BB6_8099 Depth=2
	s_andn2_saveexec_b32 s13, s13
; %bb.8456:                             ;   in Loop: Header=BB6_8099 Depth=2
	v_bfe_u32 v10, v37, 23, 1
; %bb.8457:                             ;   in Loop: Header=BB6_8099 Depth=2
	s_or_b32 exec_lo, exec_lo, s13
	v_lshrrev_b32_e32 v2, 21, v37
	v_min_i32_e32 v3, 31, v10
	v_cmp_gt_i32_e32 vcc_lo, 32, v10
	v_and_b32_sdwa v11, v11, v44 dst_sel:DWORD dst_unused:UNUSED_PAD src0_sel:BYTE_3 src1_sel:DWORD
	v_lshlrev_b32_e32 v3, 2, v3
	v_cndmask_b32_e32 v2, 3, v2, vcc_lo
	v_and_b32_e32 v3, 0xfc, v3
	v_and_b32_e32 v37, 3, v2
	v_or_b32_e32 v2, v10, v2
	v_or3_b32 v3, v11, v3, v37
	v_cmp_ne_u32_e32 vcc_lo, 0, v2
	v_lshlrev_b32_e32 v3, 8, v3
	v_cndmask_b32_e32 v37, 0, v3, vcc_lo
.LBB6_8458:                             ;   in Loop: Header=BB6_8099 Depth=2
	s_or_b32 exec_lo, exec_lo, s41
.LBB6_8459:                             ;   in Loop: Header=BB6_8099 Depth=2
	s_or_b32 exec_lo, exec_lo, s40
	v_bfe_u32 v2, v12, 16, 2
	v_bfe_u32 v11, v12, 18, 5
	v_lshlrev_b32_e32 v38, 8, v12
	s_mov_b32 s40, -1
                                        ; implicit-def: $vgpr39
	v_ffbh_u32_e32 v3, v2
	v_cmp_eq_u32_e32 vcc_lo, 0, v11
	v_min_u32_e32 v3, 32, v3
	v_subrev_nc_u32_e32 v10, 29, v3
	v_sub_nc_u32_e32 v3, 30, v3
	v_lshlrev_b32_sdwa v10, v10, v12 dst_sel:DWORD dst_unused:UNUSED_PAD src0_sel:DWORD src1_sel:WORD_1
	v_cndmask_b32_e32 v3, v11, v3, vcc_lo
	v_and_b32_sdwa v11, v16, v46 dst_sel:DWORD dst_unused:UNUSED_PAD src0_sel:WORD_1 src1_sel:DWORD
	v_and_b32_e32 v10, 3, v10
	v_lshl_add_u32 v3, v3, 23, 0x37800000
	v_cmp_lt_i16_e64 s13, 0x7f, v11
	v_cndmask_b32_e32 v2, v2, v10, vcc_lo
	v_and_b32_e32 v10, 0x80000000, v38
	s_and_b32 vcc_lo, exec_lo, s29
	v_lshlrev_b32_e32 v2, 21, v2
	v_or3_b32 v10, v10, v3, v2
	s_cbranch_vccz .LBB6_8473
; %bb.8460:                             ;   in Loop: Header=BB6_8099 Depth=2
	s_mov_b32 s40, 0
	s_and_saveexec_b32 s41, s13
	s_xor_b32 s13, exec_lo, s41
	s_cbranch_execz .LBB6_8753
; %bb.8461:                             ;   in Loop: Header=BB6_8099 Depth=2
	s_mov_b32 s40, -1
	s_mov_b32 s41, exec_lo
	v_cmpx_eq_u16_e32 0x80, v11
; %bb.8462:                             ;   in Loop: Header=BB6_8099 Depth=2
	s_xor_b32 s40, exec_lo, -1
; %bb.8463:                             ;   in Loop: Header=BB6_8099 Depth=2
	s_or_b32 exec_lo, exec_lo, s41
	s_and_b32 s40, s40, exec_lo
	s_or_saveexec_b32 s13, s13
	v_mov_b32_e32 v38, 0x7f800001
	s_xor_b32 exec_lo, exec_lo, s13
	s_cbranch_execnz .LBB6_8754
.LBB6_8464:                             ;   in Loop: Header=BB6_8099 Depth=2
	s_or_b32 exec_lo, exec_lo, s13
	s_and_saveexec_b32 s13, s40
	s_cbranch_execz .LBB6_8466
.LBB6_8465:                             ;   in Loop: Header=BB6_8099 Depth=2
	v_bfe_u32 v2, v16, 16, 2
	v_bfe_u32 v39, v16, 18, 5
	v_lshlrev_b32_sdwa v48, v47, v16 dst_sel:DWORD dst_unused:UNUSED_PAD src0_sel:DWORD src1_sel:WORD_1
	v_ffbh_u32_e32 v3, v2
	v_cmp_eq_u32_e32 vcc_lo, 0, v39
	v_min_u32_e32 v3, 32, v3
	v_subrev_nc_u32_e32 v38, 29, v3
	v_sub_nc_u32_e32 v3, 30, v3
	v_lshlrev_b32_sdwa v38, v38, v16 dst_sel:DWORD dst_unused:UNUSED_PAD src0_sel:DWORD src1_sel:WORD_1
	v_cndmask_b32_e32 v3, v39, v3, vcc_lo
	v_and_b32_e32 v38, 3, v38
	v_lshl_add_u32 v3, v3, 23, 0x37800000
	v_cndmask_b32_e32 v2, v2, v38, vcc_lo
	v_and_b32_e32 v38, 0x80000000, v48
	v_lshlrev_b32_e32 v2, 21, v2
	v_or3_b32 v38, v38, v3, v2
.LBB6_8466:                             ;   in Loop: Header=BB6_8099 Depth=2
	s_or_b32 exec_lo, exec_lo, s13
	v_and_b32_sdwa v3, v12, v46 dst_sel:DWORD dst_unused:UNUSED_PAD src0_sel:WORD_1 src1_sel:DWORD
	s_mov_b32 s13, 0
	s_mov_b32 s40, exec_lo
	v_cmpx_lt_i16_e32 0x7f, v3
	s_xor_b32 s40, exec_lo, s40
	s_cbranch_execz .LBB6_8755
; %bb.8467:                             ;   in Loop: Header=BB6_8099 Depth=2
	s_mov_b32 s13, -1
	s_mov_b32 s41, exec_lo
	v_cmpx_eq_u16_e32 0x80, v3
; %bb.8468:                             ;   in Loop: Header=BB6_8099 Depth=2
	s_xor_b32 s13, exec_lo, -1
; %bb.8469:                             ;   in Loop: Header=BB6_8099 Depth=2
	s_or_b32 exec_lo, exec_lo, s41
	s_and_b32 s13, s13, exec_lo
                                        ; implicit-def: $vgpr3
	s_or_saveexec_b32 s40, s40
	v_mov_b32_e32 v2, 0x7f800001
	s_xor_b32 exec_lo, exec_lo, s40
	s_cbranch_execnz .LBB6_8756
.LBB6_8470:                             ;   in Loop: Header=BB6_8099 Depth=2
	s_or_b32 exec_lo, exec_lo, s40
	s_and_saveexec_b32 s40, s13
.LBB6_8471:                             ;   in Loop: Header=BB6_8099 Depth=2
	v_mov_b32_e32 v2, v10
.LBB6_8472:                             ;   in Loop: Header=BB6_8099 Depth=2
	s_or_b32 exec_lo, exec_lo, s40
	v_max_f32_e32 v2, v2, v2
	v_max_f32_e32 v3, v38, v38
	s_mov_b32 s40, 0
	v_max_f32_e32 v39, v3, v2
.LBB6_8473:                             ;   in Loop: Header=BB6_8099 Depth=2
	s_and_b32 vcc_lo, exec_lo, s40
	s_cbranch_vccz .LBB6_8487
; %bb.8474:                             ;   in Loop: Header=BB6_8099 Depth=2
	s_mov_b32 s13, 0
	s_mov_b32 s40, exec_lo
	v_cmpx_lt_i16_e32 0x7f, v11
	s_xor_b32 s40, exec_lo, s40
	s_cbranch_execz .LBB6_8757
; %bb.8475:                             ;   in Loop: Header=BB6_8099 Depth=2
	s_mov_b32 s13, -1
	s_mov_b32 s41, exec_lo
	v_cmpx_eq_u16_e32 0x80, v11
; %bb.8476:                             ;   in Loop: Header=BB6_8099 Depth=2
	s_xor_b32 s13, exec_lo, -1
; %bb.8477:                             ;   in Loop: Header=BB6_8099 Depth=2
	s_or_b32 exec_lo, exec_lo, s41
	s_and_b32 s13, s13, exec_lo
                                        ; implicit-def: $vgpr11
	s_or_saveexec_b32 s40, s40
	v_mov_b32_e32 v38, 0x7f800001
	s_xor_b32 exec_lo, exec_lo, s40
	s_cbranch_execnz .LBB6_8758
.LBB6_8478:                             ;   in Loop: Header=BB6_8099 Depth=2
	s_or_b32 exec_lo, exec_lo, s40
	s_and_saveexec_b32 s40, s13
	s_cbranch_execz .LBB6_8480
.LBB6_8479:                             ;   in Loop: Header=BB6_8099 Depth=2
	v_bfe_u32 v2, v16, 16, 2
	v_bfe_u32 v38, v16, 18, 5
	v_lshlrev_b32_sdwa v39, v47, v16 dst_sel:DWORD dst_unused:UNUSED_PAD src0_sel:DWORD src1_sel:WORD_1
	v_ffbh_u32_e32 v3, v2
	v_cmp_eq_u32_e32 vcc_lo, 0, v38
	v_min_u32_e32 v3, 32, v3
	v_subrev_nc_u32_e32 v11, 29, v3
	v_sub_nc_u32_e32 v3, 30, v3
	v_lshlrev_b32_sdwa v11, v11, v16 dst_sel:DWORD dst_unused:UNUSED_PAD src0_sel:DWORD src1_sel:WORD_1
	v_cndmask_b32_e32 v3, v38, v3, vcc_lo
	v_and_b32_e32 v11, 3, v11
	v_lshl_add_u32 v3, v3, 23, 0x37800000
	v_cndmask_b32_e32 v2, v2, v11, vcc_lo
	v_and_b32_e32 v11, 0x80000000, v39
	v_lshlrev_b32_e32 v2, 21, v2
	v_or3_b32 v38, v11, v3, v2
.LBB6_8480:                             ;   in Loop: Header=BB6_8099 Depth=2
	s_or_b32 exec_lo, exec_lo, s40
	v_and_b32_sdwa v3, v12, v46 dst_sel:DWORD dst_unused:UNUSED_PAD src0_sel:WORD_1 src1_sel:DWORD
	s_mov_b32 s13, 0
	s_mov_b32 s40, exec_lo
	v_cmpx_lt_i16_e32 0x7f, v3
	s_xor_b32 s40, exec_lo, s40
	s_cbranch_execz .LBB6_8759
; %bb.8481:                             ;   in Loop: Header=BB6_8099 Depth=2
	s_mov_b32 s13, -1
	s_mov_b32 s41, exec_lo
	v_cmpx_eq_u16_e32 0x80, v3
; %bb.8482:                             ;   in Loop: Header=BB6_8099 Depth=2
	s_xor_b32 s13, exec_lo, -1
; %bb.8483:                             ;   in Loop: Header=BB6_8099 Depth=2
	s_or_b32 exec_lo, exec_lo, s41
	s_and_b32 s13, s13, exec_lo
                                        ; implicit-def: $vgpr3
	s_or_saveexec_b32 s40, s40
	v_mov_b32_e32 v2, 0x7f800001
	s_xor_b32 exec_lo, exec_lo, s40
	s_cbranch_execnz .LBB6_8760
.LBB6_8484:                             ;   in Loop: Header=BB6_8099 Depth=2
	s_or_b32 exec_lo, exec_lo, s40
	s_and_saveexec_b32 s40, s13
.LBB6_8485:                             ;   in Loop: Header=BB6_8099 Depth=2
	v_mov_b32_e32 v2, v10
.LBB6_8486:                             ;   in Loop: Header=BB6_8099 Depth=2
	s_or_b32 exec_lo, exec_lo, s40
	v_max_f32_e32 v2, v2, v2
	v_max_f32_e32 v3, v38, v38
	v_min_f32_e32 v39, v3, v2
.LBB6_8487:                             ;   in Loop: Header=BB6_8099 Depth=2
	v_and_b32_e32 v2, 0x7f800000, v39
	v_mov_b32_e32 v38, 0x80
	s_mov_b32 s40, exec_lo
	v_cmpx_ne_u32_e32 0x7f800000, v2
	s_cbranch_execz .LBB6_8495
; %bb.8488:                             ;   in Loop: Header=BB6_8099 Depth=2
	v_mov_b32_e32 v38, 0
	s_mov_b32 s41, exec_lo
	v_cmpx_ne_u32_e32 0, v39
	s_cbranch_execz .LBB6_8494
; %bb.8489:                             ;   in Loop: Header=BB6_8099 Depth=2
	v_bfe_u32 v2, v39, 23, 8
	v_and_b32_e32 v3, 0x7fffff, v39
	v_sub_nc_u32_e32 v10, 0x70, v2
	v_cmp_gt_u32_e32 vcc_lo, 0x71, v2
	v_or_b32_e32 v11, 0x800000, v3
	v_cndmask_b32_e32 v10, 0, v10, vcc_lo
	v_cmp_eq_u32_e32 vcc_lo, 0, v2
	v_add_nc_u32_e32 v2, 0xffffff91, v2
	v_cndmask_b32_e64 v10, v10, 0x6f, vcc_lo
	v_cndmask_b32_e32 v3, v11, v3, vcc_lo
	v_cndmask_b32_e64 v2, v2, 0xffffff92, vcc_lo
	v_lshl_add_u32 v38, 0x200000, v10, -1
	v_lshrrev_b32_e32 v11, v10, v3
	v_lshlrev_b32_e64 v49, v10, 0x100000
	v_add_nc_u32_e32 v2, v10, v2
	v_and_b32_e32 v3, v38, v3
	v_bfe_u32 v48, v11, 21, 1
	v_cmp_eq_u32_e64 s13, v3, v49
	v_add_nc_u32_e32 v38, -1, v48
	v_cndmask_b32_e64 v3, 0, v38, s13
	v_lshrrev_b32_e32 v38, 23, v11
	s_mov_b32 s13, exec_lo
	v_add_nc_u32_e32 v3, v3, v11
	v_and_b32_e32 v10, 0x1fffff, v3
	v_xor_b32_e32 v3, 1, v38
	v_add_nc_u32_e32 v11, v10, v11
                                        ; implicit-def: $vgpr10
	v_cmpx_ne_u32_e64 v2, v3
	s_xor_b32 s13, exec_lo, s13
; %bb.8490:                             ;   in Loop: Header=BB6_8099 Depth=2
	v_cmp_lt_u32_e32 vcc_lo, 0xffffff, v11
	v_sub_nc_u32_e32 v2, v2, v3
	v_cndmask_b32_e64 v3, 0, 1, vcc_lo
	v_add_co_ci_u32_e64 v10, null, 0, v2, vcc_lo
	v_lshrrev_b32_e32 v11, v3, v11
; %bb.8491:                             ;   in Loop: Header=BB6_8099 Depth=2
	s_andn2_saveexec_b32 s13, s13
; %bb.8492:                             ;   in Loop: Header=BB6_8099 Depth=2
	v_bfe_u32 v10, v11, 23, 1
; %bb.8493:                             ;   in Loop: Header=BB6_8099 Depth=2
	s_or_b32 exec_lo, exec_lo, s13
	v_lshrrev_b32_e32 v2, 21, v11
	v_min_i32_e32 v3, 31, v10
	v_cmp_gt_i32_e32 vcc_lo, 32, v10
	v_and_b32_sdwa v11, v39, v44 dst_sel:DWORD dst_unused:UNUSED_PAD src0_sel:BYTE_3 src1_sel:DWORD
	v_lshlrev_b32_e32 v3, 2, v3
	v_cndmask_b32_e32 v2, 3, v2, vcc_lo
	v_and_b32_e32 v3, 0xfc, v3
	v_and_b32_e32 v38, 3, v2
	v_or_b32_e32 v2, v10, v2
	v_or3_b32 v3, v3, v11, v38
	v_cmp_ne_u32_e32 vcc_lo, 0, v2
	v_cndmask_b32_e32 v38, 0, v3, vcc_lo
.LBB6_8494:                             ;   in Loop: Header=BB6_8099 Depth=2
	s_or_b32 exec_lo, exec_lo, s41
.LBB6_8495:                             ;   in Loop: Header=BB6_8099 Depth=2
	s_or_b32 exec_lo, exec_lo, s40
	v_bfe_u32 v2, v12, 24, 2
	v_bfe_u32 v11, v12, 26, 5
	v_cmp_gt_i16_sdwa s40, v16, v43 src0_sel:BYTE_3 src1_sel:DWORD
	s_mov_b32 s13, -1
	v_ffbh_u32_e32 v3, v2
	v_cmp_eq_u32_e32 vcc_lo, 0, v11
	v_min_u32_e32 v3, 32, v3
	v_subrev_nc_u32_e32 v10, 29, v3
	v_sub_nc_u32_e32 v3, 30, v3
	v_lshlrev_b32_sdwa v10, v10, v12 dst_sel:DWORD dst_unused:UNUSED_PAD src0_sel:DWORD src1_sel:BYTE_3
	v_cndmask_b32_e32 v3, v11, v3, vcc_lo
                                        ; implicit-def: $vgpr11
	v_and_b32_e32 v10, 3, v10
	v_lshl_add_u32 v3, v3, 23, 0x37800000
	v_cndmask_b32_e32 v2, v2, v10, vcc_lo
	v_and_b32_e32 v10, 0x80000000, v12
	s_and_b32 vcc_lo, exec_lo, s29
	v_lshlrev_b32_e32 v2, 21, v2
	v_or3_b32 v10, v10, v3, v2
	s_cbranch_vccz .LBB6_8509
; %bb.8496:                             ;   in Loop: Header=BB6_8099 Depth=2
	s_mov_b32 s13, 0
	s_and_saveexec_b32 s41, s40
	s_xor_b32 s40, exec_lo, s41
	s_cbranch_execz .LBB6_8761
; %bb.8497:                             ;   in Loop: Header=BB6_8099 Depth=2
	v_cmp_eq_u16_sdwa s42, v16, v44 src0_sel:BYTE_3 src1_sel:DWORD
	s_mov_b32 s13, -1
	s_and_saveexec_b32 s41, s42
; %bb.8498:                             ;   in Loop: Header=BB6_8099 Depth=2
	s_xor_b32 s13, exec_lo, -1
; %bb.8499:                             ;   in Loop: Header=BB6_8099 Depth=2
	s_or_b32 exec_lo, exec_lo, s41
	s_and_b32 s13, s13, exec_lo
	s_or_saveexec_b32 s40, s40
	v_mov_b32_e32 v11, 0x7f800001
	s_xor_b32 exec_lo, exec_lo, s40
	s_cbranch_execnz .LBB6_8762
.LBB6_8500:                             ;   in Loop: Header=BB6_8099 Depth=2
	s_or_b32 exec_lo, exec_lo, s40
	s_and_saveexec_b32 s40, s13
	s_cbranch_execz .LBB6_8502
.LBB6_8501:                             ;   in Loop: Header=BB6_8099 Depth=2
	v_bfe_u32 v2, v16, 24, 2
	v_bfe_u32 v39, v16, 26, 5
	v_ffbh_u32_e32 v3, v2
	v_cmp_eq_u32_e32 vcc_lo, 0, v39
	v_min_u32_e32 v3, 32, v3
	v_subrev_nc_u32_e32 v11, 29, v3
	v_sub_nc_u32_e32 v3, 30, v3
	v_lshlrev_b32_sdwa v11, v11, v16 dst_sel:DWORD dst_unused:UNUSED_PAD src0_sel:DWORD src1_sel:BYTE_3
	v_cndmask_b32_e32 v3, v39, v3, vcc_lo
	v_and_b32_e32 v11, 3, v11
	v_lshl_add_u32 v3, v3, 23, 0x37800000
	v_cndmask_b32_e32 v2, v2, v11, vcc_lo
	v_and_b32_e32 v11, 0x80000000, v16
	v_lshlrev_b32_e32 v2, 21, v2
	v_or3_b32 v11, v11, v3, v2
.LBB6_8502:                             ;   in Loop: Header=BB6_8099 Depth=2
	s_or_b32 exec_lo, exec_lo, s40
	v_cmp_gt_i16_sdwa s40, v12, v43 src0_sel:BYTE_3 src1_sel:DWORD
	s_mov_b32 s13, 0
	s_and_saveexec_b32 s41, s40
	s_xor_b32 s40, exec_lo, s41
	s_cbranch_execz .LBB6_8763
; %bb.8503:                             ;   in Loop: Header=BB6_8099 Depth=2
	v_cmp_eq_u16_sdwa s42, v12, v44 src0_sel:BYTE_3 src1_sel:DWORD
	s_mov_b32 s13, -1
	s_and_saveexec_b32 s41, s42
; %bb.8504:                             ;   in Loop: Header=BB6_8099 Depth=2
	s_xor_b32 s13, exec_lo, -1
; %bb.8505:                             ;   in Loop: Header=BB6_8099 Depth=2
	s_or_b32 exec_lo, exec_lo, s41
	s_and_b32 s13, s13, exec_lo
	s_or_saveexec_b32 s40, s40
	v_mov_b32_e32 v2, 0x7f800001
	s_xor_b32 exec_lo, exec_lo, s40
	s_cbranch_execnz .LBB6_8764
.LBB6_8506:                             ;   in Loop: Header=BB6_8099 Depth=2
	s_or_b32 exec_lo, exec_lo, s40
	s_and_saveexec_b32 s40, s13
.LBB6_8507:                             ;   in Loop: Header=BB6_8099 Depth=2
	v_mov_b32_e32 v2, v10
.LBB6_8508:                             ;   in Loop: Header=BB6_8099 Depth=2
	s_or_b32 exec_lo, exec_lo, s40
	v_max_f32_e32 v2, v2, v2
	v_max_f32_e32 v3, v11, v11
	s_mov_b32 s13, 0
	v_max_f32_e32 v11, v3, v2
.LBB6_8509:                             ;   in Loop: Header=BB6_8099 Depth=2
	s_and_b32 vcc_lo, exec_lo, s13
	s_cbranch_vccz .LBB6_8523
; %bb.8510:                             ;   in Loop: Header=BB6_8099 Depth=2
	v_cmp_gt_i16_sdwa s40, v16, v43 src0_sel:BYTE_3 src1_sel:DWORD
	s_mov_b32 s13, 0
	s_and_saveexec_b32 s41, s40
	s_xor_b32 s40, exec_lo, s41
	s_cbranch_execz .LBB6_8765
; %bb.8511:                             ;   in Loop: Header=BB6_8099 Depth=2
	v_cmp_eq_u16_sdwa s42, v16, v44 src0_sel:BYTE_3 src1_sel:DWORD
	s_mov_b32 s13, -1
	s_and_saveexec_b32 s41, s42
; %bb.8512:                             ;   in Loop: Header=BB6_8099 Depth=2
	s_xor_b32 s13, exec_lo, -1
; %bb.8513:                             ;   in Loop: Header=BB6_8099 Depth=2
	s_or_b32 exec_lo, exec_lo, s41
	s_and_b32 s13, s13, exec_lo
	s_or_saveexec_b32 s40, s40
	v_mov_b32_e32 v11, 0x7f800001
	s_xor_b32 exec_lo, exec_lo, s40
	s_cbranch_execnz .LBB6_8766
.LBB6_8514:                             ;   in Loop: Header=BB6_8099 Depth=2
	s_or_b32 exec_lo, exec_lo, s40
	s_and_saveexec_b32 s40, s13
	s_cbranch_execz .LBB6_8516
.LBB6_8515:                             ;   in Loop: Header=BB6_8099 Depth=2
	v_bfe_u32 v2, v16, 24, 2
	v_bfe_u32 v39, v16, 26, 5
	v_ffbh_u32_e32 v3, v2
	v_cmp_eq_u32_e32 vcc_lo, 0, v39
	v_min_u32_e32 v3, 32, v3
	v_subrev_nc_u32_e32 v11, 29, v3
	v_sub_nc_u32_e32 v3, 30, v3
	v_lshlrev_b32_sdwa v11, v11, v16 dst_sel:DWORD dst_unused:UNUSED_PAD src0_sel:DWORD src1_sel:BYTE_3
	v_cndmask_b32_e32 v3, v39, v3, vcc_lo
	v_and_b32_e32 v11, 3, v11
	v_lshl_add_u32 v3, v3, 23, 0x37800000
	v_cndmask_b32_e32 v2, v2, v11, vcc_lo
	v_and_b32_e32 v11, 0x80000000, v16
	v_lshlrev_b32_e32 v2, 21, v2
	v_or3_b32 v11, v11, v3, v2
.LBB6_8516:                             ;   in Loop: Header=BB6_8099 Depth=2
	s_or_b32 exec_lo, exec_lo, s40
	v_cmp_gt_i16_sdwa s40, v12, v43 src0_sel:BYTE_3 src1_sel:DWORD
	s_mov_b32 s13, 0
	s_and_saveexec_b32 s41, s40
	s_xor_b32 s40, exec_lo, s41
	s_cbranch_execz .LBB6_8767
; %bb.8517:                             ;   in Loop: Header=BB6_8099 Depth=2
	v_cmp_eq_u16_sdwa s42, v12, v44 src0_sel:BYTE_3 src1_sel:DWORD
	s_mov_b32 s13, -1
	s_and_saveexec_b32 s41, s42
; %bb.8518:                             ;   in Loop: Header=BB6_8099 Depth=2
	s_xor_b32 s13, exec_lo, -1
; %bb.8519:                             ;   in Loop: Header=BB6_8099 Depth=2
	s_or_b32 exec_lo, exec_lo, s41
	s_and_b32 s13, s13, exec_lo
	s_or_saveexec_b32 s40, s40
	v_mov_b32_e32 v2, 0x7f800001
	s_xor_b32 exec_lo, exec_lo, s40
	s_cbranch_execnz .LBB6_8768
.LBB6_8520:                             ;   in Loop: Header=BB6_8099 Depth=2
	s_or_b32 exec_lo, exec_lo, s40
	s_and_saveexec_b32 s40, s13
.LBB6_8521:                             ;   in Loop: Header=BB6_8099 Depth=2
	v_mov_b32_e32 v2, v10
.LBB6_8522:                             ;   in Loop: Header=BB6_8099 Depth=2
	s_or_b32 exec_lo, exec_lo, s40
	v_max_f32_e32 v2, v2, v2
	v_max_f32_e32 v3, v11, v11
	v_min_f32_e32 v11, v3, v2
.LBB6_8523:                             ;   in Loop: Header=BB6_8099 Depth=2
	v_and_b32_e32 v2, 0x7f800000, v11
	v_mov_b32_e32 v16, 0x8000
	s_mov_b32 s40, exec_lo
	v_cmpx_ne_u32_e32 0x7f800000, v2
	s_cbranch_execz .LBB6_8531
; %bb.8524:                             ;   in Loop: Header=BB6_8099 Depth=2
	v_mov_b32_e32 v16, 0
	s_mov_b32 s41, exec_lo
	v_cmpx_ne_u32_e32 0, v11
	s_cbranch_execz .LBB6_8530
; %bb.8525:                             ;   in Loop: Header=BB6_8099 Depth=2
	v_bfe_u32 v2, v11, 23, 8
	v_and_b32_e32 v3, 0x7fffff, v11
	v_sub_nc_u32_e32 v10, 0x70, v2
	v_cmp_gt_u32_e32 vcc_lo, 0x71, v2
	v_or_b32_e32 v12, 0x800000, v3
	v_cndmask_b32_e32 v10, 0, v10, vcc_lo
	v_cmp_eq_u32_e32 vcc_lo, 0, v2
	v_add_nc_u32_e32 v2, 0xffffff91, v2
	v_cndmask_b32_e64 v10, v10, 0x6f, vcc_lo
	v_cndmask_b32_e32 v3, v12, v3, vcc_lo
	v_cndmask_b32_e64 v2, v2, 0xffffff92, vcc_lo
	v_lshl_add_u32 v16, 0x200000, v10, -1
	v_lshrrev_b32_e32 v12, v10, v3
	v_lshlrev_b32_e64 v48, v10, 0x100000
	v_add_nc_u32_e32 v2, v10, v2
	v_and_b32_e32 v3, v16, v3
	v_bfe_u32 v39, v12, 21, 1
	v_cmp_eq_u32_e64 s13, v3, v48
	v_add_nc_u32_e32 v16, -1, v39
	v_cndmask_b32_e64 v3, 0, v16, s13
	v_lshrrev_b32_e32 v16, 23, v12
	s_mov_b32 s13, exec_lo
	v_add_nc_u32_e32 v3, v3, v12
	v_and_b32_e32 v10, 0x1fffff, v3
	v_xor_b32_e32 v3, 1, v16
	v_add_nc_u32_e32 v12, v10, v12
                                        ; implicit-def: $vgpr10
	v_cmpx_ne_u32_e64 v2, v3
	s_xor_b32 s13, exec_lo, s13
; %bb.8526:                             ;   in Loop: Header=BB6_8099 Depth=2
	v_cmp_lt_u32_e32 vcc_lo, 0xffffff, v12
	v_sub_nc_u32_e32 v2, v2, v3
	v_cndmask_b32_e64 v3, 0, 1, vcc_lo
	v_add_co_ci_u32_e64 v10, null, 0, v2, vcc_lo
	v_lshrrev_b32_e32 v12, v3, v12
; %bb.8527:                             ;   in Loop: Header=BB6_8099 Depth=2
	s_andn2_saveexec_b32 s13, s13
; %bb.8528:                             ;   in Loop: Header=BB6_8099 Depth=2
	v_bfe_u32 v10, v12, 23, 1
; %bb.8529:                             ;   in Loop: Header=BB6_8099 Depth=2
	s_or_b32 exec_lo, exec_lo, s13
	v_lshrrev_b32_e32 v2, 21, v12
	v_min_i32_e32 v3, 31, v10
	v_cmp_gt_i32_e32 vcc_lo, 32, v10
	v_and_b32_sdwa v11, v11, v44 dst_sel:DWORD dst_unused:UNUSED_PAD src0_sel:BYTE_3 src1_sel:DWORD
	v_lshlrev_b32_e32 v3, 2, v3
	v_cndmask_b32_e32 v2, 3, v2, vcc_lo
	v_and_b32_e32 v3, 0xfc, v3
	v_and_b32_e32 v12, 3, v2
	v_or_b32_e32 v2, v10, v2
	v_or3_b32 v3, v11, v3, v12
	v_cmp_ne_u32_e32 vcc_lo, 0, v2
	v_lshlrev_b32_e32 v3, 8, v3
	v_cndmask_b32_e32 v16, 0, v3, vcc_lo
.LBB6_8530:                             ;   in Loop: Header=BB6_8099 Depth=2
	s_or_b32 exec_lo, exec_lo, s41
.LBB6_8531:                             ;   in Loop: Header=BB6_8099 Depth=2
	s_or_b32 exec_lo, exec_lo, s40
	v_and_b32_e32 v2, 3, v13
	v_bfe_u32 v11, v13, 2, 5
	v_lshlrev_b32_e32 v12, 24, v13
	v_cmp_gt_i16_sdwa s40, v17, v43 src0_sel:BYTE_0 src1_sel:DWORD
	s_mov_b32 s13, -1
	v_ffbh_u32_e32 v3, v2
	v_cmp_eq_u32_e32 vcc_lo, 0, v11
	v_min_u32_e32 v3, 32, v3
	v_subrev_nc_u32_e32 v10, 29, v3
	v_sub_nc_u32_e32 v3, 30, v3
	v_lshlrev_b32_e32 v10, v10, v13
	v_cndmask_b32_e32 v3, v11, v3, vcc_lo
                                        ; implicit-def: $vgpr11
	v_and_b32_e32 v10, 3, v10
	v_lshl_add_u32 v3, v3, 23, 0x37800000
	v_cndmask_b32_e32 v2, v2, v10, vcc_lo
	v_and_b32_e32 v10, 0x80000000, v12
	s_and_b32 vcc_lo, exec_lo, s29
	v_lshlrev_b32_e32 v2, 21, v2
	v_or3_b32 v10, v10, v3, v2
	s_cbranch_vccz .LBB6_8545
; %bb.8532:                             ;   in Loop: Header=BB6_8099 Depth=2
	s_mov_b32 s13, 0
	s_and_saveexec_b32 s41, s40
	s_xor_b32 s40, exec_lo, s41
	s_cbranch_execz .LBB6_8769
; %bb.8533:                             ;   in Loop: Header=BB6_8099 Depth=2
	v_cmp_eq_u16_sdwa s42, v17, v44 src0_sel:BYTE_0 src1_sel:DWORD
	s_mov_b32 s13, -1
	s_and_saveexec_b32 s41, s42
; %bb.8534:                             ;   in Loop: Header=BB6_8099 Depth=2
	s_xor_b32 s13, exec_lo, -1
; %bb.8535:                             ;   in Loop: Header=BB6_8099 Depth=2
	s_or_b32 exec_lo, exec_lo, s41
	s_and_b32 s13, s13, exec_lo
	s_or_saveexec_b32 s40, s40
	v_mov_b32_e32 v11, 0x7f800001
	s_xor_b32 exec_lo, exec_lo, s40
	s_cbranch_execnz .LBB6_8770
.LBB6_8536:                             ;   in Loop: Header=BB6_8099 Depth=2
	s_or_b32 exec_lo, exec_lo, s40
	s_and_saveexec_b32 s40, s13
	s_cbranch_execz .LBB6_8538
.LBB6_8537:                             ;   in Loop: Header=BB6_8099 Depth=2
	v_and_b32_e32 v2, 3, v17
	v_bfe_u32 v12, v17, 2, 5
	v_lshlrev_b32_e32 v39, 24, v17
	v_ffbh_u32_e32 v3, v2
	v_cmp_eq_u32_e32 vcc_lo, 0, v12
	v_min_u32_e32 v3, 32, v3
	v_subrev_nc_u32_e32 v11, 29, v3
	v_sub_nc_u32_e32 v3, 30, v3
	v_lshlrev_b32_e32 v11, v11, v17
	v_cndmask_b32_e32 v3, v12, v3, vcc_lo
	v_and_b32_e32 v11, 3, v11
	v_lshl_add_u32 v3, v3, 23, 0x37800000
	v_cndmask_b32_e32 v2, v2, v11, vcc_lo
	v_and_b32_e32 v11, 0x80000000, v39
	v_lshlrev_b32_e32 v2, 21, v2
	v_or3_b32 v11, v11, v3, v2
.LBB6_8538:                             ;   in Loop: Header=BB6_8099 Depth=2
	s_or_b32 exec_lo, exec_lo, s40
	v_cmp_gt_i16_sdwa s40, v13, v43 src0_sel:BYTE_0 src1_sel:DWORD
	s_mov_b32 s13, 0
	s_and_saveexec_b32 s41, s40
	s_xor_b32 s40, exec_lo, s41
	s_cbranch_execz .LBB6_8771
; %bb.8539:                             ;   in Loop: Header=BB6_8099 Depth=2
	v_cmp_eq_u16_sdwa s42, v13, v44 src0_sel:BYTE_0 src1_sel:DWORD
	s_mov_b32 s13, -1
	s_and_saveexec_b32 s41, s42
; %bb.8540:                             ;   in Loop: Header=BB6_8099 Depth=2
	s_xor_b32 s13, exec_lo, -1
; %bb.8541:                             ;   in Loop: Header=BB6_8099 Depth=2
	s_or_b32 exec_lo, exec_lo, s41
	s_and_b32 s13, s13, exec_lo
	s_or_saveexec_b32 s40, s40
	v_mov_b32_e32 v2, 0x7f800001
	s_xor_b32 exec_lo, exec_lo, s40
	s_cbranch_execnz .LBB6_8772
.LBB6_8542:                             ;   in Loop: Header=BB6_8099 Depth=2
	s_or_b32 exec_lo, exec_lo, s40
	s_and_saveexec_b32 s40, s13
.LBB6_8543:                             ;   in Loop: Header=BB6_8099 Depth=2
	v_mov_b32_e32 v2, v10
.LBB6_8544:                             ;   in Loop: Header=BB6_8099 Depth=2
	s_or_b32 exec_lo, exec_lo, s40
	v_max_f32_e32 v2, v2, v2
	v_max_f32_e32 v3, v11, v11
	s_mov_b32 s13, 0
	v_max_f32_e32 v11, v3, v2
.LBB6_8545:                             ;   in Loop: Header=BB6_8099 Depth=2
	s_and_b32 vcc_lo, exec_lo, s13
	s_cbranch_vccz .LBB6_8559
; %bb.8546:                             ;   in Loop: Header=BB6_8099 Depth=2
	v_cmp_gt_i16_sdwa s40, v17, v43 src0_sel:BYTE_0 src1_sel:DWORD
	s_mov_b32 s13, 0
	s_and_saveexec_b32 s41, s40
	s_xor_b32 s40, exec_lo, s41
	s_cbranch_execz .LBB6_8773
; %bb.8547:                             ;   in Loop: Header=BB6_8099 Depth=2
	v_cmp_eq_u16_sdwa s42, v17, v44 src0_sel:BYTE_0 src1_sel:DWORD
	s_mov_b32 s13, -1
	s_and_saveexec_b32 s41, s42
; %bb.8548:                             ;   in Loop: Header=BB6_8099 Depth=2
	s_xor_b32 s13, exec_lo, -1
; %bb.8549:                             ;   in Loop: Header=BB6_8099 Depth=2
	s_or_b32 exec_lo, exec_lo, s41
	s_and_b32 s13, s13, exec_lo
	s_or_saveexec_b32 s40, s40
	v_mov_b32_e32 v11, 0x7f800001
	s_xor_b32 exec_lo, exec_lo, s40
	s_cbranch_execnz .LBB6_8774
.LBB6_8550:                             ;   in Loop: Header=BB6_8099 Depth=2
	s_or_b32 exec_lo, exec_lo, s40
	s_and_saveexec_b32 s40, s13
	s_cbranch_execz .LBB6_8552
.LBB6_8551:                             ;   in Loop: Header=BB6_8099 Depth=2
	v_and_b32_e32 v2, 3, v17
	v_bfe_u32 v12, v17, 2, 5
	v_lshlrev_b32_e32 v39, 24, v17
	v_ffbh_u32_e32 v3, v2
	v_cmp_eq_u32_e32 vcc_lo, 0, v12
	v_min_u32_e32 v3, 32, v3
	v_subrev_nc_u32_e32 v11, 29, v3
	v_sub_nc_u32_e32 v3, 30, v3
	v_lshlrev_b32_e32 v11, v11, v17
	v_cndmask_b32_e32 v3, v12, v3, vcc_lo
	v_and_b32_e32 v11, 3, v11
	v_lshl_add_u32 v3, v3, 23, 0x37800000
	v_cndmask_b32_e32 v2, v2, v11, vcc_lo
	v_and_b32_e32 v11, 0x80000000, v39
	v_lshlrev_b32_e32 v2, 21, v2
	v_or3_b32 v11, v11, v3, v2
.LBB6_8552:                             ;   in Loop: Header=BB6_8099 Depth=2
	s_or_b32 exec_lo, exec_lo, s40
	v_cmp_gt_i16_sdwa s40, v13, v43 src0_sel:BYTE_0 src1_sel:DWORD
	s_mov_b32 s13, 0
	s_and_saveexec_b32 s41, s40
	s_xor_b32 s40, exec_lo, s41
	s_cbranch_execz .LBB6_8775
; %bb.8553:                             ;   in Loop: Header=BB6_8099 Depth=2
	v_cmp_eq_u16_sdwa s42, v13, v44 src0_sel:BYTE_0 src1_sel:DWORD
	s_mov_b32 s13, -1
	s_and_saveexec_b32 s41, s42
; %bb.8554:                             ;   in Loop: Header=BB6_8099 Depth=2
	s_xor_b32 s13, exec_lo, -1
; %bb.8555:                             ;   in Loop: Header=BB6_8099 Depth=2
	s_or_b32 exec_lo, exec_lo, s41
	s_and_b32 s13, s13, exec_lo
	s_or_saveexec_b32 s40, s40
	v_mov_b32_e32 v2, 0x7f800001
	s_xor_b32 exec_lo, exec_lo, s40
	s_cbranch_execnz .LBB6_8776
.LBB6_8556:                             ;   in Loop: Header=BB6_8099 Depth=2
	s_or_b32 exec_lo, exec_lo, s40
	s_and_saveexec_b32 s40, s13
.LBB6_8557:                             ;   in Loop: Header=BB6_8099 Depth=2
	v_mov_b32_e32 v2, v10
.LBB6_8558:                             ;   in Loop: Header=BB6_8099 Depth=2
	s_or_b32 exec_lo, exec_lo, s40
	v_max_f32_e32 v2, v2, v2
	v_max_f32_e32 v3, v11, v11
	v_min_f32_e32 v11, v3, v2
.LBB6_8559:                             ;   in Loop: Header=BB6_8099 Depth=2
	v_and_b32_e32 v2, 0x7f800000, v11
	v_mov_b32_e32 v39, 0x80
	s_mov_b32 s40, exec_lo
	v_cmpx_ne_u32_e32 0x7f800000, v2
	s_cbranch_execz .LBB6_8567
; %bb.8560:                             ;   in Loop: Header=BB6_8099 Depth=2
	v_mov_b32_e32 v39, 0
	s_mov_b32 s41, exec_lo
	v_cmpx_ne_u32_e32 0, v11
	s_cbranch_execz .LBB6_8566
; %bb.8561:                             ;   in Loop: Header=BB6_8099 Depth=2
	v_bfe_u32 v2, v11, 23, 8
	v_and_b32_e32 v3, 0x7fffff, v11
	v_sub_nc_u32_e32 v10, 0x70, v2
	v_cmp_gt_u32_e32 vcc_lo, 0x71, v2
	v_or_b32_e32 v12, 0x800000, v3
	v_cndmask_b32_e32 v10, 0, v10, vcc_lo
	v_cmp_eq_u32_e32 vcc_lo, 0, v2
	v_add_nc_u32_e32 v2, 0xffffff91, v2
	v_cndmask_b32_e64 v10, v10, 0x6f, vcc_lo
	v_cndmask_b32_e32 v3, v12, v3, vcc_lo
	v_cndmask_b32_e64 v2, v2, 0xffffff92, vcc_lo
	v_lshl_add_u32 v39, 0x200000, v10, -1
	v_lshrrev_b32_e32 v12, v10, v3
	v_lshlrev_b32_e64 v49, v10, 0x100000
	v_add_nc_u32_e32 v2, v10, v2
	v_and_b32_e32 v3, v39, v3
	v_bfe_u32 v48, v12, 21, 1
	v_cmp_eq_u32_e64 s13, v3, v49
	v_add_nc_u32_e32 v39, -1, v48
	v_cndmask_b32_e64 v3, 0, v39, s13
	v_lshrrev_b32_e32 v39, 23, v12
	s_mov_b32 s13, exec_lo
	v_add_nc_u32_e32 v3, v3, v12
	v_and_b32_e32 v10, 0x1fffff, v3
	v_xor_b32_e32 v3, 1, v39
	v_add_nc_u32_e32 v12, v10, v12
                                        ; implicit-def: $vgpr10
	v_cmpx_ne_u32_e64 v2, v3
	s_xor_b32 s13, exec_lo, s13
; %bb.8562:                             ;   in Loop: Header=BB6_8099 Depth=2
	v_cmp_lt_u32_e32 vcc_lo, 0xffffff, v12
	v_sub_nc_u32_e32 v2, v2, v3
	v_cndmask_b32_e64 v3, 0, 1, vcc_lo
	v_add_co_ci_u32_e64 v10, null, 0, v2, vcc_lo
	v_lshrrev_b32_e32 v12, v3, v12
; %bb.8563:                             ;   in Loop: Header=BB6_8099 Depth=2
	s_andn2_saveexec_b32 s13, s13
; %bb.8564:                             ;   in Loop: Header=BB6_8099 Depth=2
	v_bfe_u32 v10, v12, 23, 1
; %bb.8565:                             ;   in Loop: Header=BB6_8099 Depth=2
	s_or_b32 exec_lo, exec_lo, s13
	v_lshrrev_b32_e32 v2, 21, v12
	v_min_i32_e32 v3, 31, v10
	v_cmp_gt_i32_e32 vcc_lo, 32, v10
	v_and_b32_sdwa v11, v11, v44 dst_sel:DWORD dst_unused:UNUSED_PAD src0_sel:BYTE_3 src1_sel:DWORD
	v_lshlrev_b32_e32 v3, 2, v3
	v_cndmask_b32_e32 v2, 3, v2, vcc_lo
	v_and_b32_e32 v3, 0xfc, v3
	v_and_b32_e32 v12, 3, v2
	v_or_b32_e32 v2, v10, v2
	v_or3_b32 v3, v3, v11, v12
	v_cmp_ne_u32_e32 vcc_lo, 0, v2
	v_cndmask_b32_e32 v39, 0, v3, vcc_lo
.LBB6_8566:                             ;   in Loop: Header=BB6_8099 Depth=2
	s_or_b32 exec_lo, exec_lo, s41
.LBB6_8567:                             ;   in Loop: Header=BB6_8099 Depth=2
	s_or_b32 exec_lo, exec_lo, s40
	v_and_b32_sdwa v2, v45, v13 dst_sel:DWORD dst_unused:UNUSED_PAD src0_sel:DWORD src1_sel:BYTE_1
	v_cmp_gt_i16_sdwa s40, v17, v43 src0_sel:BYTE_1 src1_sel:DWORD
	s_mov_b32 s13, -1
	v_and_b32_e32 v3, 3, v2
	v_bfe_u32 v12, v2, 2, 5
	v_ffbh_u32_e32 v10, v3
	v_cmp_eq_u32_e32 vcc_lo, 0, v12
	v_min_u32_e32 v10, 32, v10
	v_subrev_nc_u32_e32 v11, 29, v10
	v_sub_nc_u32_e32 v10, 30, v10
	v_lshlrev_b32_e32 v2, v11, v2
	v_lshlrev_b32_sdwa v11, v47, v13 dst_sel:DWORD dst_unused:UNUSED_PAD src0_sel:DWORD src1_sel:BYTE_1
	v_cndmask_b32_e32 v10, v12, v10, vcc_lo
	v_and_b32_e32 v2, 3, v2
	v_lshl_add_u32 v10, v10, 23, 0x37800000
	v_cndmask_b32_e32 v2, v3, v2, vcc_lo
	v_and_b32_e32 v3, 0x80000000, v11
	s_and_b32 vcc_lo, exec_lo, s29
                                        ; implicit-def: $vgpr11
	v_lshlrev_b32_e32 v2, 21, v2
	v_or3_b32 v10, v3, v10, v2
	s_cbranch_vccz .LBB6_8581
; %bb.8568:                             ;   in Loop: Header=BB6_8099 Depth=2
	s_mov_b32 s13, 0
	s_and_saveexec_b32 s41, s40
	s_xor_b32 s40, exec_lo, s41
	s_cbranch_execz .LBB6_8777
; %bb.8569:                             ;   in Loop: Header=BB6_8099 Depth=2
	v_cmp_eq_u16_sdwa s42, v17, v44 src0_sel:BYTE_1 src1_sel:DWORD
	s_mov_b32 s13, -1
	s_and_saveexec_b32 s41, s42
; %bb.8570:                             ;   in Loop: Header=BB6_8099 Depth=2
	s_xor_b32 s13, exec_lo, -1
; %bb.8571:                             ;   in Loop: Header=BB6_8099 Depth=2
	s_or_b32 exec_lo, exec_lo, s41
	s_and_b32 s13, s13, exec_lo
	s_or_saveexec_b32 s40, s40
	v_mov_b32_e32 v11, 0x7f800001
	s_xor_b32 exec_lo, exec_lo, s40
	s_cbranch_execnz .LBB6_8778
.LBB6_8572:                             ;   in Loop: Header=BB6_8099 Depth=2
	s_or_b32 exec_lo, exec_lo, s40
	s_and_saveexec_b32 s40, s13
	s_cbranch_execz .LBB6_8574
.LBB6_8573:                             ;   in Loop: Header=BB6_8099 Depth=2
	v_and_b32_sdwa v2, v45, v17 dst_sel:DWORD dst_unused:UNUSED_PAD src0_sel:DWORD src1_sel:BYTE_1
	v_and_b32_e32 v3, 3, v2
	v_bfe_u32 v48, v2, 2, 5
	v_ffbh_u32_e32 v11, v3
	v_cmp_eq_u32_e32 vcc_lo, 0, v48
	v_min_u32_e32 v11, 32, v11
	v_subrev_nc_u32_e32 v12, 29, v11
	v_sub_nc_u32_e32 v11, 30, v11
	v_lshlrev_b32_e32 v2, v12, v2
	v_lshlrev_b32_e32 v12, 16, v17
	v_cndmask_b32_e32 v11, v48, v11, vcc_lo
	v_and_b32_e32 v2, 3, v2
	v_lshl_add_u32 v11, v11, 23, 0x37800000
	v_cndmask_b32_e32 v2, v3, v2, vcc_lo
	v_and_b32_e32 v3, 0x80000000, v12
	v_lshlrev_b32_e32 v2, 21, v2
	v_or3_b32 v11, v3, v11, v2
.LBB6_8574:                             ;   in Loop: Header=BB6_8099 Depth=2
	s_or_b32 exec_lo, exec_lo, s40
	v_cmp_gt_i16_sdwa s40, v13, v43 src0_sel:BYTE_1 src1_sel:DWORD
	s_mov_b32 s13, 0
	s_and_saveexec_b32 s41, s40
	s_xor_b32 s40, exec_lo, s41
	s_cbranch_execz .LBB6_8779
; %bb.8575:                             ;   in Loop: Header=BB6_8099 Depth=2
	v_cmp_eq_u16_sdwa s42, v13, v44 src0_sel:BYTE_1 src1_sel:DWORD
	s_mov_b32 s13, -1
	s_and_saveexec_b32 s41, s42
; %bb.8576:                             ;   in Loop: Header=BB6_8099 Depth=2
	s_xor_b32 s13, exec_lo, -1
; %bb.8577:                             ;   in Loop: Header=BB6_8099 Depth=2
	s_or_b32 exec_lo, exec_lo, s41
	s_and_b32 s13, s13, exec_lo
	s_or_saveexec_b32 s40, s40
	v_mov_b32_e32 v2, 0x7f800001
	s_xor_b32 exec_lo, exec_lo, s40
	s_cbranch_execnz .LBB6_8780
.LBB6_8578:                             ;   in Loop: Header=BB6_8099 Depth=2
	s_or_b32 exec_lo, exec_lo, s40
	s_and_saveexec_b32 s40, s13
.LBB6_8579:                             ;   in Loop: Header=BB6_8099 Depth=2
	v_mov_b32_e32 v2, v10
.LBB6_8580:                             ;   in Loop: Header=BB6_8099 Depth=2
	s_or_b32 exec_lo, exec_lo, s40
	v_max_f32_e32 v2, v2, v2
	v_max_f32_e32 v3, v11, v11
	s_mov_b32 s13, 0
	v_max_f32_e32 v11, v3, v2
.LBB6_8581:                             ;   in Loop: Header=BB6_8099 Depth=2
	s_and_b32 vcc_lo, exec_lo, s13
	s_cbranch_vccz .LBB6_8595
; %bb.8582:                             ;   in Loop: Header=BB6_8099 Depth=2
	v_cmp_gt_i16_sdwa s40, v17, v43 src0_sel:BYTE_1 src1_sel:DWORD
	s_mov_b32 s13, 0
	s_and_saveexec_b32 s41, s40
	s_xor_b32 s40, exec_lo, s41
	s_cbranch_execz .LBB6_8781
; %bb.8583:                             ;   in Loop: Header=BB6_8099 Depth=2
	v_cmp_eq_u16_sdwa s42, v17, v44 src0_sel:BYTE_1 src1_sel:DWORD
	s_mov_b32 s13, -1
	s_and_saveexec_b32 s41, s42
; %bb.8584:                             ;   in Loop: Header=BB6_8099 Depth=2
	s_xor_b32 s13, exec_lo, -1
; %bb.8585:                             ;   in Loop: Header=BB6_8099 Depth=2
	s_or_b32 exec_lo, exec_lo, s41
	s_and_b32 s13, s13, exec_lo
	s_or_saveexec_b32 s40, s40
	v_mov_b32_e32 v11, 0x7f800001
	s_xor_b32 exec_lo, exec_lo, s40
	s_cbranch_execnz .LBB6_8782
.LBB6_8586:                             ;   in Loop: Header=BB6_8099 Depth=2
	s_or_b32 exec_lo, exec_lo, s40
	s_and_saveexec_b32 s40, s13
	s_cbranch_execz .LBB6_8588
.LBB6_8587:                             ;   in Loop: Header=BB6_8099 Depth=2
	v_and_b32_sdwa v2, v45, v17 dst_sel:DWORD dst_unused:UNUSED_PAD src0_sel:DWORD src1_sel:BYTE_1
	v_and_b32_e32 v3, 3, v2
	v_bfe_u32 v48, v2, 2, 5
	v_ffbh_u32_e32 v11, v3
	v_cmp_eq_u32_e32 vcc_lo, 0, v48
	v_min_u32_e32 v11, 32, v11
	v_subrev_nc_u32_e32 v12, 29, v11
	v_sub_nc_u32_e32 v11, 30, v11
	v_lshlrev_b32_e32 v2, v12, v2
	v_lshlrev_b32_e32 v12, 16, v17
	v_cndmask_b32_e32 v11, v48, v11, vcc_lo
	v_and_b32_e32 v2, 3, v2
	v_lshl_add_u32 v11, v11, 23, 0x37800000
	v_cndmask_b32_e32 v2, v3, v2, vcc_lo
	v_and_b32_e32 v3, 0x80000000, v12
	v_lshlrev_b32_e32 v2, 21, v2
	v_or3_b32 v11, v3, v11, v2
.LBB6_8588:                             ;   in Loop: Header=BB6_8099 Depth=2
	s_or_b32 exec_lo, exec_lo, s40
	v_cmp_gt_i16_sdwa s40, v13, v43 src0_sel:BYTE_1 src1_sel:DWORD
	s_mov_b32 s13, 0
	s_and_saveexec_b32 s41, s40
	s_xor_b32 s40, exec_lo, s41
	s_cbranch_execz .LBB6_8783
; %bb.8589:                             ;   in Loop: Header=BB6_8099 Depth=2
	v_cmp_eq_u16_sdwa s42, v13, v44 src0_sel:BYTE_1 src1_sel:DWORD
	s_mov_b32 s13, -1
	s_and_saveexec_b32 s41, s42
; %bb.8590:                             ;   in Loop: Header=BB6_8099 Depth=2
	s_xor_b32 s13, exec_lo, -1
; %bb.8591:                             ;   in Loop: Header=BB6_8099 Depth=2
	s_or_b32 exec_lo, exec_lo, s41
	s_and_b32 s13, s13, exec_lo
	s_or_saveexec_b32 s40, s40
	v_mov_b32_e32 v2, 0x7f800001
	s_xor_b32 exec_lo, exec_lo, s40
	s_cbranch_execnz .LBB6_8784
.LBB6_8592:                             ;   in Loop: Header=BB6_8099 Depth=2
	s_or_b32 exec_lo, exec_lo, s40
	s_and_saveexec_b32 s40, s13
.LBB6_8593:                             ;   in Loop: Header=BB6_8099 Depth=2
	v_mov_b32_e32 v2, v10
.LBB6_8594:                             ;   in Loop: Header=BB6_8099 Depth=2
	s_or_b32 exec_lo, exec_lo, s40
	v_max_f32_e32 v2, v2, v2
	v_max_f32_e32 v3, v11, v11
	v_min_f32_e32 v11, v3, v2
.LBB6_8595:                             ;   in Loop: Header=BB6_8099 Depth=2
	v_and_b32_e32 v2, 0x7f800000, v11
	v_mov_b32_e32 v48, 0x8000
	s_mov_b32 s40, exec_lo
	v_cmpx_ne_u32_e32 0x7f800000, v2
	s_cbranch_execz .LBB6_8603
; %bb.8596:                             ;   in Loop: Header=BB6_8099 Depth=2
	v_mov_b32_e32 v48, 0
	s_mov_b32 s41, exec_lo
	v_cmpx_ne_u32_e32 0, v11
	s_cbranch_execz .LBB6_8602
; %bb.8597:                             ;   in Loop: Header=BB6_8099 Depth=2
	v_bfe_u32 v2, v11, 23, 8
	v_and_b32_e32 v3, 0x7fffff, v11
	v_sub_nc_u32_e32 v10, 0x70, v2
	v_cmp_gt_u32_e32 vcc_lo, 0x71, v2
	v_or_b32_e32 v12, 0x800000, v3
	v_cndmask_b32_e32 v10, 0, v10, vcc_lo
	v_cmp_eq_u32_e32 vcc_lo, 0, v2
	v_add_nc_u32_e32 v2, 0xffffff91, v2
	v_cndmask_b32_e64 v10, v10, 0x6f, vcc_lo
	v_cndmask_b32_e32 v3, v12, v3, vcc_lo
	v_cndmask_b32_e64 v2, v2, 0xffffff92, vcc_lo
	v_lshl_add_u32 v48, 0x200000, v10, -1
	v_lshrrev_b32_e32 v12, v10, v3
	v_lshlrev_b32_e64 v50, v10, 0x100000
	v_add_nc_u32_e32 v2, v10, v2
	v_and_b32_e32 v3, v48, v3
	v_bfe_u32 v49, v12, 21, 1
	v_cmp_eq_u32_e64 s13, v3, v50
	v_add_nc_u32_e32 v48, -1, v49
	v_cndmask_b32_e64 v3, 0, v48, s13
	v_lshrrev_b32_e32 v48, 23, v12
	s_mov_b32 s13, exec_lo
	v_add_nc_u32_e32 v3, v3, v12
	v_and_b32_e32 v10, 0x1fffff, v3
	v_xor_b32_e32 v3, 1, v48
	v_add_nc_u32_e32 v12, v10, v12
                                        ; implicit-def: $vgpr10
	v_cmpx_ne_u32_e64 v2, v3
	s_xor_b32 s13, exec_lo, s13
; %bb.8598:                             ;   in Loop: Header=BB6_8099 Depth=2
	v_cmp_lt_u32_e32 vcc_lo, 0xffffff, v12
	v_sub_nc_u32_e32 v2, v2, v3
	v_cndmask_b32_e64 v3, 0, 1, vcc_lo
	v_add_co_ci_u32_e64 v10, null, 0, v2, vcc_lo
	v_lshrrev_b32_e32 v12, v3, v12
; %bb.8599:                             ;   in Loop: Header=BB6_8099 Depth=2
	s_andn2_saveexec_b32 s13, s13
; %bb.8600:                             ;   in Loop: Header=BB6_8099 Depth=2
	v_bfe_u32 v10, v12, 23, 1
; %bb.8601:                             ;   in Loop: Header=BB6_8099 Depth=2
	s_or_b32 exec_lo, exec_lo, s13
	v_lshrrev_b32_e32 v2, 21, v12
	v_min_i32_e32 v3, 31, v10
	v_cmp_gt_i32_e32 vcc_lo, 32, v10
	v_and_b32_sdwa v11, v11, v44 dst_sel:DWORD dst_unused:UNUSED_PAD src0_sel:BYTE_3 src1_sel:DWORD
	v_lshlrev_b32_e32 v3, 2, v3
	v_cndmask_b32_e32 v2, 3, v2, vcc_lo
	v_and_b32_e32 v3, 0xfc, v3
	v_and_b32_e32 v12, 3, v2
	v_or_b32_e32 v2, v10, v2
	v_or3_b32 v3, v11, v3, v12
	v_cmp_ne_u32_e32 vcc_lo, 0, v2
	v_lshlrev_b32_e32 v3, 8, v3
	v_cndmask_b32_e32 v48, 0, v3, vcc_lo
.LBB6_8602:                             ;   in Loop: Header=BB6_8099 Depth=2
	s_or_b32 exec_lo, exec_lo, s41
.LBB6_8603:                             ;   in Loop: Header=BB6_8099 Depth=2
	s_or_b32 exec_lo, exec_lo, s40
	v_bfe_u32 v2, v13, 16, 2
	v_bfe_u32 v11, v13, 18, 5
	v_lshlrev_b32_e32 v12, 8, v13
	s_mov_b32 s40, -1
	v_ffbh_u32_e32 v3, v2
	v_cmp_eq_u32_e32 vcc_lo, 0, v11
	v_min_u32_e32 v3, 32, v3
	v_subrev_nc_u32_e32 v10, 29, v3
	v_sub_nc_u32_e32 v3, 30, v3
	v_lshlrev_b32_sdwa v10, v10, v13 dst_sel:DWORD dst_unused:UNUSED_PAD src0_sel:DWORD src1_sel:WORD_1
	v_cndmask_b32_e32 v3, v11, v3, vcc_lo
	v_and_b32_sdwa v11, v17, v46 dst_sel:DWORD dst_unused:UNUSED_PAD src0_sel:WORD_1 src1_sel:DWORD
	v_and_b32_e32 v10, 3, v10
	v_lshl_add_u32 v3, v3, 23, 0x37800000
	v_cmp_lt_i16_e64 s13, 0x7f, v11
	v_cndmask_b32_e32 v2, v2, v10, vcc_lo
	v_and_b32_e32 v10, 0x80000000, v12
	s_and_b32 vcc_lo, exec_lo, s29
                                        ; implicit-def: $vgpr12
	v_lshlrev_b32_e32 v2, 21, v2
	v_or3_b32 v10, v10, v3, v2
	s_cbranch_vccz .LBB6_8617
; %bb.8604:                             ;   in Loop: Header=BB6_8099 Depth=2
	s_mov_b32 s40, 0
	s_and_saveexec_b32 s41, s13
	s_xor_b32 s13, exec_lo, s41
	s_cbranch_execz .LBB6_8785
; %bb.8605:                             ;   in Loop: Header=BB6_8099 Depth=2
	s_mov_b32 s40, -1
	s_mov_b32 s41, exec_lo
	v_cmpx_eq_u16_e32 0x80, v11
; %bb.8606:                             ;   in Loop: Header=BB6_8099 Depth=2
	s_xor_b32 s40, exec_lo, -1
; %bb.8607:                             ;   in Loop: Header=BB6_8099 Depth=2
	s_or_b32 exec_lo, exec_lo, s41
	s_and_b32 s40, s40, exec_lo
	s_or_saveexec_b32 s13, s13
	v_mov_b32_e32 v12, 0x7f800001
	s_xor_b32 exec_lo, exec_lo, s13
	s_cbranch_execnz .LBB6_8786
.LBB6_8608:                             ;   in Loop: Header=BB6_8099 Depth=2
	s_or_b32 exec_lo, exec_lo, s13
	s_and_saveexec_b32 s13, s40
	s_cbranch_execz .LBB6_8610
.LBB6_8609:                             ;   in Loop: Header=BB6_8099 Depth=2
	v_bfe_u32 v2, v17, 16, 2
	v_bfe_u32 v49, v17, 18, 5
	v_lshlrev_b32_sdwa v50, v47, v17 dst_sel:DWORD dst_unused:UNUSED_PAD src0_sel:DWORD src1_sel:WORD_1
	v_ffbh_u32_e32 v3, v2
	v_cmp_eq_u32_e32 vcc_lo, 0, v49
	v_min_u32_e32 v3, 32, v3
	v_subrev_nc_u32_e32 v12, 29, v3
	v_sub_nc_u32_e32 v3, 30, v3
	v_lshlrev_b32_sdwa v12, v12, v17 dst_sel:DWORD dst_unused:UNUSED_PAD src0_sel:DWORD src1_sel:WORD_1
	v_cndmask_b32_e32 v3, v49, v3, vcc_lo
	v_and_b32_e32 v12, 3, v12
	v_lshl_add_u32 v3, v3, 23, 0x37800000
	v_cndmask_b32_e32 v2, v2, v12, vcc_lo
	v_and_b32_e32 v12, 0x80000000, v50
	v_lshlrev_b32_e32 v2, 21, v2
	v_or3_b32 v12, v12, v3, v2
.LBB6_8610:                             ;   in Loop: Header=BB6_8099 Depth=2
	s_or_b32 exec_lo, exec_lo, s13
	v_and_b32_sdwa v3, v13, v46 dst_sel:DWORD dst_unused:UNUSED_PAD src0_sel:WORD_1 src1_sel:DWORD
	s_mov_b32 s13, 0
	s_mov_b32 s40, exec_lo
	v_cmpx_lt_i16_e32 0x7f, v3
	s_xor_b32 s40, exec_lo, s40
	s_cbranch_execz .LBB6_8787
; %bb.8611:                             ;   in Loop: Header=BB6_8099 Depth=2
	s_mov_b32 s13, -1
	s_mov_b32 s41, exec_lo
	v_cmpx_eq_u16_e32 0x80, v3
; %bb.8612:                             ;   in Loop: Header=BB6_8099 Depth=2
	s_xor_b32 s13, exec_lo, -1
; %bb.8613:                             ;   in Loop: Header=BB6_8099 Depth=2
	s_or_b32 exec_lo, exec_lo, s41
	s_and_b32 s13, s13, exec_lo
                                        ; implicit-def: $vgpr3
	s_or_saveexec_b32 s40, s40
	v_mov_b32_e32 v2, 0x7f800001
	s_xor_b32 exec_lo, exec_lo, s40
	s_cbranch_execnz .LBB6_8788
.LBB6_8614:                             ;   in Loop: Header=BB6_8099 Depth=2
	s_or_b32 exec_lo, exec_lo, s40
	s_and_saveexec_b32 s40, s13
.LBB6_8615:                             ;   in Loop: Header=BB6_8099 Depth=2
	v_mov_b32_e32 v2, v10
.LBB6_8616:                             ;   in Loop: Header=BB6_8099 Depth=2
	s_or_b32 exec_lo, exec_lo, s40
	v_max_f32_e32 v2, v2, v2
	v_max_f32_e32 v3, v12, v12
	s_mov_b32 s40, 0
	v_max_f32_e32 v12, v3, v2
.LBB6_8617:                             ;   in Loop: Header=BB6_8099 Depth=2
	s_and_b32 vcc_lo, exec_lo, s40
	s_cbranch_vccz .LBB6_8631
; %bb.8618:                             ;   in Loop: Header=BB6_8099 Depth=2
	s_mov_b32 s13, 0
	s_mov_b32 s40, exec_lo
	v_cmpx_lt_i16_e32 0x7f, v11
	s_xor_b32 s40, exec_lo, s40
	s_cbranch_execz .LBB6_8789
; %bb.8619:                             ;   in Loop: Header=BB6_8099 Depth=2
	s_mov_b32 s13, -1
	s_mov_b32 s41, exec_lo
	v_cmpx_eq_u16_e32 0x80, v11
; %bb.8620:                             ;   in Loop: Header=BB6_8099 Depth=2
	s_xor_b32 s13, exec_lo, -1
; %bb.8621:                             ;   in Loop: Header=BB6_8099 Depth=2
	s_or_b32 exec_lo, exec_lo, s41
	s_and_b32 s13, s13, exec_lo
                                        ; implicit-def: $vgpr11
	s_or_saveexec_b32 s40, s40
	v_mov_b32_e32 v12, 0x7f800001
	s_xor_b32 exec_lo, exec_lo, s40
	s_cbranch_execnz .LBB6_8790
.LBB6_8622:                             ;   in Loop: Header=BB6_8099 Depth=2
	s_or_b32 exec_lo, exec_lo, s40
	s_and_saveexec_b32 s40, s13
	s_cbranch_execz .LBB6_8624
.LBB6_8623:                             ;   in Loop: Header=BB6_8099 Depth=2
	v_bfe_u32 v2, v17, 16, 2
	v_bfe_u32 v12, v17, 18, 5
	v_lshlrev_b32_sdwa v49, v47, v17 dst_sel:DWORD dst_unused:UNUSED_PAD src0_sel:DWORD src1_sel:WORD_1
	v_ffbh_u32_e32 v3, v2
	v_cmp_eq_u32_e32 vcc_lo, 0, v12
	v_min_u32_e32 v3, 32, v3
	v_subrev_nc_u32_e32 v11, 29, v3
	v_sub_nc_u32_e32 v3, 30, v3
	v_lshlrev_b32_sdwa v11, v11, v17 dst_sel:DWORD dst_unused:UNUSED_PAD src0_sel:DWORD src1_sel:WORD_1
	v_cndmask_b32_e32 v3, v12, v3, vcc_lo
	v_and_b32_e32 v11, 3, v11
	v_lshl_add_u32 v3, v3, 23, 0x37800000
	v_cndmask_b32_e32 v2, v2, v11, vcc_lo
	v_and_b32_e32 v11, 0x80000000, v49
	v_lshlrev_b32_e32 v2, 21, v2
	v_or3_b32 v12, v11, v3, v2
.LBB6_8624:                             ;   in Loop: Header=BB6_8099 Depth=2
	s_or_b32 exec_lo, exec_lo, s40
	v_and_b32_sdwa v3, v13, v46 dst_sel:DWORD dst_unused:UNUSED_PAD src0_sel:WORD_1 src1_sel:DWORD
	s_mov_b32 s13, 0
	s_mov_b32 s40, exec_lo
	v_cmpx_lt_i16_e32 0x7f, v3
	s_xor_b32 s40, exec_lo, s40
	s_cbranch_execz .LBB6_8791
; %bb.8625:                             ;   in Loop: Header=BB6_8099 Depth=2
	s_mov_b32 s13, -1
	s_mov_b32 s41, exec_lo
	v_cmpx_eq_u16_e32 0x80, v3
; %bb.8626:                             ;   in Loop: Header=BB6_8099 Depth=2
	s_xor_b32 s13, exec_lo, -1
; %bb.8627:                             ;   in Loop: Header=BB6_8099 Depth=2
	s_or_b32 exec_lo, exec_lo, s41
	s_and_b32 s13, s13, exec_lo
                                        ; implicit-def: $vgpr3
	s_or_saveexec_b32 s40, s40
	v_mov_b32_e32 v2, 0x7f800001
	s_xor_b32 exec_lo, exec_lo, s40
	s_cbranch_execnz .LBB6_8792
.LBB6_8628:                             ;   in Loop: Header=BB6_8099 Depth=2
	s_or_b32 exec_lo, exec_lo, s40
	s_and_saveexec_b32 s40, s13
.LBB6_8629:                             ;   in Loop: Header=BB6_8099 Depth=2
	v_mov_b32_e32 v2, v10
.LBB6_8630:                             ;   in Loop: Header=BB6_8099 Depth=2
	s_or_b32 exec_lo, exec_lo, s40
	v_max_f32_e32 v2, v2, v2
	v_max_f32_e32 v3, v12, v12
	v_min_f32_e32 v12, v3, v2
.LBB6_8631:                             ;   in Loop: Header=BB6_8099 Depth=2
	v_and_b32_e32 v2, 0x7f800000, v12
	v_mov_b32_e32 v49, 0x80
	s_mov_b32 s40, exec_lo
	v_cmpx_ne_u32_e32 0x7f800000, v2
	s_cbranch_execz .LBB6_8639
; %bb.8632:                             ;   in Loop: Header=BB6_8099 Depth=2
	v_mov_b32_e32 v49, 0
	s_mov_b32 s41, exec_lo
	v_cmpx_ne_u32_e32 0, v12
	s_cbranch_execz .LBB6_8638
; %bb.8633:                             ;   in Loop: Header=BB6_8099 Depth=2
	v_bfe_u32 v2, v12, 23, 8
	v_and_b32_e32 v3, 0x7fffff, v12
	v_sub_nc_u32_e32 v10, 0x70, v2
	v_cmp_gt_u32_e32 vcc_lo, 0x71, v2
	v_or_b32_e32 v11, 0x800000, v3
	v_cndmask_b32_e32 v10, 0, v10, vcc_lo
	v_cmp_eq_u32_e32 vcc_lo, 0, v2
	v_add_nc_u32_e32 v2, 0xffffff91, v2
	v_cndmask_b32_e64 v10, v10, 0x6f, vcc_lo
	v_cndmask_b32_e32 v3, v11, v3, vcc_lo
	v_cndmask_b32_e64 v2, v2, 0xffffff92, vcc_lo
	v_lshl_add_u32 v49, 0x200000, v10, -1
	v_lshrrev_b32_e32 v11, v10, v3
	v_lshlrev_b32_e64 v51, v10, 0x100000
	v_add_nc_u32_e32 v2, v10, v2
	v_and_b32_e32 v3, v49, v3
	v_bfe_u32 v50, v11, 21, 1
	v_cmp_eq_u32_e64 s13, v3, v51
	v_add_nc_u32_e32 v49, -1, v50
	v_cndmask_b32_e64 v3, 0, v49, s13
	v_lshrrev_b32_e32 v49, 23, v11
	s_mov_b32 s13, exec_lo
	v_add_nc_u32_e32 v3, v3, v11
	v_and_b32_e32 v10, 0x1fffff, v3
	v_xor_b32_e32 v3, 1, v49
	v_add_nc_u32_e32 v11, v10, v11
                                        ; implicit-def: $vgpr10
	v_cmpx_ne_u32_e64 v2, v3
	s_xor_b32 s13, exec_lo, s13
; %bb.8634:                             ;   in Loop: Header=BB6_8099 Depth=2
	v_cmp_lt_u32_e32 vcc_lo, 0xffffff, v11
	v_sub_nc_u32_e32 v2, v2, v3
	v_cndmask_b32_e64 v3, 0, 1, vcc_lo
	v_add_co_ci_u32_e64 v10, null, 0, v2, vcc_lo
	v_lshrrev_b32_e32 v11, v3, v11
; %bb.8635:                             ;   in Loop: Header=BB6_8099 Depth=2
	s_andn2_saveexec_b32 s13, s13
; %bb.8636:                             ;   in Loop: Header=BB6_8099 Depth=2
	v_bfe_u32 v10, v11, 23, 1
; %bb.8637:                             ;   in Loop: Header=BB6_8099 Depth=2
	s_or_b32 exec_lo, exec_lo, s13
	v_lshrrev_b32_e32 v2, 21, v11
	v_min_i32_e32 v3, 31, v10
	v_cmp_gt_i32_e32 vcc_lo, 32, v10
	v_and_b32_sdwa v11, v12, v44 dst_sel:DWORD dst_unused:UNUSED_PAD src0_sel:BYTE_3 src1_sel:DWORD
	v_lshlrev_b32_e32 v3, 2, v3
	v_cndmask_b32_e32 v2, 3, v2, vcc_lo
	v_and_b32_e32 v3, 0xfc, v3
	v_and_b32_e32 v12, 3, v2
	v_or_b32_e32 v2, v10, v2
	v_or3_b32 v3, v3, v11, v12
	v_cmp_ne_u32_e32 vcc_lo, 0, v2
	v_cndmask_b32_e32 v49, 0, v3, vcc_lo
.LBB6_8638:                             ;   in Loop: Header=BB6_8099 Depth=2
	s_or_b32 exec_lo, exec_lo, s41
.LBB6_8639:                             ;   in Loop: Header=BB6_8099 Depth=2
	s_or_b32 exec_lo, exec_lo, s40
	v_bfe_u32 v2, v13, 24, 2
	v_bfe_u32 v11, v13, 26, 5
	v_cmp_gt_i16_sdwa s40, v17, v43 src0_sel:BYTE_3 src1_sel:DWORD
	s_mov_b32 s13, -1
	v_ffbh_u32_e32 v3, v2
	v_cmp_eq_u32_e32 vcc_lo, 0, v11
	v_min_u32_e32 v3, 32, v3
	v_subrev_nc_u32_e32 v10, 29, v3
	v_sub_nc_u32_e32 v3, 30, v3
	v_lshlrev_b32_sdwa v10, v10, v13 dst_sel:DWORD dst_unused:UNUSED_PAD src0_sel:DWORD src1_sel:BYTE_3
	v_cndmask_b32_e32 v3, v11, v3, vcc_lo
	v_and_b32_e32 v10, 3, v10
	v_lshl_add_u32 v3, v3, 23, 0x37800000
	v_cndmask_b32_e32 v2, v2, v10, vcc_lo
	v_and_b32_e32 v10, 0x80000000, v13
	s_and_b32 vcc_lo, exec_lo, s29
	v_lshlrev_b32_e32 v2, 21, v2
	v_or3_b32 v50, v10, v3, v2
                                        ; implicit-def: $vgpr10
	s_cbranch_vccz .LBB6_8653
; %bb.8640:                             ;   in Loop: Header=BB6_8099 Depth=2
	s_mov_b32 s13, 0
	s_and_saveexec_b32 s41, s40
	s_xor_b32 s40, exec_lo, s41
	s_cbranch_execz .LBB6_8793
; %bb.8641:                             ;   in Loop: Header=BB6_8099 Depth=2
	v_cmp_eq_u16_sdwa s42, v17, v44 src0_sel:BYTE_3 src1_sel:DWORD
	s_mov_b32 s13, -1
	s_and_saveexec_b32 s41, s42
; %bb.8642:                             ;   in Loop: Header=BB6_8099 Depth=2
	s_xor_b32 s13, exec_lo, -1
; %bb.8643:                             ;   in Loop: Header=BB6_8099 Depth=2
	s_or_b32 exec_lo, exec_lo, s41
	s_and_b32 s13, s13, exec_lo
	s_or_saveexec_b32 s40, s40
	v_mov_b32_e32 v10, 0x7f800001
	s_xor_b32 exec_lo, exec_lo, s40
	s_cbranch_execnz .LBB6_8794
.LBB6_8644:                             ;   in Loop: Header=BB6_8099 Depth=2
	s_or_b32 exec_lo, exec_lo, s40
	s_and_saveexec_b32 s40, s13
	s_cbranch_execz .LBB6_8646
.LBB6_8645:                             ;   in Loop: Header=BB6_8099 Depth=2
	v_bfe_u32 v2, v17, 24, 2
	v_bfe_u32 v11, v17, 26, 5
	v_ffbh_u32_e32 v3, v2
	v_cmp_eq_u32_e32 vcc_lo, 0, v11
	v_min_u32_e32 v3, 32, v3
	v_subrev_nc_u32_e32 v10, 29, v3
	v_sub_nc_u32_e32 v3, 30, v3
	v_lshlrev_b32_sdwa v10, v10, v17 dst_sel:DWORD dst_unused:UNUSED_PAD src0_sel:DWORD src1_sel:BYTE_3
	v_cndmask_b32_e32 v3, v11, v3, vcc_lo
	v_and_b32_e32 v10, 3, v10
	v_lshl_add_u32 v3, v3, 23, 0x37800000
	v_cndmask_b32_e32 v2, v2, v10, vcc_lo
	v_and_b32_e32 v10, 0x80000000, v17
	v_lshlrev_b32_e32 v2, 21, v2
	v_or3_b32 v10, v10, v3, v2
.LBB6_8646:                             ;   in Loop: Header=BB6_8099 Depth=2
	s_or_b32 exec_lo, exec_lo, s40
	v_cmp_gt_i16_sdwa s40, v13, v43 src0_sel:BYTE_3 src1_sel:DWORD
	s_mov_b32 s13, 0
	s_and_saveexec_b32 s41, s40
	s_xor_b32 s40, exec_lo, s41
	s_cbranch_execz .LBB6_8795
; %bb.8647:                             ;   in Loop: Header=BB6_8099 Depth=2
	v_cmp_eq_u16_sdwa s42, v13, v44 src0_sel:BYTE_3 src1_sel:DWORD
	s_mov_b32 s13, -1
	s_and_saveexec_b32 s41, s42
; %bb.8648:                             ;   in Loop: Header=BB6_8099 Depth=2
	s_xor_b32 s13, exec_lo, -1
; %bb.8649:                             ;   in Loop: Header=BB6_8099 Depth=2
	s_or_b32 exec_lo, exec_lo, s41
	s_and_b32 s13, s13, exec_lo
	s_or_saveexec_b32 s40, s40
	v_mov_b32_e32 v2, 0x7f800001
	s_xor_b32 exec_lo, exec_lo, s40
	s_cbranch_execnz .LBB6_8796
.LBB6_8650:                             ;   in Loop: Header=BB6_8099 Depth=2
	s_or_b32 exec_lo, exec_lo, s40
	s_and_saveexec_b32 s40, s13
.LBB6_8651:                             ;   in Loop: Header=BB6_8099 Depth=2
	v_mov_b32_e32 v2, v50
.LBB6_8652:                             ;   in Loop: Header=BB6_8099 Depth=2
	s_or_b32 exec_lo, exec_lo, s40
	v_max_f32_e32 v2, v2, v2
	v_max_f32_e32 v3, v10, v10
	s_mov_b32 s13, 0
	v_max_f32_e32 v10, v3, v2
.LBB6_8653:                             ;   in Loop: Header=BB6_8099 Depth=2
	s_and_b32 vcc_lo, exec_lo, s13
	s_cbranch_vccz .LBB6_8667
; %bb.8654:                             ;   in Loop: Header=BB6_8099 Depth=2
	v_cmp_gt_i16_sdwa s40, v17, v43 src0_sel:BYTE_3 src1_sel:DWORD
	s_mov_b32 s13, 0
	s_and_saveexec_b32 s41, s40
	s_xor_b32 s40, exec_lo, s41
	s_cbranch_execz .LBB6_8797
; %bb.8655:                             ;   in Loop: Header=BB6_8099 Depth=2
	v_cmp_eq_u16_sdwa s42, v17, v44 src0_sel:BYTE_3 src1_sel:DWORD
	s_mov_b32 s13, -1
	s_and_saveexec_b32 s41, s42
; %bb.8656:                             ;   in Loop: Header=BB6_8099 Depth=2
	s_xor_b32 s13, exec_lo, -1
; %bb.8657:                             ;   in Loop: Header=BB6_8099 Depth=2
	s_or_b32 exec_lo, exec_lo, s41
	s_and_b32 s13, s13, exec_lo
	s_or_saveexec_b32 s40, s40
	v_mov_b32_e32 v51, 0x7f800001
	s_xor_b32 exec_lo, exec_lo, s40
	s_cbranch_execnz .LBB6_8798
.LBB6_8658:                             ;   in Loop: Header=BB6_8099 Depth=2
	s_or_b32 exec_lo, exec_lo, s40
	s_and_saveexec_b32 s40, s13
	s_cbranch_execz .LBB6_8660
.LBB6_8659:                             ;   in Loop: Header=BB6_8099 Depth=2
	v_bfe_u32 v2, v17, 24, 2
	v_bfe_u32 v11, v17, 26, 5
	v_ffbh_u32_e32 v3, v2
	v_cmp_eq_u32_e32 vcc_lo, 0, v11
	v_min_u32_e32 v3, 32, v3
	v_subrev_nc_u32_e32 v10, 29, v3
	v_sub_nc_u32_e32 v3, 30, v3
	v_lshlrev_b32_sdwa v10, v10, v17 dst_sel:DWORD dst_unused:UNUSED_PAD src0_sel:DWORD src1_sel:BYTE_3
	v_cndmask_b32_e32 v3, v11, v3, vcc_lo
	v_and_b32_e32 v10, 3, v10
	v_lshl_add_u32 v3, v3, 23, 0x37800000
	v_cndmask_b32_e32 v2, v2, v10, vcc_lo
	v_and_b32_e32 v10, 0x80000000, v17
	v_lshlrev_b32_e32 v2, 21, v2
	v_or3_b32 v51, v10, v3, v2
.LBB6_8660:                             ;   in Loop: Header=BB6_8099 Depth=2
	s_or_b32 exec_lo, exec_lo, s40
	v_cmp_gt_i16_sdwa s40, v13, v43 src0_sel:BYTE_3 src1_sel:DWORD
	s_mov_b32 s13, 0
	s_and_saveexec_b32 s41, s40
	s_xor_b32 s40, exec_lo, s41
	s_cbranch_execz .LBB6_8799
; %bb.8661:                             ;   in Loop: Header=BB6_8099 Depth=2
	v_cmp_eq_u16_sdwa s42, v13, v44 src0_sel:BYTE_3 src1_sel:DWORD
	s_mov_b32 s13, -1
	s_and_saveexec_b32 s41, s42
; %bb.8662:                             ;   in Loop: Header=BB6_8099 Depth=2
	s_xor_b32 s13, exec_lo, -1
; %bb.8663:                             ;   in Loop: Header=BB6_8099 Depth=2
	s_or_b32 exec_lo, exec_lo, s41
	s_and_b32 s13, s13, exec_lo
                                        ; implicit-def: $vgpr10_vgpr11_vgpr12_vgpr13
	s_or_saveexec_b32 s40, s40
	v_mov_b32_e32 v2, 0x7f800001
	s_xor_b32 exec_lo, exec_lo, s40
	s_cbranch_execnz .LBB6_8800
.LBB6_8664:                             ;   in Loop: Header=BB6_8099 Depth=2
	s_or_b32 exec_lo, exec_lo, s40
	s_and_saveexec_b32 s40, s13
.LBB6_8665:                             ;   in Loop: Header=BB6_8099 Depth=2
	v_mov_b32_e32 v2, v50
.LBB6_8666:                             ;   in Loop: Header=BB6_8099 Depth=2
	s_or_b32 exec_lo, exec_lo, s40
	v_max_f32_e32 v2, v2, v2
	v_max_f32_e32 v3, v51, v51
	v_min_f32_e32 v10, v3, v2
.LBB6_8667:                             ;   in Loop: Header=BB6_8099 Depth=2
	v_and_b32_e32 v2, 0x7f800000, v10
	v_cmp_ne_u32_e32 vcc_lo, 0x7f800000, v2
	v_mov_b32_e32 v2, 0x8000
	s_and_saveexec_b32 s40, vcc_lo
	s_cbranch_execz .LBB6_8098
; %bb.8668:                             ;   in Loop: Header=BB6_8099 Depth=2
	v_mov_b32_e32 v2, 0
	s_mov_b32 s41, exec_lo
	v_cmpx_ne_u32_e32 0, v10
	s_cbranch_execz .LBB6_8097
; %bb.8669:                             ;   in Loop: Header=BB6_8099 Depth=2
	v_bfe_u32 v2, v10, 23, 8
	v_and_b32_e32 v3, 0x7fffff, v10
	v_sub_nc_u32_e32 v11, 0x70, v2
	v_cmp_gt_u32_e32 vcc_lo, 0x71, v2
	v_or_b32_e32 v12, 0x800000, v3
	v_cndmask_b32_e32 v11, 0, v11, vcc_lo
	v_cmp_eq_u32_e32 vcc_lo, 0, v2
	v_add_nc_u32_e32 v2, 0xffffff91, v2
	v_cndmask_b32_e64 v11, v11, 0x6f, vcc_lo
	v_cndmask_b32_e32 v3, v12, v3, vcc_lo
	v_cndmask_b32_e64 v2, v2, 0xffffff92, vcc_lo
	v_lshl_add_u32 v13, 0x200000, v11, -1
	v_lshrrev_b32_e32 v12, v11, v3
	v_lshlrev_b32_e64 v50, v11, 0x100000
	v_add_nc_u32_e32 v2, v11, v2
	v_and_b32_e32 v3, v13, v3
	v_bfe_u32 v17, v12, 21, 1
	v_cmp_eq_u32_e64 s13, v3, v50
	v_add_nc_u32_e32 v13, -1, v17
	v_cndmask_b32_e64 v3, 0, v13, s13
	v_lshrrev_b32_e32 v13, 23, v12
	s_mov_b32 s13, exec_lo
	v_add_nc_u32_e32 v3, v3, v12
	v_and_b32_e32 v11, 0x1fffff, v3
	v_xor_b32_e32 v3, 1, v13
	v_add_nc_u32_e32 v12, v11, v12
                                        ; implicit-def: $vgpr11
	v_cmpx_ne_u32_e64 v2, v3
	s_xor_b32 s13, exec_lo, s13
; %bb.8670:                             ;   in Loop: Header=BB6_8099 Depth=2
	v_cmp_lt_u32_e32 vcc_lo, 0xffffff, v12
	v_sub_nc_u32_e32 v2, v2, v3
	v_cndmask_b32_e64 v3, 0, 1, vcc_lo
	v_add_co_ci_u32_e64 v11, null, 0, v2, vcc_lo
	v_lshrrev_b32_e32 v12, v3, v12
; %bb.8671:                             ;   in Loop: Header=BB6_8099 Depth=2
	s_andn2_saveexec_b32 s13, s13
	s_cbranch_execz .LBB6_8096
; %bb.8672:                             ;   in Loop: Header=BB6_8099 Depth=2
	v_bfe_u32 v11, v12, 23, 1
	s_branch .LBB6_8096
.LBB6_8673:                             ;   in Loop: Header=BB6_8099 Depth=2
	s_or_saveexec_b32 s40, s40
	v_mov_b32_e32 v29, 0x7f800001
	s_xor_b32 exec_lo, exec_lo, s40
	s_cbranch_execz .LBB6_8104
.LBB6_8674:                             ;   in Loop: Header=BB6_8099 Depth=2
	v_cmp_ne_u16_sdwa s41, v14, v30 src0_sel:BYTE_0 src1_sel:DWORD
	v_mov_b32_e32 v29, 0
	s_andn2_b32 s13, s13, exec_lo
	s_and_b32 s41, s41, exec_lo
	s_or_b32 s13, s13, s41
	s_or_b32 exec_lo, exec_lo, s40
	s_and_saveexec_b32 s40, s13
	s_cbranch_execnz .LBB6_8105
	s_branch .LBB6_8106
.LBB6_8675:                             ;   in Loop: Header=BB6_8099 Depth=2
	s_or_saveexec_b32 s40, s40
	v_mov_b32_e32 v2, 0x7f800001
	s_xor_b32 exec_lo, exec_lo, s40
	s_cbranch_execz .LBB6_8110
.LBB6_8676:                             ;   in Loop: Header=BB6_8099 Depth=2
	v_cmp_ne_u16_sdwa s41, v10, v30 src0_sel:BYTE_0 src1_sel:DWORD
	v_mov_b32_e32 v2, 0
	s_andn2_b32 s13, s13, exec_lo
	s_and_b32 s41, s41, exec_lo
	s_or_b32 s13, s13, s41
	s_or_b32 exec_lo, exec_lo, s40
	s_and_saveexec_b32 s40, s13
	s_cbranch_execnz .LBB6_8111
	s_branch .LBB6_8112
.LBB6_8677:                             ;   in Loop: Header=BB6_8099 Depth=2
	s_or_saveexec_b32 s40, s40
	v_mov_b32_e32 v29, 0x7f800001
	s_xor_b32 exec_lo, exec_lo, s40
	s_cbranch_execz .LBB6_8118
.LBB6_8678:                             ;   in Loop: Header=BB6_8099 Depth=2
	v_cmp_ne_u16_sdwa s41, v14, v30 src0_sel:BYTE_0 src1_sel:DWORD
	v_mov_b32_e32 v29, 0
	s_andn2_b32 s13, s13, exec_lo
	s_and_b32 s41, s41, exec_lo
	s_or_b32 s13, s13, s41
	s_or_b32 exec_lo, exec_lo, s40
	s_and_saveexec_b32 s40, s13
	s_cbranch_execnz .LBB6_8119
	s_branch .LBB6_8120
.LBB6_8679:                             ;   in Loop: Header=BB6_8099 Depth=2
	s_or_saveexec_b32 s40, s40
	v_mov_b32_e32 v2, 0x7f800001
	s_xor_b32 exec_lo, exec_lo, s40
	s_cbranch_execz .LBB6_8124
.LBB6_8680:                             ;   in Loop: Header=BB6_8099 Depth=2
	v_cmp_ne_u16_sdwa s41, v10, v30 src0_sel:BYTE_0 src1_sel:DWORD
	v_mov_b32_e32 v2, 0
	s_andn2_b32 s13, s13, exec_lo
	s_and_b32 s41, s41, exec_lo
	s_or_b32 s13, s13, s41
	s_or_b32 exec_lo, exec_lo, s40
	s_and_saveexec_b32 s40, s13
	s_cbranch_execnz .LBB6_8125
	s_branch .LBB6_8126
.LBB6_8681:                             ;   in Loop: Header=BB6_8099 Depth=2
	s_or_saveexec_b32 s40, s40
	v_mov_b32_e32 v32, 0x7f800001
	s_xor_b32 exec_lo, exec_lo, s40
	s_cbranch_execz .LBB6_8140
.LBB6_8682:                             ;   in Loop: Header=BB6_8099 Depth=2
	v_cmp_ne_u16_sdwa s41, v14, v30 src0_sel:BYTE_1 src1_sel:DWORD
	v_mov_b32_e32 v32, 0
	s_andn2_b32 s13, s13, exec_lo
	s_and_b32 s41, s41, exec_lo
	s_or_b32 s13, s13, s41
	s_or_b32 exec_lo, exec_lo, s40
	s_and_saveexec_b32 s40, s13
	s_cbranch_execnz .LBB6_8141
	s_branch .LBB6_8142
.LBB6_8683:                             ;   in Loop: Header=BB6_8099 Depth=2
	s_or_saveexec_b32 s40, s40
	v_mov_b32_e32 v2, 0x7f800001
	s_xor_b32 exec_lo, exec_lo, s40
	s_cbranch_execz .LBB6_8146
.LBB6_8684:                             ;   in Loop: Header=BB6_8099 Depth=2
	v_cmp_ne_u16_sdwa s41, v10, v30 src0_sel:BYTE_1 src1_sel:DWORD
	v_mov_b32_e32 v2, 0
	s_andn2_b32 s13, s13, exec_lo
	s_and_b32 s41, s41, exec_lo
	s_or_b32 s13, s13, s41
	s_or_b32 exec_lo, exec_lo, s40
	s_and_saveexec_b32 s40, s13
	s_cbranch_execnz .LBB6_8147
	s_branch .LBB6_8148
.LBB6_8685:                             ;   in Loop: Header=BB6_8099 Depth=2
	s_or_saveexec_b32 s40, s40
	v_mov_b32_e32 v32, 0x7f800001
	s_xor_b32 exec_lo, exec_lo, s40
	s_cbranch_execz .LBB6_8154
.LBB6_8686:                             ;   in Loop: Header=BB6_8099 Depth=2
	v_cmp_ne_u16_sdwa s41, v14, v30 src0_sel:BYTE_1 src1_sel:DWORD
	v_mov_b32_e32 v32, 0
	s_andn2_b32 s13, s13, exec_lo
	s_and_b32 s41, s41, exec_lo
	s_or_b32 s13, s13, s41
	s_or_b32 exec_lo, exec_lo, s40
	s_and_saveexec_b32 s40, s13
	s_cbranch_execnz .LBB6_8155
	s_branch .LBB6_8156
.LBB6_8687:                             ;   in Loop: Header=BB6_8099 Depth=2
	s_or_saveexec_b32 s40, s40
	v_mov_b32_e32 v2, 0x7f800001
	s_xor_b32 exec_lo, exec_lo, s40
	s_cbranch_execz .LBB6_8160
.LBB6_8688:                             ;   in Loop: Header=BB6_8099 Depth=2
	v_cmp_ne_u16_sdwa s41, v10, v30 src0_sel:BYTE_1 src1_sel:DWORD
	v_mov_b32_e32 v2, 0
	s_andn2_b32 s13, s13, exec_lo
	s_and_b32 s41, s41, exec_lo
	s_or_b32 s13, s13, s41
	s_or_b32 exec_lo, exec_lo, s40
	s_and_saveexec_b32 s40, s13
	s_cbranch_execnz .LBB6_8161
	s_branch .LBB6_8162
.LBB6_8689:                             ;   in Loop: Header=BB6_8099 Depth=2
	s_or_saveexec_b32 s13, s13
	v_mov_b32_e32 v34, 0x7f800001
	s_xor_b32 exec_lo, exec_lo, s13
	s_cbranch_execz .LBB6_8176
.LBB6_8690:                             ;   in Loop: Header=BB6_8099 Depth=2
	v_cmp_ne_u16_e32 vcc_lo, 0, v33
	v_mov_b32_e32 v34, 0
	s_andn2_b32 s40, s40, exec_lo
	s_and_b32 s41, vcc_lo, exec_lo
	s_or_b32 s40, s40, s41
	s_or_b32 exec_lo, exec_lo, s13
	s_and_saveexec_b32 s13, s40
	s_cbranch_execnz .LBB6_8177
	s_branch .LBB6_8178
.LBB6_8691:                             ;   in Loop: Header=BB6_8099 Depth=2
	s_or_saveexec_b32 s40, s40
	v_mov_b32_e32 v2, 0x7f800001
	s_xor_b32 exec_lo, exec_lo, s40
	s_cbranch_execz .LBB6_8182
.LBB6_8692:                             ;   in Loop: Header=BB6_8099 Depth=2
	v_cmp_ne_u16_e32 vcc_lo, 0, v3
	v_mov_b32_e32 v2, 0
	s_andn2_b32 s13, s13, exec_lo
	s_and_b32 s41, vcc_lo, exec_lo
	s_or_b32 s13, s13, s41
	s_or_b32 exec_lo, exec_lo, s40
	s_and_saveexec_b32 s40, s13
	s_cbranch_execnz .LBB6_8183
	s_branch .LBB6_8184
.LBB6_8693:                             ;   in Loop: Header=BB6_8099 Depth=2
	s_or_saveexec_b32 s40, s40
	v_mov_b32_e32 v34, 0x7f800001
	s_xor_b32 exec_lo, exec_lo, s40
	s_cbranch_execz .LBB6_8190
.LBB6_8694:                             ;   in Loop: Header=BB6_8099 Depth=2
	v_cmp_ne_u16_e32 vcc_lo, 0, v33
	v_mov_b32_e32 v34, 0
	s_andn2_b32 s13, s13, exec_lo
	s_and_b32 s41, vcc_lo, exec_lo
	s_or_b32 s13, s13, s41
	s_or_b32 exec_lo, exec_lo, s40
	s_and_saveexec_b32 s40, s13
	s_cbranch_execnz .LBB6_8191
	s_branch .LBB6_8192
.LBB6_8695:                             ;   in Loop: Header=BB6_8099 Depth=2
	s_or_saveexec_b32 s40, s40
	v_mov_b32_e32 v2, 0x7f800001
	s_xor_b32 exec_lo, exec_lo, s40
	s_cbranch_execz .LBB6_8196
.LBB6_8696:                             ;   in Loop: Header=BB6_8099 Depth=2
	v_cmp_ne_u16_e32 vcc_lo, 0, v3
	v_mov_b32_e32 v2, 0
	s_andn2_b32 s13, s13, exec_lo
	s_and_b32 s41, vcc_lo, exec_lo
	s_or_b32 s13, s13, s41
	s_or_b32 exec_lo, exec_lo, s40
	s_and_saveexec_b32 s40, s13
	s_cbranch_execnz .LBB6_8197
	s_branch .LBB6_8198
.LBB6_8697:                             ;   in Loop: Header=BB6_8099 Depth=2
	s_or_saveexec_b32 s40, s40
	v_mov_b32_e32 v34, 0x7f800001
	s_xor_b32 exec_lo, exec_lo, s40
	s_cbranch_execz .LBB6_8212
.LBB6_8698:                             ;   in Loop: Header=BB6_8099 Depth=2
	v_cmp_ne_u16_sdwa s41, v14, v30 src0_sel:BYTE_3 src1_sel:DWORD
	v_mov_b32_e32 v34, 0
	s_andn2_b32 s13, s13, exec_lo
	s_and_b32 s41, s41, exec_lo
	s_or_b32 s13, s13, s41
	s_or_b32 exec_lo, exec_lo, s40
	s_and_saveexec_b32 s40, s13
	s_cbranch_execnz .LBB6_8213
	s_branch .LBB6_8214
.LBB6_8699:                             ;   in Loop: Header=BB6_8099 Depth=2
	s_or_saveexec_b32 s40, s40
	v_mov_b32_e32 v2, 0x7f800001
	s_xor_b32 exec_lo, exec_lo, s40
	s_cbranch_execz .LBB6_8218
.LBB6_8700:                             ;   in Loop: Header=BB6_8099 Depth=2
	v_cmp_ne_u16_sdwa s41, v10, v30 src0_sel:BYTE_3 src1_sel:DWORD
	v_mov_b32_e32 v2, 0
	s_andn2_b32 s13, s13, exec_lo
	s_and_b32 s41, s41, exec_lo
	s_or_b32 s13, s13, s41
	s_or_b32 exec_lo, exec_lo, s40
	s_and_saveexec_b32 s40, s13
	s_cbranch_execnz .LBB6_8219
	s_branch .LBB6_8220
.LBB6_8701:                             ;   in Loop: Header=BB6_8099 Depth=2
	s_or_saveexec_b32 s40, s40
	v_mov_b32_e32 v34, 0x7f800001
	s_xor_b32 exec_lo, exec_lo, s40
	s_cbranch_execz .LBB6_8226
.LBB6_8702:                             ;   in Loop: Header=BB6_8099 Depth=2
	v_cmp_ne_u16_sdwa s41, v14, v30 src0_sel:BYTE_3 src1_sel:DWORD
	v_mov_b32_e32 v34, 0
	s_andn2_b32 s13, s13, exec_lo
	s_and_b32 s41, s41, exec_lo
	s_or_b32 s13, s13, s41
	s_or_b32 exec_lo, exec_lo, s40
	s_and_saveexec_b32 s40, s13
	s_cbranch_execnz .LBB6_8227
	s_branch .LBB6_8228
.LBB6_8703:                             ;   in Loop: Header=BB6_8099 Depth=2
	s_or_saveexec_b32 s40, s40
	v_mov_b32_e32 v2, 0x7f800001
	s_xor_b32 exec_lo, exec_lo, s40
	s_cbranch_execz .LBB6_8232
.LBB6_8704:                             ;   in Loop: Header=BB6_8099 Depth=2
	v_cmp_ne_u16_sdwa s41, v10, v30 src0_sel:BYTE_3 src1_sel:DWORD
	v_mov_b32_e32 v2, 0
	s_andn2_b32 s13, s13, exec_lo
	s_and_b32 s41, s41, exec_lo
	s_or_b32 s13, s13, s41
	s_or_b32 exec_lo, exec_lo, s40
	s_and_saveexec_b32 s40, s13
	s_cbranch_execnz .LBB6_8233
	s_branch .LBB6_8234
.LBB6_8705:                             ;   in Loop: Header=BB6_8099 Depth=2
	s_or_saveexec_b32 s40, s40
	v_mov_b32_e32 v33, 0x7f800001
	s_xor_b32 exec_lo, exec_lo, s40
	s_cbranch_execz .LBB6_8248
.LBB6_8706:                             ;   in Loop: Header=BB6_8099 Depth=2
	v_cmp_ne_u16_sdwa s41, v15, v30 src0_sel:BYTE_0 src1_sel:DWORD
	v_mov_b32_e32 v33, 0
	s_andn2_b32 s13, s13, exec_lo
	s_and_b32 s41, s41, exec_lo
	s_or_b32 s13, s13, s41
	s_or_b32 exec_lo, exec_lo, s40
	s_and_saveexec_b32 s40, s13
	s_cbranch_execnz .LBB6_8249
	s_branch .LBB6_8250
.LBB6_8707:                             ;   in Loop: Header=BB6_8099 Depth=2
	s_or_saveexec_b32 s40, s40
	v_mov_b32_e32 v2, 0x7f800001
	s_xor_b32 exec_lo, exec_lo, s40
	s_cbranch_execz .LBB6_8254
.LBB6_8708:                             ;   in Loop: Header=BB6_8099 Depth=2
	v_cmp_ne_u16_sdwa s41, v11, v30 src0_sel:BYTE_0 src1_sel:DWORD
	v_mov_b32_e32 v2, 0
	s_andn2_b32 s13, s13, exec_lo
	s_and_b32 s41, s41, exec_lo
	s_or_b32 s13, s13, s41
	s_or_b32 exec_lo, exec_lo, s40
	s_and_saveexec_b32 s40, s13
	s_cbranch_execnz .LBB6_8255
	s_branch .LBB6_8256
.LBB6_8709:                             ;   in Loop: Header=BB6_8099 Depth=2
	s_or_saveexec_b32 s40, s40
	v_mov_b32_e32 v33, 0x7f800001
	s_xor_b32 exec_lo, exec_lo, s40
	s_cbranch_execz .LBB6_8262
.LBB6_8710:                             ;   in Loop: Header=BB6_8099 Depth=2
	v_cmp_ne_u16_sdwa s41, v15, v30 src0_sel:BYTE_0 src1_sel:DWORD
	v_mov_b32_e32 v33, 0
	s_andn2_b32 s13, s13, exec_lo
	s_and_b32 s41, s41, exec_lo
	s_or_b32 s13, s13, s41
	s_or_b32 exec_lo, exec_lo, s40
	s_and_saveexec_b32 s40, s13
	s_cbranch_execnz .LBB6_8263
	s_branch .LBB6_8264
.LBB6_8711:                             ;   in Loop: Header=BB6_8099 Depth=2
	s_or_saveexec_b32 s40, s40
	v_mov_b32_e32 v2, 0x7f800001
	s_xor_b32 exec_lo, exec_lo, s40
	s_cbranch_execz .LBB6_8268
.LBB6_8712:                             ;   in Loop: Header=BB6_8099 Depth=2
	v_cmp_ne_u16_sdwa s41, v11, v30 src0_sel:BYTE_0 src1_sel:DWORD
	v_mov_b32_e32 v2, 0
	s_andn2_b32 s13, s13, exec_lo
	s_and_b32 s41, s41, exec_lo
	s_or_b32 s13, s13, s41
	s_or_b32 exec_lo, exec_lo, s40
	s_and_saveexec_b32 s40, s13
	s_cbranch_execnz .LBB6_8269
	s_branch .LBB6_8270
.LBB6_8713:                             ;   in Loop: Header=BB6_8099 Depth=2
	s_or_saveexec_b32 s40, s40
	v_mov_b32_e32 v34, 0x7f800001
	s_xor_b32 exec_lo, exec_lo, s40
	s_cbranch_execz .LBB6_8284
.LBB6_8714:                             ;   in Loop: Header=BB6_8099 Depth=2
	v_cmp_ne_u16_sdwa s41, v15, v30 src0_sel:BYTE_1 src1_sel:DWORD
	v_mov_b32_e32 v34, 0
	s_andn2_b32 s13, s13, exec_lo
	s_and_b32 s41, s41, exec_lo
	s_or_b32 s13, s13, s41
	s_or_b32 exec_lo, exec_lo, s40
	s_and_saveexec_b32 s40, s13
	s_cbranch_execnz .LBB6_8285
	s_branch .LBB6_8286
.LBB6_8715:                             ;   in Loop: Header=BB6_8099 Depth=2
	s_or_saveexec_b32 s40, s40
	v_mov_b32_e32 v2, 0x7f800001
	s_xor_b32 exec_lo, exec_lo, s40
	s_cbranch_execz .LBB6_8290
.LBB6_8716:                             ;   in Loop: Header=BB6_8099 Depth=2
	v_cmp_ne_u16_sdwa s41, v11, v30 src0_sel:BYTE_1 src1_sel:DWORD
	v_mov_b32_e32 v2, 0
	s_andn2_b32 s13, s13, exec_lo
	s_and_b32 s41, s41, exec_lo
	s_or_b32 s13, s13, s41
	s_or_b32 exec_lo, exec_lo, s40
	s_and_saveexec_b32 s40, s13
	s_cbranch_execnz .LBB6_8291
	s_branch .LBB6_8292
.LBB6_8717:                             ;   in Loop: Header=BB6_8099 Depth=2
	s_or_saveexec_b32 s40, s40
	v_mov_b32_e32 v34, 0x7f800001
	s_xor_b32 exec_lo, exec_lo, s40
	s_cbranch_execz .LBB6_8298
.LBB6_8718:                             ;   in Loop: Header=BB6_8099 Depth=2
	v_cmp_ne_u16_sdwa s41, v15, v30 src0_sel:BYTE_1 src1_sel:DWORD
	v_mov_b32_e32 v34, 0
	s_andn2_b32 s13, s13, exec_lo
	s_and_b32 s41, s41, exec_lo
	s_or_b32 s13, s13, s41
	s_or_b32 exec_lo, exec_lo, s40
	s_and_saveexec_b32 s40, s13
	s_cbranch_execnz .LBB6_8299
	s_branch .LBB6_8300
.LBB6_8719:                             ;   in Loop: Header=BB6_8099 Depth=2
	s_or_saveexec_b32 s40, s40
	v_mov_b32_e32 v2, 0x7f800001
	s_xor_b32 exec_lo, exec_lo, s40
	s_cbranch_execz .LBB6_8304
.LBB6_8720:                             ;   in Loop: Header=BB6_8099 Depth=2
	v_cmp_ne_u16_sdwa s41, v11, v30 src0_sel:BYTE_1 src1_sel:DWORD
	v_mov_b32_e32 v2, 0
	s_andn2_b32 s13, s13, exec_lo
	s_and_b32 s41, s41, exec_lo
	s_or_b32 s13, s13, s41
	s_or_b32 exec_lo, exec_lo, s40
	s_and_saveexec_b32 s40, s13
	s_cbranch_execnz .LBB6_8305
	s_branch .LBB6_8306
.LBB6_8721:                             ;   in Loop: Header=BB6_8099 Depth=2
	s_or_saveexec_b32 s13, s13
	v_mov_b32_e32 v36, 0x7f800001
	s_xor_b32 exec_lo, exec_lo, s13
	s_cbranch_execz .LBB6_8320
.LBB6_8722:                             ;   in Loop: Header=BB6_8099 Depth=2
	v_cmp_ne_u16_e32 vcc_lo, 0, v35
	v_mov_b32_e32 v36, 0
	s_andn2_b32 s40, s40, exec_lo
	s_and_b32 s41, vcc_lo, exec_lo
	s_or_b32 s40, s40, s41
	s_or_b32 exec_lo, exec_lo, s13
	s_and_saveexec_b32 s13, s40
	s_cbranch_execnz .LBB6_8321
	s_branch .LBB6_8322
.LBB6_8723:                             ;   in Loop: Header=BB6_8099 Depth=2
	s_or_saveexec_b32 s40, s40
	v_mov_b32_e32 v2, 0x7f800001
	s_xor_b32 exec_lo, exec_lo, s40
	s_cbranch_execz .LBB6_8326
.LBB6_8724:                             ;   in Loop: Header=BB6_8099 Depth=2
	v_cmp_ne_u16_e32 vcc_lo, 0, v3
	v_mov_b32_e32 v2, 0
	s_andn2_b32 s13, s13, exec_lo
	s_and_b32 s41, vcc_lo, exec_lo
	s_or_b32 s13, s13, s41
	s_or_b32 exec_lo, exec_lo, s40
	s_and_saveexec_b32 s40, s13
	s_cbranch_execnz .LBB6_8327
	s_branch .LBB6_8328
.LBB6_8725:                             ;   in Loop: Header=BB6_8099 Depth=2
	s_or_saveexec_b32 s40, s40
	v_mov_b32_e32 v36, 0x7f800001
	s_xor_b32 exec_lo, exec_lo, s40
	s_cbranch_execz .LBB6_8334
.LBB6_8726:                             ;   in Loop: Header=BB6_8099 Depth=2
	v_cmp_ne_u16_e32 vcc_lo, 0, v35
	v_mov_b32_e32 v36, 0
	s_andn2_b32 s13, s13, exec_lo
	s_and_b32 s41, vcc_lo, exec_lo
	s_or_b32 s13, s13, s41
	s_or_b32 exec_lo, exec_lo, s40
	s_and_saveexec_b32 s40, s13
	s_cbranch_execnz .LBB6_8335
	s_branch .LBB6_8336
.LBB6_8727:                             ;   in Loop: Header=BB6_8099 Depth=2
	s_or_saveexec_b32 s40, s40
	v_mov_b32_e32 v2, 0x7f800001
	s_xor_b32 exec_lo, exec_lo, s40
	s_cbranch_execz .LBB6_8340
.LBB6_8728:                             ;   in Loop: Header=BB6_8099 Depth=2
	v_cmp_ne_u16_e32 vcc_lo, 0, v3
	v_mov_b32_e32 v2, 0
	s_andn2_b32 s13, s13, exec_lo
	s_and_b32 s41, vcc_lo, exec_lo
	s_or_b32 s13, s13, s41
	s_or_b32 exec_lo, exec_lo, s40
	s_and_saveexec_b32 s40, s13
	s_cbranch_execnz .LBB6_8341
	s_branch .LBB6_8342
.LBB6_8729:                             ;   in Loop: Header=BB6_8099 Depth=2
	s_or_saveexec_b32 s40, s40
	v_mov_b32_e32 v36, 0x7f800001
	s_xor_b32 exec_lo, exec_lo, s40
	s_cbranch_execz .LBB6_8356
.LBB6_8730:                             ;   in Loop: Header=BB6_8099 Depth=2
	v_cmp_ne_u16_sdwa s41, v15, v30 src0_sel:BYTE_3 src1_sel:DWORD
	v_mov_b32_e32 v36, 0
	s_andn2_b32 s13, s13, exec_lo
	s_and_b32 s41, s41, exec_lo
	s_or_b32 s13, s13, s41
	s_or_b32 exec_lo, exec_lo, s40
	s_and_saveexec_b32 s40, s13
	s_cbranch_execnz .LBB6_8357
	s_branch .LBB6_8358
.LBB6_8731:                             ;   in Loop: Header=BB6_8099 Depth=2
	s_or_saveexec_b32 s40, s40
	v_mov_b32_e32 v2, 0x7f800001
	s_xor_b32 exec_lo, exec_lo, s40
	s_cbranch_execz .LBB6_8362
.LBB6_8732:                             ;   in Loop: Header=BB6_8099 Depth=2
	v_cmp_ne_u16_sdwa s41, v11, v30 src0_sel:BYTE_3 src1_sel:DWORD
	v_mov_b32_e32 v2, 0
	s_andn2_b32 s13, s13, exec_lo
	s_and_b32 s41, s41, exec_lo
	s_or_b32 s13, s13, s41
	s_or_b32 exec_lo, exec_lo, s40
	s_and_saveexec_b32 s40, s13
	s_cbranch_execnz .LBB6_8363
	s_branch .LBB6_8364
.LBB6_8733:                             ;   in Loop: Header=BB6_8099 Depth=2
	s_or_saveexec_b32 s40, s40
	v_mov_b32_e32 v36, 0x7f800001
	s_xor_b32 exec_lo, exec_lo, s40
	s_cbranch_execz .LBB6_8370
.LBB6_8734:                             ;   in Loop: Header=BB6_8099 Depth=2
	v_cmp_ne_u16_sdwa s41, v15, v30 src0_sel:BYTE_3 src1_sel:DWORD
	v_mov_b32_e32 v36, 0
	s_andn2_b32 s13, s13, exec_lo
	s_and_b32 s41, s41, exec_lo
	s_or_b32 s13, s13, s41
	s_or_b32 exec_lo, exec_lo, s40
	s_and_saveexec_b32 s40, s13
	s_cbranch_execnz .LBB6_8371
	s_branch .LBB6_8372
.LBB6_8735:                             ;   in Loop: Header=BB6_8099 Depth=2
	s_or_saveexec_b32 s40, s40
	v_mov_b32_e32 v2, 0x7f800001
	s_xor_b32 exec_lo, exec_lo, s40
	s_cbranch_execz .LBB6_8376
.LBB6_8736:                             ;   in Loop: Header=BB6_8099 Depth=2
	v_cmp_ne_u16_sdwa s41, v11, v30 src0_sel:BYTE_3 src1_sel:DWORD
	v_mov_b32_e32 v2, 0
	s_andn2_b32 s13, s13, exec_lo
	s_and_b32 s41, s41, exec_lo
	s_or_b32 s13, s13, s41
	s_or_b32 exec_lo, exec_lo, s40
	s_and_saveexec_b32 s40, s13
	s_cbranch_execnz .LBB6_8377
	s_branch .LBB6_8378
.LBB6_8737:                             ;   in Loop: Header=BB6_8099 Depth=2
	s_or_saveexec_b32 s40, s40
	v_mov_b32_e32 v11, 0x7f800001
	s_xor_b32 exec_lo, exec_lo, s40
	s_cbranch_execz .LBB6_8392
.LBB6_8738:                             ;   in Loop: Header=BB6_8099 Depth=2
	v_cmp_ne_u16_sdwa s41, v16, v30 src0_sel:BYTE_0 src1_sel:DWORD
	v_mov_b32_e32 v11, 0
	s_andn2_b32 s13, s13, exec_lo
	s_and_b32 s41, s41, exec_lo
	s_or_b32 s13, s13, s41
	s_or_b32 exec_lo, exec_lo, s40
	s_and_saveexec_b32 s40, s13
	s_cbranch_execnz .LBB6_8393
	s_branch .LBB6_8394
.LBB6_8739:                             ;   in Loop: Header=BB6_8099 Depth=2
	s_or_saveexec_b32 s40, s40
	v_mov_b32_e32 v2, 0x7f800001
	s_xor_b32 exec_lo, exec_lo, s40
	s_cbranch_execz .LBB6_8398
.LBB6_8740:                             ;   in Loop: Header=BB6_8099 Depth=2
	v_cmp_ne_u16_sdwa s41, v12, v30 src0_sel:BYTE_0 src1_sel:DWORD
	v_mov_b32_e32 v2, 0
	s_andn2_b32 s13, s13, exec_lo
	s_and_b32 s41, s41, exec_lo
	s_or_b32 s13, s13, s41
	s_or_b32 exec_lo, exec_lo, s40
	s_and_saveexec_b32 s40, s13
	s_cbranch_execnz .LBB6_8399
	s_branch .LBB6_8400
.LBB6_8741:                             ;   in Loop: Header=BB6_8099 Depth=2
	s_or_saveexec_b32 s40, s40
	v_mov_b32_e32 v11, 0x7f800001
	s_xor_b32 exec_lo, exec_lo, s40
	s_cbranch_execz .LBB6_8406
.LBB6_8742:                             ;   in Loop: Header=BB6_8099 Depth=2
	v_cmp_ne_u16_sdwa s41, v16, v30 src0_sel:BYTE_0 src1_sel:DWORD
	v_mov_b32_e32 v11, 0
	s_andn2_b32 s13, s13, exec_lo
	s_and_b32 s41, s41, exec_lo
	s_or_b32 s13, s13, s41
	s_or_b32 exec_lo, exec_lo, s40
	s_and_saveexec_b32 s40, s13
	s_cbranch_execnz .LBB6_8407
	s_branch .LBB6_8408
.LBB6_8743:                             ;   in Loop: Header=BB6_8099 Depth=2
	s_or_saveexec_b32 s40, s40
	v_mov_b32_e32 v2, 0x7f800001
	s_xor_b32 exec_lo, exec_lo, s40
	s_cbranch_execz .LBB6_8412
.LBB6_8744:                             ;   in Loop: Header=BB6_8099 Depth=2
	v_cmp_ne_u16_sdwa s41, v12, v30 src0_sel:BYTE_0 src1_sel:DWORD
	v_mov_b32_e32 v2, 0
	s_andn2_b32 s13, s13, exec_lo
	s_and_b32 s41, s41, exec_lo
	s_or_b32 s13, s13, s41
	s_or_b32 exec_lo, exec_lo, s40
	s_and_saveexec_b32 s40, s13
	s_cbranch_execnz .LBB6_8413
	s_branch .LBB6_8414
.LBB6_8745:                             ;   in Loop: Header=BB6_8099 Depth=2
	s_or_saveexec_b32 s40, s40
	v_mov_b32_e32 v11, 0x7f800001
	s_xor_b32 exec_lo, exec_lo, s40
	s_cbranch_execz .LBB6_8428
.LBB6_8746:                             ;   in Loop: Header=BB6_8099 Depth=2
	v_cmp_ne_u16_sdwa s41, v16, v30 src0_sel:BYTE_1 src1_sel:DWORD
	v_mov_b32_e32 v11, 0
	s_andn2_b32 s13, s13, exec_lo
	s_and_b32 s41, s41, exec_lo
	s_or_b32 s13, s13, s41
	s_or_b32 exec_lo, exec_lo, s40
	s_and_saveexec_b32 s40, s13
	s_cbranch_execnz .LBB6_8429
	s_branch .LBB6_8430
.LBB6_8747:                             ;   in Loop: Header=BB6_8099 Depth=2
	s_or_saveexec_b32 s40, s40
	v_mov_b32_e32 v2, 0x7f800001
	s_xor_b32 exec_lo, exec_lo, s40
	s_cbranch_execz .LBB6_8434
.LBB6_8748:                             ;   in Loop: Header=BB6_8099 Depth=2
	v_cmp_ne_u16_sdwa s41, v12, v30 src0_sel:BYTE_1 src1_sel:DWORD
	v_mov_b32_e32 v2, 0
	s_andn2_b32 s13, s13, exec_lo
	s_and_b32 s41, s41, exec_lo
	s_or_b32 s13, s13, s41
	s_or_b32 exec_lo, exec_lo, s40
	s_and_saveexec_b32 s40, s13
	s_cbranch_execnz .LBB6_8435
	s_branch .LBB6_8436
.LBB6_8749:                             ;   in Loop: Header=BB6_8099 Depth=2
	s_or_saveexec_b32 s40, s40
	v_mov_b32_e32 v11, 0x7f800001
	s_xor_b32 exec_lo, exec_lo, s40
	s_cbranch_execz .LBB6_8442
.LBB6_8750:                             ;   in Loop: Header=BB6_8099 Depth=2
	v_cmp_ne_u16_sdwa s41, v16, v30 src0_sel:BYTE_1 src1_sel:DWORD
	v_mov_b32_e32 v11, 0
	s_andn2_b32 s13, s13, exec_lo
	s_and_b32 s41, s41, exec_lo
	s_or_b32 s13, s13, s41
	s_or_b32 exec_lo, exec_lo, s40
	s_and_saveexec_b32 s40, s13
	s_cbranch_execnz .LBB6_8443
	s_branch .LBB6_8444
.LBB6_8751:                             ;   in Loop: Header=BB6_8099 Depth=2
	s_or_saveexec_b32 s40, s40
	v_mov_b32_e32 v2, 0x7f800001
	s_xor_b32 exec_lo, exec_lo, s40
	s_cbranch_execz .LBB6_8448
.LBB6_8752:                             ;   in Loop: Header=BB6_8099 Depth=2
	v_cmp_ne_u16_sdwa s41, v12, v30 src0_sel:BYTE_1 src1_sel:DWORD
	v_mov_b32_e32 v2, 0
	s_andn2_b32 s13, s13, exec_lo
	s_and_b32 s41, s41, exec_lo
	s_or_b32 s13, s13, s41
	s_or_b32 exec_lo, exec_lo, s40
	s_and_saveexec_b32 s40, s13
	s_cbranch_execnz .LBB6_8449
	s_branch .LBB6_8450
.LBB6_8753:                             ;   in Loop: Header=BB6_8099 Depth=2
	s_or_saveexec_b32 s13, s13
	v_mov_b32_e32 v38, 0x7f800001
	s_xor_b32 exec_lo, exec_lo, s13
	s_cbranch_execz .LBB6_8464
.LBB6_8754:                             ;   in Loop: Header=BB6_8099 Depth=2
	v_cmp_ne_u16_e32 vcc_lo, 0, v11
	v_mov_b32_e32 v38, 0
	s_andn2_b32 s40, s40, exec_lo
	s_and_b32 s41, vcc_lo, exec_lo
	s_or_b32 s40, s40, s41
	s_or_b32 exec_lo, exec_lo, s13
	s_and_saveexec_b32 s13, s40
	s_cbranch_execnz .LBB6_8465
	s_branch .LBB6_8466
.LBB6_8755:                             ;   in Loop: Header=BB6_8099 Depth=2
	s_or_saveexec_b32 s40, s40
	v_mov_b32_e32 v2, 0x7f800001
	s_xor_b32 exec_lo, exec_lo, s40
	s_cbranch_execz .LBB6_8470
.LBB6_8756:                             ;   in Loop: Header=BB6_8099 Depth=2
	v_cmp_ne_u16_e32 vcc_lo, 0, v3
	v_mov_b32_e32 v2, 0
	s_andn2_b32 s13, s13, exec_lo
	s_and_b32 s41, vcc_lo, exec_lo
	s_or_b32 s13, s13, s41
	s_or_b32 exec_lo, exec_lo, s40
	s_and_saveexec_b32 s40, s13
	s_cbranch_execnz .LBB6_8471
	s_branch .LBB6_8472
.LBB6_8757:                             ;   in Loop: Header=BB6_8099 Depth=2
	s_or_saveexec_b32 s40, s40
	v_mov_b32_e32 v38, 0x7f800001
	s_xor_b32 exec_lo, exec_lo, s40
	s_cbranch_execz .LBB6_8478
.LBB6_8758:                             ;   in Loop: Header=BB6_8099 Depth=2
	v_cmp_ne_u16_e32 vcc_lo, 0, v11
	v_mov_b32_e32 v38, 0
	s_andn2_b32 s13, s13, exec_lo
	s_and_b32 s41, vcc_lo, exec_lo
	s_or_b32 s13, s13, s41
	s_or_b32 exec_lo, exec_lo, s40
	s_and_saveexec_b32 s40, s13
	s_cbranch_execnz .LBB6_8479
	s_branch .LBB6_8480
.LBB6_8759:                             ;   in Loop: Header=BB6_8099 Depth=2
	s_or_saveexec_b32 s40, s40
	v_mov_b32_e32 v2, 0x7f800001
	s_xor_b32 exec_lo, exec_lo, s40
	s_cbranch_execz .LBB6_8484
.LBB6_8760:                             ;   in Loop: Header=BB6_8099 Depth=2
	v_cmp_ne_u16_e32 vcc_lo, 0, v3
	v_mov_b32_e32 v2, 0
	s_andn2_b32 s13, s13, exec_lo
	s_and_b32 s41, vcc_lo, exec_lo
	s_or_b32 s13, s13, s41
	s_or_b32 exec_lo, exec_lo, s40
	s_and_saveexec_b32 s40, s13
	s_cbranch_execnz .LBB6_8485
	s_branch .LBB6_8486
.LBB6_8761:                             ;   in Loop: Header=BB6_8099 Depth=2
	s_or_saveexec_b32 s40, s40
	v_mov_b32_e32 v11, 0x7f800001
	s_xor_b32 exec_lo, exec_lo, s40
	s_cbranch_execz .LBB6_8500
.LBB6_8762:                             ;   in Loop: Header=BB6_8099 Depth=2
	v_cmp_ne_u16_sdwa s41, v16, v30 src0_sel:BYTE_3 src1_sel:DWORD
	v_mov_b32_e32 v11, 0
	s_andn2_b32 s13, s13, exec_lo
	s_and_b32 s41, s41, exec_lo
	s_or_b32 s13, s13, s41
	s_or_b32 exec_lo, exec_lo, s40
	s_and_saveexec_b32 s40, s13
	s_cbranch_execnz .LBB6_8501
	s_branch .LBB6_8502
.LBB6_8763:                             ;   in Loop: Header=BB6_8099 Depth=2
	s_or_saveexec_b32 s40, s40
	v_mov_b32_e32 v2, 0x7f800001
	s_xor_b32 exec_lo, exec_lo, s40
	s_cbranch_execz .LBB6_8506
.LBB6_8764:                             ;   in Loop: Header=BB6_8099 Depth=2
	v_cmp_ne_u16_sdwa s41, v12, v30 src0_sel:BYTE_3 src1_sel:DWORD
	v_mov_b32_e32 v2, 0
	s_andn2_b32 s13, s13, exec_lo
	s_and_b32 s41, s41, exec_lo
	s_or_b32 s13, s13, s41
	s_or_b32 exec_lo, exec_lo, s40
	s_and_saveexec_b32 s40, s13
	s_cbranch_execnz .LBB6_8507
	s_branch .LBB6_8508
.LBB6_8765:                             ;   in Loop: Header=BB6_8099 Depth=2
	s_or_saveexec_b32 s40, s40
	v_mov_b32_e32 v11, 0x7f800001
	s_xor_b32 exec_lo, exec_lo, s40
	s_cbranch_execz .LBB6_8514
.LBB6_8766:                             ;   in Loop: Header=BB6_8099 Depth=2
	v_cmp_ne_u16_sdwa s41, v16, v30 src0_sel:BYTE_3 src1_sel:DWORD
	v_mov_b32_e32 v11, 0
	s_andn2_b32 s13, s13, exec_lo
	s_and_b32 s41, s41, exec_lo
	s_or_b32 s13, s13, s41
	s_or_b32 exec_lo, exec_lo, s40
	s_and_saveexec_b32 s40, s13
	s_cbranch_execnz .LBB6_8515
	s_branch .LBB6_8516
.LBB6_8767:                             ;   in Loop: Header=BB6_8099 Depth=2
	s_or_saveexec_b32 s40, s40
	v_mov_b32_e32 v2, 0x7f800001
	s_xor_b32 exec_lo, exec_lo, s40
	s_cbranch_execz .LBB6_8520
.LBB6_8768:                             ;   in Loop: Header=BB6_8099 Depth=2
	v_cmp_ne_u16_sdwa s41, v12, v30 src0_sel:BYTE_3 src1_sel:DWORD
	v_mov_b32_e32 v2, 0
	s_andn2_b32 s13, s13, exec_lo
	s_and_b32 s41, s41, exec_lo
	s_or_b32 s13, s13, s41
	s_or_b32 exec_lo, exec_lo, s40
	s_and_saveexec_b32 s40, s13
	s_cbranch_execnz .LBB6_8521
	s_branch .LBB6_8522
.LBB6_8769:                             ;   in Loop: Header=BB6_8099 Depth=2
	s_or_saveexec_b32 s40, s40
	v_mov_b32_e32 v11, 0x7f800001
	s_xor_b32 exec_lo, exec_lo, s40
	s_cbranch_execz .LBB6_8536
.LBB6_8770:                             ;   in Loop: Header=BB6_8099 Depth=2
	v_cmp_ne_u16_sdwa s41, v17, v30 src0_sel:BYTE_0 src1_sel:DWORD
	v_mov_b32_e32 v11, 0
	s_andn2_b32 s13, s13, exec_lo
	s_and_b32 s41, s41, exec_lo
	s_or_b32 s13, s13, s41
	s_or_b32 exec_lo, exec_lo, s40
	s_and_saveexec_b32 s40, s13
	s_cbranch_execnz .LBB6_8537
	s_branch .LBB6_8538
.LBB6_8771:                             ;   in Loop: Header=BB6_8099 Depth=2
	s_or_saveexec_b32 s40, s40
	v_mov_b32_e32 v2, 0x7f800001
	s_xor_b32 exec_lo, exec_lo, s40
	s_cbranch_execz .LBB6_8542
.LBB6_8772:                             ;   in Loop: Header=BB6_8099 Depth=2
	v_cmp_ne_u16_sdwa s41, v13, v30 src0_sel:BYTE_0 src1_sel:DWORD
	v_mov_b32_e32 v2, 0
	s_andn2_b32 s13, s13, exec_lo
	s_and_b32 s41, s41, exec_lo
	s_or_b32 s13, s13, s41
	s_or_b32 exec_lo, exec_lo, s40
	s_and_saveexec_b32 s40, s13
	s_cbranch_execnz .LBB6_8543
	s_branch .LBB6_8544
.LBB6_8773:                             ;   in Loop: Header=BB6_8099 Depth=2
	s_or_saveexec_b32 s40, s40
	v_mov_b32_e32 v11, 0x7f800001
	s_xor_b32 exec_lo, exec_lo, s40
	s_cbranch_execz .LBB6_8550
.LBB6_8774:                             ;   in Loop: Header=BB6_8099 Depth=2
	v_cmp_ne_u16_sdwa s41, v17, v30 src0_sel:BYTE_0 src1_sel:DWORD
	v_mov_b32_e32 v11, 0
	s_andn2_b32 s13, s13, exec_lo
	s_and_b32 s41, s41, exec_lo
	s_or_b32 s13, s13, s41
	s_or_b32 exec_lo, exec_lo, s40
	s_and_saveexec_b32 s40, s13
	s_cbranch_execnz .LBB6_8551
	s_branch .LBB6_8552
.LBB6_8775:                             ;   in Loop: Header=BB6_8099 Depth=2
	s_or_saveexec_b32 s40, s40
	v_mov_b32_e32 v2, 0x7f800001
	s_xor_b32 exec_lo, exec_lo, s40
	s_cbranch_execz .LBB6_8556
.LBB6_8776:                             ;   in Loop: Header=BB6_8099 Depth=2
	v_cmp_ne_u16_sdwa s41, v13, v30 src0_sel:BYTE_0 src1_sel:DWORD
	v_mov_b32_e32 v2, 0
	s_andn2_b32 s13, s13, exec_lo
	s_and_b32 s41, s41, exec_lo
	s_or_b32 s13, s13, s41
	s_or_b32 exec_lo, exec_lo, s40
	s_and_saveexec_b32 s40, s13
	s_cbranch_execnz .LBB6_8557
	s_branch .LBB6_8558
.LBB6_8777:                             ;   in Loop: Header=BB6_8099 Depth=2
	s_or_saveexec_b32 s40, s40
	v_mov_b32_e32 v11, 0x7f800001
	s_xor_b32 exec_lo, exec_lo, s40
	s_cbranch_execz .LBB6_8572
.LBB6_8778:                             ;   in Loop: Header=BB6_8099 Depth=2
	v_cmp_ne_u16_sdwa s41, v17, v30 src0_sel:BYTE_1 src1_sel:DWORD
	v_mov_b32_e32 v11, 0
	s_andn2_b32 s13, s13, exec_lo
	s_and_b32 s41, s41, exec_lo
	s_or_b32 s13, s13, s41
	s_or_b32 exec_lo, exec_lo, s40
	s_and_saveexec_b32 s40, s13
	s_cbranch_execnz .LBB6_8573
	s_branch .LBB6_8574
.LBB6_8779:                             ;   in Loop: Header=BB6_8099 Depth=2
	s_or_saveexec_b32 s40, s40
	v_mov_b32_e32 v2, 0x7f800001
	s_xor_b32 exec_lo, exec_lo, s40
	s_cbranch_execz .LBB6_8578
.LBB6_8780:                             ;   in Loop: Header=BB6_8099 Depth=2
	v_cmp_ne_u16_sdwa s41, v13, v30 src0_sel:BYTE_1 src1_sel:DWORD
	v_mov_b32_e32 v2, 0
	s_andn2_b32 s13, s13, exec_lo
	s_and_b32 s41, s41, exec_lo
	s_or_b32 s13, s13, s41
	s_or_b32 exec_lo, exec_lo, s40
	s_and_saveexec_b32 s40, s13
	s_cbranch_execnz .LBB6_8579
	s_branch .LBB6_8580
.LBB6_8781:                             ;   in Loop: Header=BB6_8099 Depth=2
	s_or_saveexec_b32 s40, s40
	v_mov_b32_e32 v11, 0x7f800001
	s_xor_b32 exec_lo, exec_lo, s40
	s_cbranch_execz .LBB6_8586
.LBB6_8782:                             ;   in Loop: Header=BB6_8099 Depth=2
	v_cmp_ne_u16_sdwa s41, v17, v30 src0_sel:BYTE_1 src1_sel:DWORD
	v_mov_b32_e32 v11, 0
	s_andn2_b32 s13, s13, exec_lo
	s_and_b32 s41, s41, exec_lo
	s_or_b32 s13, s13, s41
	s_or_b32 exec_lo, exec_lo, s40
	s_and_saveexec_b32 s40, s13
	s_cbranch_execnz .LBB6_8587
	s_branch .LBB6_8588
.LBB6_8783:                             ;   in Loop: Header=BB6_8099 Depth=2
	s_or_saveexec_b32 s40, s40
	v_mov_b32_e32 v2, 0x7f800001
	s_xor_b32 exec_lo, exec_lo, s40
	s_cbranch_execz .LBB6_8592
.LBB6_8784:                             ;   in Loop: Header=BB6_8099 Depth=2
	v_cmp_ne_u16_sdwa s41, v13, v30 src0_sel:BYTE_1 src1_sel:DWORD
	v_mov_b32_e32 v2, 0
	s_andn2_b32 s13, s13, exec_lo
	s_and_b32 s41, s41, exec_lo
	s_or_b32 s13, s13, s41
	s_or_b32 exec_lo, exec_lo, s40
	s_and_saveexec_b32 s40, s13
	s_cbranch_execnz .LBB6_8593
	s_branch .LBB6_8594
.LBB6_8785:                             ;   in Loop: Header=BB6_8099 Depth=2
	s_or_saveexec_b32 s13, s13
	v_mov_b32_e32 v12, 0x7f800001
	s_xor_b32 exec_lo, exec_lo, s13
	s_cbranch_execz .LBB6_8608
.LBB6_8786:                             ;   in Loop: Header=BB6_8099 Depth=2
	v_cmp_ne_u16_e32 vcc_lo, 0, v11
	v_mov_b32_e32 v12, 0
	s_andn2_b32 s40, s40, exec_lo
	s_and_b32 s41, vcc_lo, exec_lo
	s_or_b32 s40, s40, s41
	s_or_b32 exec_lo, exec_lo, s13
	s_and_saveexec_b32 s13, s40
	s_cbranch_execnz .LBB6_8609
	s_branch .LBB6_8610
.LBB6_8787:                             ;   in Loop: Header=BB6_8099 Depth=2
	s_or_saveexec_b32 s40, s40
	v_mov_b32_e32 v2, 0x7f800001
	s_xor_b32 exec_lo, exec_lo, s40
	s_cbranch_execz .LBB6_8614
.LBB6_8788:                             ;   in Loop: Header=BB6_8099 Depth=2
	v_cmp_ne_u16_e32 vcc_lo, 0, v3
	v_mov_b32_e32 v2, 0
	s_andn2_b32 s13, s13, exec_lo
	s_and_b32 s41, vcc_lo, exec_lo
	s_or_b32 s13, s13, s41
	s_or_b32 exec_lo, exec_lo, s40
	s_and_saveexec_b32 s40, s13
	s_cbranch_execnz .LBB6_8615
	s_branch .LBB6_8616
.LBB6_8789:                             ;   in Loop: Header=BB6_8099 Depth=2
	s_or_saveexec_b32 s40, s40
	v_mov_b32_e32 v12, 0x7f800001
	s_xor_b32 exec_lo, exec_lo, s40
	s_cbranch_execz .LBB6_8622
.LBB6_8790:                             ;   in Loop: Header=BB6_8099 Depth=2
	v_cmp_ne_u16_e32 vcc_lo, 0, v11
	v_mov_b32_e32 v12, 0
	s_andn2_b32 s13, s13, exec_lo
	s_and_b32 s41, vcc_lo, exec_lo
	s_or_b32 s13, s13, s41
	s_or_b32 exec_lo, exec_lo, s40
	s_and_saveexec_b32 s40, s13
	s_cbranch_execnz .LBB6_8623
	s_branch .LBB6_8624
.LBB6_8791:                             ;   in Loop: Header=BB6_8099 Depth=2
	s_or_saveexec_b32 s40, s40
	v_mov_b32_e32 v2, 0x7f800001
	s_xor_b32 exec_lo, exec_lo, s40
	s_cbranch_execz .LBB6_8628
.LBB6_8792:                             ;   in Loop: Header=BB6_8099 Depth=2
	v_cmp_ne_u16_e32 vcc_lo, 0, v3
	v_mov_b32_e32 v2, 0
	s_andn2_b32 s13, s13, exec_lo
	s_and_b32 s41, vcc_lo, exec_lo
	s_or_b32 s13, s13, s41
	s_or_b32 exec_lo, exec_lo, s40
	s_and_saveexec_b32 s40, s13
	s_cbranch_execnz .LBB6_8629
	s_branch .LBB6_8630
.LBB6_8793:                             ;   in Loop: Header=BB6_8099 Depth=2
	s_or_saveexec_b32 s40, s40
	v_mov_b32_e32 v10, 0x7f800001
	s_xor_b32 exec_lo, exec_lo, s40
	s_cbranch_execz .LBB6_8644
.LBB6_8794:                             ;   in Loop: Header=BB6_8099 Depth=2
	v_cmp_ne_u16_sdwa s41, v17, v30 src0_sel:BYTE_3 src1_sel:DWORD
	v_mov_b32_e32 v10, 0
	s_andn2_b32 s13, s13, exec_lo
	s_and_b32 s41, s41, exec_lo
	s_or_b32 s13, s13, s41
	s_or_b32 exec_lo, exec_lo, s40
	s_and_saveexec_b32 s40, s13
	s_cbranch_execnz .LBB6_8645
	s_branch .LBB6_8646
.LBB6_8795:                             ;   in Loop: Header=BB6_8099 Depth=2
	s_or_saveexec_b32 s40, s40
	v_mov_b32_e32 v2, 0x7f800001
	s_xor_b32 exec_lo, exec_lo, s40
	s_cbranch_execz .LBB6_8650
.LBB6_8796:                             ;   in Loop: Header=BB6_8099 Depth=2
	v_cmp_ne_u16_sdwa s41, v13, v30 src0_sel:BYTE_3 src1_sel:DWORD
	v_mov_b32_e32 v2, 0
	s_andn2_b32 s13, s13, exec_lo
	s_and_b32 s41, s41, exec_lo
	s_or_b32 s13, s13, s41
	s_or_b32 exec_lo, exec_lo, s40
	s_and_saveexec_b32 s40, s13
	s_cbranch_execnz .LBB6_8651
	s_branch .LBB6_8652
.LBB6_8797:                             ;   in Loop: Header=BB6_8099 Depth=2
	s_or_saveexec_b32 s40, s40
	v_mov_b32_e32 v51, 0x7f800001
	s_xor_b32 exec_lo, exec_lo, s40
	s_cbranch_execz .LBB6_8658
.LBB6_8798:                             ;   in Loop: Header=BB6_8099 Depth=2
	v_cmp_ne_u16_sdwa s41, v17, v30 src0_sel:BYTE_3 src1_sel:DWORD
	v_mov_b32_e32 v51, 0
	s_andn2_b32 s13, s13, exec_lo
	s_and_b32 s41, s41, exec_lo
	s_or_b32 s13, s13, s41
	s_or_b32 exec_lo, exec_lo, s40
	s_and_saveexec_b32 s40, s13
	s_cbranch_execnz .LBB6_8659
	s_branch .LBB6_8660
.LBB6_8799:                             ;   in Loop: Header=BB6_8099 Depth=2
	s_or_saveexec_b32 s40, s40
	v_mov_b32_e32 v2, 0x7f800001
	s_xor_b32 exec_lo, exec_lo, s40
	s_cbranch_execz .LBB6_8664
.LBB6_8800:                             ;   in Loop: Header=BB6_8099 Depth=2
	v_cmp_ne_u16_sdwa s41, v13, v30 src0_sel:BYTE_3 src1_sel:DWORD
	v_mov_b32_e32 v2, 0
	s_andn2_b32 s13, s13, exec_lo
	s_and_b32 s41, s41, exec_lo
	s_or_b32 s13, s13, s41
	s_or_b32 exec_lo, exec_lo, s40
	s_and_saveexec_b32 s40, s13
	s_cbranch_execnz .LBB6_8665
	s_branch .LBB6_8666
.LBB6_8801:                             ;   in Loop: Header=BB6_5201 Depth=1
	s_or_b32 exec_lo, exec_lo, s28
.LBB6_8802:                             ;   in Loop: Header=BB6_5201 Depth=1
	s_or_b32 exec_lo, exec_lo, s27
	v_cmp_lt_i32_e32 vcc_lo, 0, v26
	v_and_b32_e32 v2, 15, v57
	v_and_b32_e32 v3, 0x1f0, v57
	v_cndmask_b32_e32 v10, 0, v113, vcc_lo
	v_cndmask_b32_e64 v17, v25, v2, s12
	v_cndmask_b32_e64 v2, 0, v3, s12
	v_sub_nc_u32_e32 v3, v10, v26
	v_cmp_ne_u32_e32 vcc_lo, 0, v17
	v_and_or_b32 v16, 0x3ffffe00, v57, v2
	v_lshl_add_u32 v18, v3, 5, v24
	s_and_b32 s12, vcc_lo, exec_lo
.LBB6_8803:                             ;   in Loop: Header=BB6_5201 Depth=1
	s_or_b32 exec_lo, exec_lo, s26
	s_and_saveexec_b32 s13, s12
	s_cbranch_execz .LBB6_10264
.LBB6_8804:                             ;   in Loop: Header=BB6_5201 Depth=1
	v_ashrrev_i32_e32 v2, 31, v18
	v_lshrrev_b32_e32 v3, 10, v17
	s_mov_b32 s26, exec_lo
	v_lshrrev_b32_e32 v2, 27, v2
	v_add_nc_u32_e32 v2, v18, v2
	v_ashrrev_i32_e32 v19, 5, v2
	v_sub_nc_u32_e32 v20, v3, v19
	v_cmpx_lt_i32_e32 0, v20
	s_cbranch_execz .LBB6_10216
; %bb.8805:                             ;   in Loop: Header=BB6_5201 Depth=1
	v_and_b32_e32 v10, 0xffffffe0, v2
	s_trap 2
	ds_read_b64 v[2:3], v0
	v_lshlrev_b32_e32 v11, 10, v19
	v_add_co_u32 v21, vcc_lo, 0x3e0, v96
	v_sub_nc_u32_e32 v10, v18, v10
	v_add_co_ci_u32_e64 v22, null, 0, v97, vcc_lo
	s_bitcmp1_b32 s25, 0
	s_mov_b32 s28, 0
	v_add3_u32 v14, v16, v10, v11
	s_cselect_b32 s27, -1, 0
	v_ashrrev_i32_e32 v15, 31, v14
	v_add_co_u32 v10, vcc_lo, v14, v85
	v_add_co_ci_u32_e64 v11, null, v15, v86, vcc_lo
	s_waitcnt lgkmcnt(0)
	v_add_co_u32 v12, vcc_lo, v2, v14
	v_add_co_ci_u32_e64 v13, null, v3, v15, vcc_lo
	v_add_co_u32 v14, vcc_lo, v21, v14
	v_add_co_ci_u32_e64 v15, null, v22, v15, vcc_lo
	s_branch .LBB6_8809
.LBB6_8806:                             ;   in Loop: Header=BB6_8809 Depth=2
	s_or_b32 exec_lo, exec_lo, s12
	v_lshrrev_b32_e32 v2, 21, v2
	v_cmp_gt_i32_e32 vcc_lo, 32, v21
	v_min_i32_e32 v3, 31, v21
	v_and_b32_sdwa v22, v25, v44 dst_sel:DWORD dst_unused:UNUSED_PAD src0_sel:BYTE_3 src1_sel:DWORD
	v_cndmask_b32_e32 v2, 3, v2, vcc_lo
	v_lshlrev_b32_e32 v3, 2, v3
	v_and_b32_e32 v25, 3, v2
	v_or_b32_e32 v2, v21, v2
	v_or3_b32 v3, v3, v22, v25
	v_cmp_ne_u32_e32 vcc_lo, 0, v2
	v_cndmask_b32_e32 v21, 0, v3, vcc_lo
.LBB6_8807:                             ;   in Loop: Header=BB6_8809 Depth=2
	s_or_b32 exec_lo, exec_lo, s40
.LBB6_8808:                             ;   in Loop: Header=BB6_8809 Depth=2
	s_or_b32 exec_lo, exec_lo, s29
	v_add_co_u32 v2, vcc_lo, 0xfffffc20, v14
	v_add_co_ci_u32_e64 v3, null, -1, v15, vcc_lo
	v_sub_nc_u32_e32 v20, v20, v113
	flat_store_byte v[2:3], v23 glc slc
	v_add_co_u32 v2, vcc_lo, 0xfffffc40, v14
	v_add_co_ci_u32_e64 v3, null, -1, v15, vcc_lo
	v_add_co_u32 v22, vcc_lo, 0xfffffc60, v14
	v_add_co_ci_u32_e64 v23, null, -1, v15, vcc_lo
	v_add_co_u32 v91, vcc_lo, 0xfffffc80, v14
	v_add_co_ci_u32_e64 v92, null, -1, v15, vcc_lo
	v_add_co_u32 v93, vcc_lo, 0xfffffca0, v14
	v_add_co_ci_u32_e64 v94, null, -1, v15, vcc_lo
	v_add_co_u32 v104, vcc_lo, 0xfffffcc0, v14
	v_add_co_ci_u32_e64 v105, null, -1, v15, vcc_lo
	flat_store_byte v[2:3], v26 glc slc
	flat_store_byte v[22:23], v32 glc slc
	flat_store_byte v[91:92], v35 glc slc
	flat_store_byte v[93:94], v38 glc slc
	flat_store_byte v[104:105], v49 glc slc
	v_add_co_u32 v2, vcc_lo, 0xfffffce0, v14
	v_add_co_ci_u32_e64 v3, null, -1, v15, vcc_lo
	v_add_co_u32 v22, vcc_lo, 0xfffffd00, v14
	v_add_co_ci_u32_e64 v23, null, -1, v15, vcc_lo
	v_add_co_u32 v25, vcc_lo, 0xfffffd20, v14
	v_add_co_ci_u32_e64 v26, null, -1, v15, vcc_lo
	v_add_co_u32 v32, vcc_lo, 0xfffffd40, v14
	v_add_co_ci_u32_e64 v33, null, -1, v15, vcc_lo
	v_add_co_u32 v35, vcc_lo, 0xfffffd60, v14
	v_add_co_ci_u32_e64 v36, null, -1, v15, vcc_lo
	flat_store_byte v[2:3], v51 glc slc
	flat_store_byte v[22:23], v96 glc slc
	flat_store_byte v[25:26], v99 glc slc
	flat_store_byte v[32:33], v102 glc slc
	;; [unrolled: 15-line block ×5, first 2 shown]
	flat_store_byte v[35:36], v48 glc slc
	v_add_co_u32 v2, vcc_lo, 0xffffff60, v14
	v_add_co_ci_u32_e64 v3, null, -1, v15, vcc_lo
	v_add_co_u32 v22, vcc_lo, 0xffffff80, v14
	v_add_co_ci_u32_e64 v23, null, -1, v15, vcc_lo
	;; [unrolled: 2-line block ×5, first 2 shown]
	v_add_co_u32 v10, vcc_lo, v10, v40
	v_add_co_ci_u32_e64 v11, null, 0, v11, vcc_lo
	v_add_co_u32 v12, vcc_lo, v12, v40
	flat_store_byte v[2:3], v37 glc slc
	flat_store_byte v[22:23], v34 glc slc
	;; [unrolled: 1-line block ×6, first 2 shown]
	v_add_co_ci_u32_e64 v13, null, 0, v13, vcc_lo
	v_cmp_gt_i32_e32 vcc_lo, 1, v20
	v_add_co_u32 v14, s12, v14, v40
	v_add_co_ci_u32_e64 v15, null, 0, v15, s12
	s_or_b32 s28, vcc_lo, s28
	s_andn2_b32 exec_lo, exec_lo, s28
	s_cbranch_execz .LBB6_10215
.LBB6_8809:                             ;   Parent Loop BB6_5201 Depth=1
                                        ; =>  This Inner Loop Header: Depth=2
	s_clause 0x1f
	flat_load_ubyte v122, v[10:11] slc
	flat_load_ubyte v121, v[10:11] offset:32 slc
	flat_load_ubyte v120, v[10:11] offset:64 slc
	;; [unrolled: 1-line block ×31, first 2 shown]
	s_clause 0x1f
	flat_load_ubyte v23, v[12:13] slc
	flat_load_ubyte v26, v[12:13] offset:32 slc
	flat_load_ubyte v32, v[12:13] offset:64 slc
	;; [unrolled: 1-line block ×31, first 2 shown]
	s_and_b32 vcc_lo, exec_lo, s27
	s_mov_b32 s12, -1
                                        ; implicit-def: $vgpr123
	s_waitcnt vmcnt(62) lgkmcnt(62)
	v_cmp_gt_i16_sdwa s40, v122, v43 src0_sel:BYTE_0 src1_sel:DWORD
	s_cbranch_vccz .LBB6_8823
; %bb.8810:                             ;   in Loop: Header=BB6_8809 Depth=2
	s_mov_b32 s29, 0
	s_and_saveexec_b32 s12, s40
	s_xor_b32 s12, exec_lo, s12
	s_cbranch_execz .LBB6_9959
; %bb.8811:                             ;   in Loop: Header=BB6_8809 Depth=2
	v_cmp_eq_u16_sdwa s41, v122, v44 src0_sel:BYTE_0 src1_sel:DWORD
	s_mov_b32 s29, -1
	s_and_saveexec_b32 s40, s41
; %bb.8812:                             ;   in Loop: Header=BB6_8809 Depth=2
	s_xor_b32 s29, exec_lo, -1
; %bb.8813:                             ;   in Loop: Header=BB6_8809 Depth=2
	s_or_b32 exec_lo, exec_lo, s40
	s_and_b32 s29, s29, exec_lo
	s_or_saveexec_b32 s12, s12
	v_mov_b32_e32 v123, 0x7f800001
	s_xor_b32 exec_lo, exec_lo, s12
	s_cbranch_execnz .LBB6_9960
.LBB6_8814:                             ;   in Loop: Header=BB6_8809 Depth=2
	s_or_b32 exec_lo, exec_lo, s12
	s_and_saveexec_b32 s12, s29
	s_cbranch_execz .LBB6_8816
.LBB6_8815:                             ;   in Loop: Header=BB6_8809 Depth=2
	v_and_b32_e32 v2, 3, v122
	v_lshrrev_b16 v42, 2, v122
	v_lshlrev_b32_e32 v124, 24, v122
	v_ffbh_u32_e32 v3, v2
	v_and_b32_e32 v42, 31, v42
	v_min_u32_e32 v3, 32, v3
	v_cmp_eq_u32_e32 vcc_lo, 0, v42
	v_subrev_nc_u32_e32 v123, 29, v3
	v_sub_nc_u32_e32 v3, 30, v3
	v_lshlrev_b32_e32 v123, v123, v122
	v_cndmask_b32_e32 v3, v42, v3, vcc_lo
	v_and_b32_e32 v42, 0x80000000, v124
	v_and_b32_e32 v123, 3, v123
	v_lshl_add_u32 v3, v3, 23, 0x37800000
	v_cndmask_b32_e32 v2, v2, v123, vcc_lo
	v_lshlrev_b32_e32 v2, 21, v2
	v_or3_b32 v123, v42, v3, v2
.LBB6_8816:                             ;   in Loop: Header=BB6_8809 Depth=2
	s_or_b32 exec_lo, exec_lo, s12
	s_waitcnt vmcnt(31) lgkmcnt(31)
	v_cmp_gt_i16_sdwa s12, v23, v43 src0_sel:BYTE_0 src1_sel:DWORD
	s_mov_b32 s29, 0
	s_and_saveexec_b32 s40, s12
	s_xor_b32 s12, exec_lo, s40
	s_cbranch_execz .LBB6_9961
; %bb.8817:                             ;   in Loop: Header=BB6_8809 Depth=2
	v_cmp_eq_u16_sdwa s41, v23, v44 src0_sel:BYTE_0 src1_sel:DWORD
	s_mov_b32 s29, -1
	s_and_saveexec_b32 s40, s41
; %bb.8818:                             ;   in Loop: Header=BB6_8809 Depth=2
	s_xor_b32 s29, exec_lo, -1
; %bb.8819:                             ;   in Loop: Header=BB6_8809 Depth=2
	s_or_b32 exec_lo, exec_lo, s40
	s_and_b32 s29, s29, exec_lo
	s_or_saveexec_b32 s12, s12
	v_mov_b32_e32 v2, 0x7f800001
	s_xor_b32 exec_lo, exec_lo, s12
	s_cbranch_execnz .LBB6_9962
.LBB6_8820:                             ;   in Loop: Header=BB6_8809 Depth=2
	s_or_b32 exec_lo, exec_lo, s12
	s_and_saveexec_b32 s12, s29
	s_cbranch_execz .LBB6_8822
.LBB6_8821:                             ;   in Loop: Header=BB6_8809 Depth=2
	v_and_b32_e32 v2, 3, v23
	v_lshrrev_b16 v42, 2, v23
	v_lshlrev_b32_e32 v125, 24, v23
	v_ffbh_u32_e32 v3, v2
	v_and_b32_e32 v42, 31, v42
	v_min_u32_e32 v3, 32, v3
	v_cmp_eq_u32_e32 vcc_lo, 0, v42
	v_subrev_nc_u32_e32 v124, 29, v3
	v_sub_nc_u32_e32 v3, 30, v3
	v_lshlrev_b32_e32 v124, v124, v23
	v_cndmask_b32_e32 v3, v42, v3, vcc_lo
	v_and_b32_e32 v42, 0x80000000, v125
	v_and_b32_e32 v124, 3, v124
	v_lshl_add_u32 v3, v3, 23, 0x37800000
	v_cndmask_b32_e32 v2, v2, v124, vcc_lo
	v_lshlrev_b32_e32 v2, 21, v2
	v_or3_b32 v2, v42, v3, v2
.LBB6_8822:                             ;   in Loop: Header=BB6_8809 Depth=2
	s_or_b32 exec_lo, exec_lo, s12
	v_max_f32_e32 v2, v2, v2
	v_max_f32_e32 v3, v123, v123
	s_mov_b32 s12, 0
	v_max_f32_e32 v123, v3, v2
.LBB6_8823:                             ;   in Loop: Header=BB6_8809 Depth=2
	s_and_b32 vcc_lo, exec_lo, s12
	s_cbranch_vccz .LBB6_8837
; %bb.8824:                             ;   in Loop: Header=BB6_8809 Depth=2
	v_cmp_gt_i16_sdwa s29, v122, v43 src0_sel:BYTE_0 src1_sel:DWORD
	s_mov_b32 s12, 0
	s_and_saveexec_b32 s40, s29
	s_xor_b32 s29, exec_lo, s40
	s_cbranch_execz .LBB6_9963
; %bb.8825:                             ;   in Loop: Header=BB6_8809 Depth=2
	v_cmp_eq_u16_sdwa s41, v122, v44 src0_sel:BYTE_0 src1_sel:DWORD
	s_mov_b32 s12, -1
	s_and_saveexec_b32 s40, s41
; %bb.8826:                             ;   in Loop: Header=BB6_8809 Depth=2
	s_xor_b32 s12, exec_lo, -1
; %bb.8827:                             ;   in Loop: Header=BB6_8809 Depth=2
	s_or_b32 exec_lo, exec_lo, s40
	s_and_b32 s12, s12, exec_lo
	s_or_saveexec_b32 s29, s29
	v_mov_b32_e32 v123, 0x7f800001
	s_xor_b32 exec_lo, exec_lo, s29
	s_cbranch_execnz .LBB6_9964
.LBB6_8828:                             ;   in Loop: Header=BB6_8809 Depth=2
	s_or_b32 exec_lo, exec_lo, s29
	s_and_saveexec_b32 s29, s12
	s_cbranch_execz .LBB6_8830
.LBB6_8829:                             ;   in Loop: Header=BB6_8809 Depth=2
	v_and_b32_e32 v2, 3, v122
	v_lshrrev_b16 v42, 2, v122
	v_ffbh_u32_e32 v3, v2
	v_and_b32_e32 v42, 31, v42
	v_min_u32_e32 v3, 32, v3
	v_cmp_eq_u32_e32 vcc_lo, 0, v42
	v_subrev_nc_u32_e32 v123, 29, v3
	v_sub_nc_u32_e32 v3, 30, v3
	v_lshlrev_b32_e32 v123, v123, v122
	v_lshlrev_b32_e32 v122, 24, v122
	v_cndmask_b32_e32 v3, v42, v3, vcc_lo
	v_and_b32_e32 v123, 3, v123
	v_and_b32_e32 v42, 0x80000000, v122
	v_lshl_add_u32 v3, v3, 23, 0x37800000
	v_cndmask_b32_e32 v2, v2, v123, vcc_lo
	v_lshlrev_b32_e32 v2, 21, v2
	v_or3_b32 v123, v42, v3, v2
.LBB6_8830:                             ;   in Loop: Header=BB6_8809 Depth=2
	s_or_b32 exec_lo, exec_lo, s29
	s_waitcnt vmcnt(31) lgkmcnt(31)
	v_cmp_gt_i16_sdwa s29, v23, v43 src0_sel:BYTE_0 src1_sel:DWORD
	s_mov_b32 s12, 0
	s_and_saveexec_b32 s40, s29
	s_xor_b32 s29, exec_lo, s40
	s_cbranch_execz .LBB6_9965
; %bb.8831:                             ;   in Loop: Header=BB6_8809 Depth=2
	v_cmp_eq_u16_sdwa s41, v23, v44 src0_sel:BYTE_0 src1_sel:DWORD
	s_mov_b32 s12, -1
	s_and_saveexec_b32 s40, s41
; %bb.8832:                             ;   in Loop: Header=BB6_8809 Depth=2
	s_xor_b32 s12, exec_lo, -1
; %bb.8833:                             ;   in Loop: Header=BB6_8809 Depth=2
	s_or_b32 exec_lo, exec_lo, s40
	s_and_b32 s12, s12, exec_lo
	s_or_saveexec_b32 s29, s29
	v_mov_b32_e32 v2, 0x7f800001
	s_xor_b32 exec_lo, exec_lo, s29
	s_cbranch_execnz .LBB6_9966
.LBB6_8834:                             ;   in Loop: Header=BB6_8809 Depth=2
	s_or_b32 exec_lo, exec_lo, s29
	s_and_saveexec_b32 s29, s12
	s_cbranch_execz .LBB6_8836
.LBB6_8835:                             ;   in Loop: Header=BB6_8809 Depth=2
	v_and_b32_e32 v2, 3, v23
	v_lshrrev_b16 v42, 2, v23
	v_ffbh_u32_e32 v3, v2
	v_and_b32_e32 v42, 31, v42
	v_min_u32_e32 v3, 32, v3
	v_cmp_eq_u32_e32 vcc_lo, 0, v42
	v_subrev_nc_u32_e32 v122, 29, v3
	v_sub_nc_u32_e32 v3, 30, v3
	v_lshlrev_b32_e32 v122, v122, v23
	v_lshlrev_b32_e32 v23, 24, v23
	v_cndmask_b32_e32 v3, v42, v3, vcc_lo
	v_and_b32_e32 v122, 3, v122
	v_and_b32_e32 v23, 0x80000000, v23
	v_lshl_add_u32 v3, v3, 23, 0x37800000
	v_cndmask_b32_e32 v2, v2, v122, vcc_lo
	v_lshlrev_b32_e32 v2, 21, v2
	v_or3_b32 v2, v23, v3, v2
.LBB6_8836:                             ;   in Loop: Header=BB6_8809 Depth=2
	s_or_b32 exec_lo, exec_lo, s29
	v_max_f32_e32 v2, v2, v2
	v_max_f32_e32 v3, v123, v123
	v_min_f32_e32 v123, v3, v2
.LBB6_8837:                             ;   in Loop: Header=BB6_8809 Depth=2
	v_and_b32_e32 v2, 0x7f800000, v123
	s_waitcnt vmcnt(31) lgkmcnt(31)
	v_mov_b32_e32 v23, 0x80
	s_mov_b32 s29, exec_lo
	v_cmpx_ne_u32_e32 0x7f800000, v2
	s_cbranch_execz .LBB6_8845
; %bb.8838:                             ;   in Loop: Header=BB6_8809 Depth=2
	v_mov_b32_e32 v23, 0
	s_mov_b32 s40, exec_lo
	v_cmpx_ne_u32_e32 0, v123
	s_cbranch_execz .LBB6_8844
; %bb.8839:                             ;   in Loop: Header=BB6_8809 Depth=2
	v_bfe_u32 v3, v123, 23, 8
	v_and_b32_e32 v2, 0x7fffff, v123
                                        ; implicit-def: $vgpr124
	v_cmp_gt_u32_e64 s12, 0x71, v3
	v_sub_nc_u32_e32 v23, 0x70, v3
	v_cmp_eq_u32_e32 vcc_lo, 0, v3
	v_or_b32_e32 v42, 0x800000, v2
	v_add_nc_u32_e32 v3, 0xffffff91, v3
	v_cndmask_b32_e64 v23, 0, v23, s12
	v_cndmask_b32_e32 v2, v42, v2, vcc_lo
	v_cndmask_b32_e64 v3, v3, 0xffffff92, vcc_lo
	v_cndmask_b32_e64 v23, v23, 0x6f, vcc_lo
	v_lshl_add_u32 v42, 0x200000, v23, -1
	v_lshlrev_b32_e64 v122, v23, 0x100000
	v_and_b32_e32 v42, v42, v2
	v_lshrrev_b32_e32 v2, v23, v2
	v_add_nc_u32_e32 v23, v23, v3
	v_cmp_eq_u32_e64 s12, v42, v122
	v_lshrrev_b32_e32 v3, 23, v2
	v_xor_b32_e32 v122, 1, v3
	v_bfe_u32 v3, v2, 21, 1
	v_add_nc_u32_e32 v3, -1, v3
	v_cndmask_b32_e64 v3, 0, v3, s12
	s_mov_b32 s12, exec_lo
	v_add_nc_u32_e32 v3, v3, v2
	v_and_b32_e32 v3, 0x1fffff, v3
	v_add_nc_u32_e32 v125, v3, v2
	v_cmpx_ne_u32_e64 v23, v122
	s_xor_b32 s12, exec_lo, s12
; %bb.8840:                             ;   in Loop: Header=BB6_8809 Depth=2
	v_cmp_lt_u32_e32 vcc_lo, 0xffffff, v125
	v_sub_nc_u32_e32 v2, v23, v122
	v_cndmask_b32_e64 v3, 0, 1, vcc_lo
	v_add_co_ci_u32_e64 v124, null, 0, v2, vcc_lo
	v_lshrrev_b32_e32 v125, v3, v125
; %bb.8841:                             ;   in Loop: Header=BB6_8809 Depth=2
	s_andn2_saveexec_b32 s12, s12
; %bb.8842:                             ;   in Loop: Header=BB6_8809 Depth=2
	v_bfe_u32 v124, v125, 23, 1
; %bb.8843:                             ;   in Loop: Header=BB6_8809 Depth=2
	s_or_b32 exec_lo, exec_lo, s12
	v_lshrrev_b32_e32 v2, 21, v125
	v_cmp_gt_i32_e32 vcc_lo, 32, v124
	v_min_i32_e32 v3, 31, v124
	v_and_b32_sdwa v23, v123, v44 dst_sel:DWORD dst_unused:UNUSED_PAD src0_sel:BYTE_3 src1_sel:DWORD
	v_cndmask_b32_e32 v2, 3, v2, vcc_lo
	v_lshlrev_b32_e32 v3, 2, v3
	v_and_b32_e32 v42, 3, v2
	v_or_b32_e32 v2, v124, v2
	v_or3_b32 v3, v3, v23, v42
	v_cmp_ne_u32_e32 vcc_lo, 0, v2
	v_cndmask_b32_e32 v23, 0, v3, vcc_lo
.LBB6_8844:                             ;   in Loop: Header=BB6_8809 Depth=2
	s_or_b32 exec_lo, exec_lo, s40
.LBB6_8845:                             ;   in Loop: Header=BB6_8809 Depth=2
	s_or_b32 exec_lo, exec_lo, s29
	v_cmp_gt_i16_sdwa s29, v121, v43 src0_sel:BYTE_0 src1_sel:DWORD
	s_andn2_b32 vcc_lo, exec_lo, s27
	s_mov_b32 s12, -1
                                        ; implicit-def: $vgpr122
	s_cbranch_vccnz .LBB6_8859
; %bb.8846:                             ;   in Loop: Header=BB6_8809 Depth=2
	s_mov_b32 s12, 0
	s_and_saveexec_b32 s40, s29
	s_xor_b32 s29, exec_lo, s40
	s_cbranch_execz .LBB6_9967
; %bb.8847:                             ;   in Loop: Header=BB6_8809 Depth=2
	v_cmp_eq_u16_sdwa s41, v121, v44 src0_sel:BYTE_0 src1_sel:DWORD
	s_mov_b32 s12, -1
	s_and_saveexec_b32 s40, s41
; %bb.8848:                             ;   in Loop: Header=BB6_8809 Depth=2
	s_xor_b32 s12, exec_lo, -1
; %bb.8849:                             ;   in Loop: Header=BB6_8809 Depth=2
	s_or_b32 exec_lo, exec_lo, s40
	s_and_b32 s12, s12, exec_lo
	s_or_saveexec_b32 s29, s29
	v_mov_b32_e32 v122, 0x7f800001
	s_xor_b32 exec_lo, exec_lo, s29
	s_cbranch_execnz .LBB6_9968
.LBB6_8850:                             ;   in Loop: Header=BB6_8809 Depth=2
	s_or_b32 exec_lo, exec_lo, s29
	s_and_saveexec_b32 s29, s12
	s_cbranch_execz .LBB6_8852
.LBB6_8851:                             ;   in Loop: Header=BB6_8809 Depth=2
	v_and_b32_e32 v2, 3, v121
	v_lshrrev_b16 v42, 2, v121
	v_lshlrev_b32_e32 v123, 24, v121
	v_ffbh_u32_e32 v3, v2
	v_and_b32_e32 v42, 31, v42
	v_min_u32_e32 v3, 32, v3
	v_cmp_eq_u32_e32 vcc_lo, 0, v42
	v_subrev_nc_u32_e32 v122, 29, v3
	v_sub_nc_u32_e32 v3, 30, v3
	v_lshlrev_b32_e32 v122, v122, v121
	v_cndmask_b32_e32 v3, v42, v3, vcc_lo
	v_and_b32_e32 v42, 0x80000000, v123
	v_and_b32_e32 v122, 3, v122
	v_lshl_add_u32 v3, v3, 23, 0x37800000
	v_cndmask_b32_e32 v2, v2, v122, vcc_lo
	v_lshlrev_b32_e32 v2, 21, v2
	v_or3_b32 v122, v42, v3, v2
.LBB6_8852:                             ;   in Loop: Header=BB6_8809 Depth=2
	s_or_b32 exec_lo, exec_lo, s29
	s_waitcnt vmcnt(30) lgkmcnt(30)
	v_cmp_gt_i16_sdwa s29, v26, v43 src0_sel:BYTE_0 src1_sel:DWORD
	s_mov_b32 s12, 0
	s_and_saveexec_b32 s40, s29
	s_xor_b32 s29, exec_lo, s40
	s_cbranch_execz .LBB6_9969
; %bb.8853:                             ;   in Loop: Header=BB6_8809 Depth=2
	v_cmp_eq_u16_sdwa s41, v26, v44 src0_sel:BYTE_0 src1_sel:DWORD
	s_mov_b32 s12, -1
	s_and_saveexec_b32 s40, s41
; %bb.8854:                             ;   in Loop: Header=BB6_8809 Depth=2
	s_xor_b32 s12, exec_lo, -1
; %bb.8855:                             ;   in Loop: Header=BB6_8809 Depth=2
	s_or_b32 exec_lo, exec_lo, s40
	s_and_b32 s12, s12, exec_lo
	s_or_saveexec_b32 s29, s29
	v_mov_b32_e32 v2, 0x7f800001
	s_xor_b32 exec_lo, exec_lo, s29
	s_cbranch_execnz .LBB6_9970
.LBB6_8856:                             ;   in Loop: Header=BB6_8809 Depth=2
	s_or_b32 exec_lo, exec_lo, s29
	s_and_saveexec_b32 s29, s12
	s_cbranch_execz .LBB6_8858
.LBB6_8857:                             ;   in Loop: Header=BB6_8809 Depth=2
	v_and_b32_e32 v2, 3, v26
	v_lshrrev_b16 v42, 2, v26
	v_lshlrev_b32_e32 v124, 24, v26
	v_ffbh_u32_e32 v3, v2
	v_and_b32_e32 v42, 31, v42
	v_min_u32_e32 v3, 32, v3
	v_cmp_eq_u32_e32 vcc_lo, 0, v42
	v_subrev_nc_u32_e32 v123, 29, v3
	v_sub_nc_u32_e32 v3, 30, v3
	v_lshlrev_b32_e32 v123, v123, v26
	v_cndmask_b32_e32 v3, v42, v3, vcc_lo
	v_and_b32_e32 v42, 0x80000000, v124
	v_and_b32_e32 v123, 3, v123
	v_lshl_add_u32 v3, v3, 23, 0x37800000
	v_cndmask_b32_e32 v2, v2, v123, vcc_lo
	v_lshlrev_b32_e32 v2, 21, v2
	v_or3_b32 v2, v42, v3, v2
.LBB6_8858:                             ;   in Loop: Header=BB6_8809 Depth=2
	s_or_b32 exec_lo, exec_lo, s29
	v_max_f32_e32 v2, v2, v2
	v_max_f32_e32 v3, v122, v122
	s_mov_b32 s12, 0
	v_max_f32_e32 v122, v3, v2
.LBB6_8859:                             ;   in Loop: Header=BB6_8809 Depth=2
	s_and_b32 vcc_lo, exec_lo, s12
	s_cbranch_vccz .LBB6_8873
; %bb.8860:                             ;   in Loop: Header=BB6_8809 Depth=2
	v_cmp_gt_i16_sdwa s29, v121, v43 src0_sel:BYTE_0 src1_sel:DWORD
	s_mov_b32 s12, 0
	s_and_saveexec_b32 s40, s29
	s_xor_b32 s29, exec_lo, s40
	s_cbranch_execz .LBB6_9971
; %bb.8861:                             ;   in Loop: Header=BB6_8809 Depth=2
	v_cmp_eq_u16_sdwa s41, v121, v44 src0_sel:BYTE_0 src1_sel:DWORD
	s_mov_b32 s12, -1
	s_and_saveexec_b32 s40, s41
; %bb.8862:                             ;   in Loop: Header=BB6_8809 Depth=2
	s_xor_b32 s12, exec_lo, -1
; %bb.8863:                             ;   in Loop: Header=BB6_8809 Depth=2
	s_or_b32 exec_lo, exec_lo, s40
	s_and_b32 s12, s12, exec_lo
	s_or_saveexec_b32 s29, s29
	v_mov_b32_e32 v122, 0x7f800001
	s_xor_b32 exec_lo, exec_lo, s29
	s_cbranch_execnz .LBB6_9972
.LBB6_8864:                             ;   in Loop: Header=BB6_8809 Depth=2
	s_or_b32 exec_lo, exec_lo, s29
	s_and_saveexec_b32 s29, s12
	s_cbranch_execz .LBB6_8866
.LBB6_8865:                             ;   in Loop: Header=BB6_8809 Depth=2
	v_and_b32_e32 v2, 3, v121
	v_lshrrev_b16 v42, 2, v121
	v_ffbh_u32_e32 v3, v2
	v_and_b32_e32 v42, 31, v42
	v_min_u32_e32 v3, 32, v3
	v_cmp_eq_u32_e32 vcc_lo, 0, v42
	v_subrev_nc_u32_e32 v122, 29, v3
	v_sub_nc_u32_e32 v3, 30, v3
	v_lshlrev_b32_e32 v122, v122, v121
	v_lshlrev_b32_e32 v121, 24, v121
	v_cndmask_b32_e32 v3, v42, v3, vcc_lo
	v_and_b32_e32 v122, 3, v122
	v_and_b32_e32 v42, 0x80000000, v121
	v_lshl_add_u32 v3, v3, 23, 0x37800000
	v_cndmask_b32_e32 v2, v2, v122, vcc_lo
	v_lshlrev_b32_e32 v2, 21, v2
	v_or3_b32 v122, v42, v3, v2
.LBB6_8866:                             ;   in Loop: Header=BB6_8809 Depth=2
	s_or_b32 exec_lo, exec_lo, s29
	s_waitcnt vmcnt(30) lgkmcnt(30)
	v_cmp_gt_i16_sdwa s29, v26, v43 src0_sel:BYTE_0 src1_sel:DWORD
	s_mov_b32 s12, 0
	s_and_saveexec_b32 s40, s29
	s_xor_b32 s29, exec_lo, s40
	s_cbranch_execz .LBB6_9973
; %bb.8867:                             ;   in Loop: Header=BB6_8809 Depth=2
	v_cmp_eq_u16_sdwa s41, v26, v44 src0_sel:BYTE_0 src1_sel:DWORD
	s_mov_b32 s12, -1
	s_and_saveexec_b32 s40, s41
; %bb.8868:                             ;   in Loop: Header=BB6_8809 Depth=2
	s_xor_b32 s12, exec_lo, -1
; %bb.8869:                             ;   in Loop: Header=BB6_8809 Depth=2
	s_or_b32 exec_lo, exec_lo, s40
	s_and_b32 s12, s12, exec_lo
	s_or_saveexec_b32 s29, s29
	v_mov_b32_e32 v2, 0x7f800001
	s_xor_b32 exec_lo, exec_lo, s29
	s_cbranch_execnz .LBB6_9974
.LBB6_8870:                             ;   in Loop: Header=BB6_8809 Depth=2
	s_or_b32 exec_lo, exec_lo, s29
	s_and_saveexec_b32 s29, s12
	s_cbranch_execz .LBB6_8872
.LBB6_8871:                             ;   in Loop: Header=BB6_8809 Depth=2
	v_and_b32_e32 v2, 3, v26
	v_lshrrev_b16 v42, 2, v26
	v_ffbh_u32_e32 v3, v2
	v_and_b32_e32 v42, 31, v42
	v_min_u32_e32 v3, 32, v3
	v_cmp_eq_u32_e32 vcc_lo, 0, v42
	v_subrev_nc_u32_e32 v121, 29, v3
	v_sub_nc_u32_e32 v3, 30, v3
	v_lshlrev_b32_e32 v121, v121, v26
	v_lshlrev_b32_e32 v26, 24, v26
	v_cndmask_b32_e32 v3, v42, v3, vcc_lo
	v_and_b32_e32 v121, 3, v121
	v_and_b32_e32 v26, 0x80000000, v26
	v_lshl_add_u32 v3, v3, 23, 0x37800000
	v_cndmask_b32_e32 v2, v2, v121, vcc_lo
	v_lshlrev_b32_e32 v2, 21, v2
	v_or3_b32 v2, v26, v3, v2
.LBB6_8872:                             ;   in Loop: Header=BB6_8809 Depth=2
	s_or_b32 exec_lo, exec_lo, s29
	v_max_f32_e32 v2, v2, v2
	v_max_f32_e32 v3, v122, v122
	v_min_f32_e32 v122, v3, v2
.LBB6_8873:                             ;   in Loop: Header=BB6_8809 Depth=2
	v_and_b32_e32 v2, 0x7f800000, v122
	s_waitcnt vmcnt(30) lgkmcnt(30)
	v_mov_b32_e32 v26, 0x80
	s_mov_b32 s29, exec_lo
	v_cmpx_ne_u32_e32 0x7f800000, v2
	s_cbranch_execz .LBB6_8881
; %bb.8874:                             ;   in Loop: Header=BB6_8809 Depth=2
	v_mov_b32_e32 v26, 0
	s_mov_b32 s40, exec_lo
	v_cmpx_ne_u32_e32 0, v122
	s_cbranch_execz .LBB6_8880
; %bb.8875:                             ;   in Loop: Header=BB6_8809 Depth=2
	v_bfe_u32 v3, v122, 23, 8
	v_and_b32_e32 v2, 0x7fffff, v122
	v_cmp_gt_u32_e64 s12, 0x71, v3
	v_sub_nc_u32_e32 v26, 0x70, v3
	v_cmp_eq_u32_e32 vcc_lo, 0, v3
	v_or_b32_e32 v42, 0x800000, v2
	v_add_nc_u32_e32 v3, 0xffffff91, v3
	v_cndmask_b32_e64 v26, 0, v26, s12
	v_cndmask_b32_e32 v2, v42, v2, vcc_lo
	v_cndmask_b32_e64 v3, v3, 0xffffff92, vcc_lo
	v_cndmask_b32_e64 v26, v26, 0x6f, vcc_lo
	v_lshl_add_u32 v42, 0x200000, v26, -1
	v_lshlrev_b32_e64 v121, v26, 0x100000
	v_and_b32_e32 v42, v42, v2
	v_lshrrev_b32_e32 v2, v26, v2
	v_add_nc_u32_e32 v26, v26, v3
	v_cmp_eq_u32_e64 s12, v42, v121
	v_lshrrev_b32_e32 v3, 23, v2
                                        ; implicit-def: $vgpr42
	v_xor_b32_e32 v121, 1, v3
	v_bfe_u32 v3, v2, 21, 1
	v_add_nc_u32_e32 v3, -1, v3
	v_cndmask_b32_e64 v3, 0, v3, s12
	s_mov_b32 s12, exec_lo
	v_add_nc_u32_e32 v3, v3, v2
	v_and_b32_e32 v3, 0x1fffff, v3
	v_add_nc_u32_e32 v2, v3, v2
	v_cmpx_ne_u32_e64 v26, v121
	s_xor_b32 s12, exec_lo, s12
; %bb.8876:                             ;   in Loop: Header=BB6_8809 Depth=2
	v_cmp_lt_u32_e32 vcc_lo, 0xffffff, v2
	v_sub_nc_u32_e32 v3, v26, v121
	v_cndmask_b32_e64 v26, 0, 1, vcc_lo
	v_add_co_ci_u32_e64 v42, null, 0, v3, vcc_lo
	v_lshrrev_b32_e32 v2, v26, v2
; %bb.8877:                             ;   in Loop: Header=BB6_8809 Depth=2
	s_andn2_saveexec_b32 s12, s12
; %bb.8878:                             ;   in Loop: Header=BB6_8809 Depth=2
	v_bfe_u32 v42, v2, 23, 1
; %bb.8879:                             ;   in Loop: Header=BB6_8809 Depth=2
	s_or_b32 exec_lo, exec_lo, s12
	v_lshrrev_b32_e32 v2, 21, v2
	v_cmp_gt_i32_e32 vcc_lo, 32, v42
	v_min_i32_e32 v3, 31, v42
	v_and_b32_sdwa v26, v122, v44 dst_sel:DWORD dst_unused:UNUSED_PAD src0_sel:BYTE_3 src1_sel:DWORD
	v_cndmask_b32_e32 v2, 3, v2, vcc_lo
	v_lshlrev_b32_e32 v3, 2, v3
	v_and_b32_e32 v121, 3, v2
	v_or_b32_e32 v2, v42, v2
	v_or3_b32 v3, v3, v26, v121
	v_cmp_ne_u32_e32 vcc_lo, 0, v2
	v_cndmask_b32_e32 v26, 0, v3, vcc_lo
.LBB6_8880:                             ;   in Loop: Header=BB6_8809 Depth=2
	s_or_b32 exec_lo, exec_lo, s40
.LBB6_8881:                             ;   in Loop: Header=BB6_8809 Depth=2
	s_or_b32 exec_lo, exec_lo, s29
	v_cmp_gt_i16_sdwa s29, v120, v43 src0_sel:BYTE_0 src1_sel:DWORD
	s_andn2_b32 vcc_lo, exec_lo, s27
	s_mov_b32 s12, -1
                                        ; implicit-def: $vgpr121
	s_cbranch_vccnz .LBB6_8895
; %bb.8882:                             ;   in Loop: Header=BB6_8809 Depth=2
	s_mov_b32 s12, 0
	s_and_saveexec_b32 s40, s29
	s_xor_b32 s29, exec_lo, s40
	s_cbranch_execz .LBB6_9975
; %bb.8883:                             ;   in Loop: Header=BB6_8809 Depth=2
	v_cmp_eq_u16_sdwa s41, v120, v44 src0_sel:BYTE_0 src1_sel:DWORD
	s_mov_b32 s12, -1
	s_and_saveexec_b32 s40, s41
; %bb.8884:                             ;   in Loop: Header=BB6_8809 Depth=2
	s_xor_b32 s12, exec_lo, -1
; %bb.8885:                             ;   in Loop: Header=BB6_8809 Depth=2
	s_or_b32 exec_lo, exec_lo, s40
	s_and_b32 s12, s12, exec_lo
	s_or_saveexec_b32 s29, s29
	v_mov_b32_e32 v121, 0x7f800001
	s_xor_b32 exec_lo, exec_lo, s29
	s_cbranch_execnz .LBB6_9976
.LBB6_8886:                             ;   in Loop: Header=BB6_8809 Depth=2
	s_or_b32 exec_lo, exec_lo, s29
	s_and_saveexec_b32 s29, s12
	s_cbranch_execz .LBB6_8888
.LBB6_8887:                             ;   in Loop: Header=BB6_8809 Depth=2
	v_and_b32_e32 v2, 3, v120
	v_lshrrev_b16 v42, 2, v120
	v_lshlrev_b32_e32 v122, 24, v120
	v_ffbh_u32_e32 v3, v2
	v_and_b32_e32 v42, 31, v42
	v_min_u32_e32 v3, 32, v3
	v_cmp_eq_u32_e32 vcc_lo, 0, v42
	v_subrev_nc_u32_e32 v121, 29, v3
	v_sub_nc_u32_e32 v3, 30, v3
	v_lshlrev_b32_e32 v121, v121, v120
	v_cndmask_b32_e32 v3, v42, v3, vcc_lo
	v_and_b32_e32 v42, 0x80000000, v122
	v_and_b32_e32 v121, 3, v121
	v_lshl_add_u32 v3, v3, 23, 0x37800000
	v_cndmask_b32_e32 v2, v2, v121, vcc_lo
	v_lshlrev_b32_e32 v2, 21, v2
	v_or3_b32 v121, v42, v3, v2
.LBB6_8888:                             ;   in Loop: Header=BB6_8809 Depth=2
	s_or_b32 exec_lo, exec_lo, s29
	s_waitcnt vmcnt(29) lgkmcnt(29)
	v_cmp_gt_i16_sdwa s29, v32, v43 src0_sel:BYTE_0 src1_sel:DWORD
	s_mov_b32 s12, 0
	s_and_saveexec_b32 s40, s29
	s_xor_b32 s29, exec_lo, s40
	s_cbranch_execz .LBB6_9977
; %bb.8889:                             ;   in Loop: Header=BB6_8809 Depth=2
	v_cmp_eq_u16_sdwa s41, v32, v44 src0_sel:BYTE_0 src1_sel:DWORD
	s_mov_b32 s12, -1
	s_and_saveexec_b32 s40, s41
; %bb.8890:                             ;   in Loop: Header=BB6_8809 Depth=2
	s_xor_b32 s12, exec_lo, -1
; %bb.8891:                             ;   in Loop: Header=BB6_8809 Depth=2
	s_or_b32 exec_lo, exec_lo, s40
	s_and_b32 s12, s12, exec_lo
	s_or_saveexec_b32 s29, s29
	v_mov_b32_e32 v2, 0x7f800001
	s_xor_b32 exec_lo, exec_lo, s29
	s_cbranch_execnz .LBB6_9978
.LBB6_8892:                             ;   in Loop: Header=BB6_8809 Depth=2
	s_or_b32 exec_lo, exec_lo, s29
	s_and_saveexec_b32 s29, s12
	s_cbranch_execz .LBB6_8894
.LBB6_8893:                             ;   in Loop: Header=BB6_8809 Depth=2
	v_and_b32_e32 v2, 3, v32
	v_lshrrev_b16 v42, 2, v32
	v_lshlrev_b32_e32 v123, 24, v32
	v_ffbh_u32_e32 v3, v2
	v_and_b32_e32 v42, 31, v42
	v_min_u32_e32 v3, 32, v3
	v_cmp_eq_u32_e32 vcc_lo, 0, v42
	v_subrev_nc_u32_e32 v122, 29, v3
	v_sub_nc_u32_e32 v3, 30, v3
	v_lshlrev_b32_e32 v122, v122, v32
	v_cndmask_b32_e32 v3, v42, v3, vcc_lo
	v_and_b32_e32 v42, 0x80000000, v123
	v_and_b32_e32 v122, 3, v122
	v_lshl_add_u32 v3, v3, 23, 0x37800000
	v_cndmask_b32_e32 v2, v2, v122, vcc_lo
	v_lshlrev_b32_e32 v2, 21, v2
	v_or3_b32 v2, v42, v3, v2
.LBB6_8894:                             ;   in Loop: Header=BB6_8809 Depth=2
	s_or_b32 exec_lo, exec_lo, s29
	v_max_f32_e32 v2, v2, v2
	v_max_f32_e32 v3, v121, v121
	s_mov_b32 s12, 0
	v_max_f32_e32 v121, v3, v2
.LBB6_8895:                             ;   in Loop: Header=BB6_8809 Depth=2
	s_and_b32 vcc_lo, exec_lo, s12
	s_cbranch_vccz .LBB6_8909
; %bb.8896:                             ;   in Loop: Header=BB6_8809 Depth=2
	v_cmp_gt_i16_sdwa s29, v120, v43 src0_sel:BYTE_0 src1_sel:DWORD
	s_mov_b32 s12, 0
	s_and_saveexec_b32 s40, s29
	s_xor_b32 s29, exec_lo, s40
	s_cbranch_execz .LBB6_9979
; %bb.8897:                             ;   in Loop: Header=BB6_8809 Depth=2
	v_cmp_eq_u16_sdwa s41, v120, v44 src0_sel:BYTE_0 src1_sel:DWORD
	s_mov_b32 s12, -1
	s_and_saveexec_b32 s40, s41
; %bb.8898:                             ;   in Loop: Header=BB6_8809 Depth=2
	s_xor_b32 s12, exec_lo, -1
; %bb.8899:                             ;   in Loop: Header=BB6_8809 Depth=2
	s_or_b32 exec_lo, exec_lo, s40
	s_and_b32 s12, s12, exec_lo
	s_or_saveexec_b32 s29, s29
	v_mov_b32_e32 v121, 0x7f800001
	s_xor_b32 exec_lo, exec_lo, s29
	s_cbranch_execnz .LBB6_9980
.LBB6_8900:                             ;   in Loop: Header=BB6_8809 Depth=2
	s_or_b32 exec_lo, exec_lo, s29
	s_and_saveexec_b32 s29, s12
	s_cbranch_execz .LBB6_8902
.LBB6_8901:                             ;   in Loop: Header=BB6_8809 Depth=2
	v_and_b32_e32 v2, 3, v120
	v_lshrrev_b16 v42, 2, v120
	v_ffbh_u32_e32 v3, v2
	v_and_b32_e32 v42, 31, v42
	v_min_u32_e32 v3, 32, v3
	v_cmp_eq_u32_e32 vcc_lo, 0, v42
	v_subrev_nc_u32_e32 v121, 29, v3
	v_sub_nc_u32_e32 v3, 30, v3
	v_lshlrev_b32_e32 v121, v121, v120
	v_lshlrev_b32_e32 v120, 24, v120
	v_cndmask_b32_e32 v3, v42, v3, vcc_lo
	v_and_b32_e32 v121, 3, v121
	v_and_b32_e32 v42, 0x80000000, v120
	v_lshl_add_u32 v3, v3, 23, 0x37800000
	v_cndmask_b32_e32 v2, v2, v121, vcc_lo
	v_lshlrev_b32_e32 v2, 21, v2
	v_or3_b32 v121, v42, v3, v2
.LBB6_8902:                             ;   in Loop: Header=BB6_8809 Depth=2
	s_or_b32 exec_lo, exec_lo, s29
	s_waitcnt vmcnt(29) lgkmcnt(29)
	v_cmp_gt_i16_sdwa s29, v32, v43 src0_sel:BYTE_0 src1_sel:DWORD
	s_mov_b32 s12, 0
	s_and_saveexec_b32 s40, s29
	s_xor_b32 s29, exec_lo, s40
	s_cbranch_execz .LBB6_9981
; %bb.8903:                             ;   in Loop: Header=BB6_8809 Depth=2
	v_cmp_eq_u16_sdwa s41, v32, v44 src0_sel:BYTE_0 src1_sel:DWORD
	s_mov_b32 s12, -1
	s_and_saveexec_b32 s40, s41
; %bb.8904:                             ;   in Loop: Header=BB6_8809 Depth=2
	s_xor_b32 s12, exec_lo, -1
; %bb.8905:                             ;   in Loop: Header=BB6_8809 Depth=2
	s_or_b32 exec_lo, exec_lo, s40
	s_and_b32 s12, s12, exec_lo
	s_or_saveexec_b32 s29, s29
	v_mov_b32_e32 v2, 0x7f800001
	s_xor_b32 exec_lo, exec_lo, s29
	s_cbranch_execnz .LBB6_9982
.LBB6_8906:                             ;   in Loop: Header=BB6_8809 Depth=2
	s_or_b32 exec_lo, exec_lo, s29
	s_and_saveexec_b32 s29, s12
	s_cbranch_execz .LBB6_8908
.LBB6_8907:                             ;   in Loop: Header=BB6_8809 Depth=2
	v_and_b32_e32 v2, 3, v32
	v_lshrrev_b16 v42, 2, v32
	v_ffbh_u32_e32 v3, v2
	v_and_b32_e32 v42, 31, v42
	v_min_u32_e32 v3, 32, v3
	v_cmp_eq_u32_e32 vcc_lo, 0, v42
	v_subrev_nc_u32_e32 v120, 29, v3
	v_sub_nc_u32_e32 v3, 30, v3
	v_lshlrev_b32_e32 v120, v120, v32
	v_lshlrev_b32_e32 v32, 24, v32
	v_cndmask_b32_e32 v3, v42, v3, vcc_lo
	v_and_b32_e32 v120, 3, v120
	v_and_b32_e32 v32, 0x80000000, v32
	v_lshl_add_u32 v3, v3, 23, 0x37800000
	v_cndmask_b32_e32 v2, v2, v120, vcc_lo
	v_lshlrev_b32_e32 v2, 21, v2
	v_or3_b32 v2, v32, v3, v2
.LBB6_8908:                             ;   in Loop: Header=BB6_8809 Depth=2
	s_or_b32 exec_lo, exec_lo, s29
	v_max_f32_e32 v2, v2, v2
	v_max_f32_e32 v3, v121, v121
	v_min_f32_e32 v121, v3, v2
.LBB6_8909:                             ;   in Loop: Header=BB6_8809 Depth=2
	v_and_b32_e32 v2, 0x7f800000, v121
	s_waitcnt vmcnt(29) lgkmcnt(29)
	v_mov_b32_e32 v32, 0x80
	s_mov_b32 s29, exec_lo
	v_cmpx_ne_u32_e32 0x7f800000, v2
	s_cbranch_execz .LBB6_8917
; %bb.8910:                             ;   in Loop: Header=BB6_8809 Depth=2
	v_mov_b32_e32 v32, 0
	s_mov_b32 s40, exec_lo
	v_cmpx_ne_u32_e32 0, v121
	s_cbranch_execz .LBB6_8916
; %bb.8911:                             ;   in Loop: Header=BB6_8809 Depth=2
	v_bfe_u32 v3, v121, 23, 8
	v_and_b32_e32 v2, 0x7fffff, v121
	v_cmp_gt_u32_e64 s12, 0x71, v3
	v_sub_nc_u32_e32 v32, 0x70, v3
	v_cmp_eq_u32_e32 vcc_lo, 0, v3
	v_or_b32_e32 v42, 0x800000, v2
	v_add_nc_u32_e32 v3, 0xffffff91, v3
	v_cndmask_b32_e64 v32, 0, v32, s12
	v_cndmask_b32_e32 v2, v42, v2, vcc_lo
	v_cndmask_b32_e64 v3, v3, 0xffffff92, vcc_lo
	v_cndmask_b32_e64 v32, v32, 0x6f, vcc_lo
	v_lshl_add_u32 v42, 0x200000, v32, -1
	v_lshlrev_b32_e64 v120, v32, 0x100000
	v_and_b32_e32 v42, v42, v2
	v_lshrrev_b32_e32 v2, v32, v2
	v_add_nc_u32_e32 v32, v32, v3
	v_cmp_eq_u32_e64 s12, v42, v120
	v_lshrrev_b32_e32 v3, 23, v2
                                        ; implicit-def: $vgpr42
	v_xor_b32_e32 v120, 1, v3
	v_bfe_u32 v3, v2, 21, 1
	v_add_nc_u32_e32 v3, -1, v3
	v_cndmask_b32_e64 v3, 0, v3, s12
	s_mov_b32 s12, exec_lo
	v_add_nc_u32_e32 v3, v3, v2
	v_and_b32_e32 v3, 0x1fffff, v3
	v_add_nc_u32_e32 v2, v3, v2
	v_cmpx_ne_u32_e64 v32, v120
	s_xor_b32 s12, exec_lo, s12
; %bb.8912:                             ;   in Loop: Header=BB6_8809 Depth=2
	v_cmp_lt_u32_e32 vcc_lo, 0xffffff, v2
	v_sub_nc_u32_e32 v3, v32, v120
	v_cndmask_b32_e64 v32, 0, 1, vcc_lo
	v_add_co_ci_u32_e64 v42, null, 0, v3, vcc_lo
	v_lshrrev_b32_e32 v2, v32, v2
; %bb.8913:                             ;   in Loop: Header=BB6_8809 Depth=2
	s_andn2_saveexec_b32 s12, s12
; %bb.8914:                             ;   in Loop: Header=BB6_8809 Depth=2
	v_bfe_u32 v42, v2, 23, 1
; %bb.8915:                             ;   in Loop: Header=BB6_8809 Depth=2
	s_or_b32 exec_lo, exec_lo, s12
	v_lshrrev_b32_e32 v2, 21, v2
	v_cmp_gt_i32_e32 vcc_lo, 32, v42
	v_min_i32_e32 v3, 31, v42
	v_and_b32_sdwa v32, v121, v44 dst_sel:DWORD dst_unused:UNUSED_PAD src0_sel:BYTE_3 src1_sel:DWORD
	v_cndmask_b32_e32 v2, 3, v2, vcc_lo
	v_lshlrev_b32_e32 v3, 2, v3
	v_and_b32_e32 v120, 3, v2
	v_or_b32_e32 v2, v42, v2
	v_or3_b32 v3, v3, v32, v120
	v_cmp_ne_u32_e32 vcc_lo, 0, v2
	v_cndmask_b32_e32 v32, 0, v3, vcc_lo
.LBB6_8916:                             ;   in Loop: Header=BB6_8809 Depth=2
	s_or_b32 exec_lo, exec_lo, s40
.LBB6_8917:                             ;   in Loop: Header=BB6_8809 Depth=2
	s_or_b32 exec_lo, exec_lo, s29
	v_cmp_gt_i16_sdwa s29, v111, v43 src0_sel:BYTE_0 src1_sel:DWORD
	s_andn2_b32 vcc_lo, exec_lo, s27
	s_mov_b32 s12, -1
                                        ; implicit-def: $vgpr120
	s_cbranch_vccnz .LBB6_8931
; %bb.8918:                             ;   in Loop: Header=BB6_8809 Depth=2
	s_mov_b32 s12, 0
	s_and_saveexec_b32 s40, s29
	s_xor_b32 s29, exec_lo, s40
	s_cbranch_execz .LBB6_9983
; %bb.8919:                             ;   in Loop: Header=BB6_8809 Depth=2
	v_cmp_eq_u16_sdwa s41, v111, v44 src0_sel:BYTE_0 src1_sel:DWORD
	s_mov_b32 s12, -1
	s_and_saveexec_b32 s40, s41
; %bb.8920:                             ;   in Loop: Header=BB6_8809 Depth=2
	s_xor_b32 s12, exec_lo, -1
; %bb.8921:                             ;   in Loop: Header=BB6_8809 Depth=2
	s_or_b32 exec_lo, exec_lo, s40
	s_and_b32 s12, s12, exec_lo
	s_or_saveexec_b32 s29, s29
	v_mov_b32_e32 v120, 0x7f800001
	s_xor_b32 exec_lo, exec_lo, s29
	s_cbranch_execnz .LBB6_9984
.LBB6_8922:                             ;   in Loop: Header=BB6_8809 Depth=2
	s_or_b32 exec_lo, exec_lo, s29
	s_and_saveexec_b32 s29, s12
	s_cbranch_execz .LBB6_8924
.LBB6_8923:                             ;   in Loop: Header=BB6_8809 Depth=2
	v_and_b32_e32 v2, 3, v111
	v_lshrrev_b16 v42, 2, v111
	v_lshlrev_b32_e32 v121, 24, v111
	v_ffbh_u32_e32 v3, v2
	v_and_b32_e32 v42, 31, v42
	v_min_u32_e32 v3, 32, v3
	v_cmp_eq_u32_e32 vcc_lo, 0, v42
	v_subrev_nc_u32_e32 v120, 29, v3
	v_sub_nc_u32_e32 v3, 30, v3
	v_lshlrev_b32_e32 v120, v120, v111
	v_cndmask_b32_e32 v3, v42, v3, vcc_lo
	v_and_b32_e32 v42, 0x80000000, v121
	v_and_b32_e32 v120, 3, v120
	v_lshl_add_u32 v3, v3, 23, 0x37800000
	v_cndmask_b32_e32 v2, v2, v120, vcc_lo
	v_lshlrev_b32_e32 v2, 21, v2
	v_or3_b32 v120, v42, v3, v2
.LBB6_8924:                             ;   in Loop: Header=BB6_8809 Depth=2
	s_or_b32 exec_lo, exec_lo, s29
	s_waitcnt vmcnt(28) lgkmcnt(28)
	v_cmp_gt_i16_sdwa s29, v35, v43 src0_sel:BYTE_0 src1_sel:DWORD
	s_mov_b32 s12, 0
	s_and_saveexec_b32 s40, s29
	s_xor_b32 s29, exec_lo, s40
	s_cbranch_execz .LBB6_9985
; %bb.8925:                             ;   in Loop: Header=BB6_8809 Depth=2
	v_cmp_eq_u16_sdwa s41, v35, v44 src0_sel:BYTE_0 src1_sel:DWORD
	s_mov_b32 s12, -1
	s_and_saveexec_b32 s40, s41
; %bb.8926:                             ;   in Loop: Header=BB6_8809 Depth=2
	s_xor_b32 s12, exec_lo, -1
; %bb.8927:                             ;   in Loop: Header=BB6_8809 Depth=2
	s_or_b32 exec_lo, exec_lo, s40
	s_and_b32 s12, s12, exec_lo
	s_or_saveexec_b32 s29, s29
	v_mov_b32_e32 v2, 0x7f800001
	s_xor_b32 exec_lo, exec_lo, s29
	s_cbranch_execnz .LBB6_9986
.LBB6_8928:                             ;   in Loop: Header=BB6_8809 Depth=2
	s_or_b32 exec_lo, exec_lo, s29
	s_and_saveexec_b32 s29, s12
	s_cbranch_execz .LBB6_8930
.LBB6_8929:                             ;   in Loop: Header=BB6_8809 Depth=2
	v_and_b32_e32 v2, 3, v35
	v_lshrrev_b16 v42, 2, v35
	v_lshlrev_b32_e32 v122, 24, v35
	v_ffbh_u32_e32 v3, v2
	v_and_b32_e32 v42, 31, v42
	v_min_u32_e32 v3, 32, v3
	v_cmp_eq_u32_e32 vcc_lo, 0, v42
	v_subrev_nc_u32_e32 v121, 29, v3
	v_sub_nc_u32_e32 v3, 30, v3
	v_lshlrev_b32_e32 v121, v121, v35
	v_cndmask_b32_e32 v3, v42, v3, vcc_lo
	v_and_b32_e32 v42, 0x80000000, v122
	v_and_b32_e32 v121, 3, v121
	v_lshl_add_u32 v3, v3, 23, 0x37800000
	v_cndmask_b32_e32 v2, v2, v121, vcc_lo
	v_lshlrev_b32_e32 v2, 21, v2
	v_or3_b32 v2, v42, v3, v2
.LBB6_8930:                             ;   in Loop: Header=BB6_8809 Depth=2
	s_or_b32 exec_lo, exec_lo, s29
	v_max_f32_e32 v2, v2, v2
	v_max_f32_e32 v3, v120, v120
	s_mov_b32 s12, 0
	v_max_f32_e32 v120, v3, v2
.LBB6_8931:                             ;   in Loop: Header=BB6_8809 Depth=2
	s_and_b32 vcc_lo, exec_lo, s12
	s_cbranch_vccz .LBB6_8945
; %bb.8932:                             ;   in Loop: Header=BB6_8809 Depth=2
	v_cmp_gt_i16_sdwa s29, v111, v43 src0_sel:BYTE_0 src1_sel:DWORD
	s_mov_b32 s12, 0
	s_and_saveexec_b32 s40, s29
	s_xor_b32 s29, exec_lo, s40
	s_cbranch_execz .LBB6_9987
; %bb.8933:                             ;   in Loop: Header=BB6_8809 Depth=2
	v_cmp_eq_u16_sdwa s41, v111, v44 src0_sel:BYTE_0 src1_sel:DWORD
	s_mov_b32 s12, -1
	s_and_saveexec_b32 s40, s41
; %bb.8934:                             ;   in Loop: Header=BB6_8809 Depth=2
	s_xor_b32 s12, exec_lo, -1
; %bb.8935:                             ;   in Loop: Header=BB6_8809 Depth=2
	s_or_b32 exec_lo, exec_lo, s40
	s_and_b32 s12, s12, exec_lo
	s_or_saveexec_b32 s29, s29
	v_mov_b32_e32 v120, 0x7f800001
	s_xor_b32 exec_lo, exec_lo, s29
	s_cbranch_execnz .LBB6_9988
.LBB6_8936:                             ;   in Loop: Header=BB6_8809 Depth=2
	s_or_b32 exec_lo, exec_lo, s29
	s_and_saveexec_b32 s29, s12
	s_cbranch_execz .LBB6_8938
.LBB6_8937:                             ;   in Loop: Header=BB6_8809 Depth=2
	v_and_b32_e32 v2, 3, v111
	v_lshrrev_b16 v42, 2, v111
	v_ffbh_u32_e32 v3, v2
	v_and_b32_e32 v42, 31, v42
	v_min_u32_e32 v3, 32, v3
	v_cmp_eq_u32_e32 vcc_lo, 0, v42
	v_subrev_nc_u32_e32 v120, 29, v3
	v_sub_nc_u32_e32 v3, 30, v3
	v_lshlrev_b32_e32 v120, v120, v111
	v_lshlrev_b32_e32 v111, 24, v111
	v_cndmask_b32_e32 v3, v42, v3, vcc_lo
	v_and_b32_e32 v120, 3, v120
	v_and_b32_e32 v42, 0x80000000, v111
	v_lshl_add_u32 v3, v3, 23, 0x37800000
	v_cndmask_b32_e32 v2, v2, v120, vcc_lo
	v_lshlrev_b32_e32 v2, 21, v2
	v_or3_b32 v120, v42, v3, v2
.LBB6_8938:                             ;   in Loop: Header=BB6_8809 Depth=2
	s_or_b32 exec_lo, exec_lo, s29
	s_waitcnt vmcnt(28) lgkmcnt(28)
	v_cmp_gt_i16_sdwa s29, v35, v43 src0_sel:BYTE_0 src1_sel:DWORD
	s_mov_b32 s12, 0
	s_and_saveexec_b32 s40, s29
	s_xor_b32 s29, exec_lo, s40
	s_cbranch_execz .LBB6_9989
; %bb.8939:                             ;   in Loop: Header=BB6_8809 Depth=2
	v_cmp_eq_u16_sdwa s41, v35, v44 src0_sel:BYTE_0 src1_sel:DWORD
	s_mov_b32 s12, -1
	s_and_saveexec_b32 s40, s41
; %bb.8940:                             ;   in Loop: Header=BB6_8809 Depth=2
	s_xor_b32 s12, exec_lo, -1
; %bb.8941:                             ;   in Loop: Header=BB6_8809 Depth=2
	s_or_b32 exec_lo, exec_lo, s40
	s_and_b32 s12, s12, exec_lo
	s_or_saveexec_b32 s29, s29
	v_mov_b32_e32 v2, 0x7f800001
	s_xor_b32 exec_lo, exec_lo, s29
	s_cbranch_execnz .LBB6_9990
.LBB6_8942:                             ;   in Loop: Header=BB6_8809 Depth=2
	s_or_b32 exec_lo, exec_lo, s29
	s_and_saveexec_b32 s29, s12
	s_cbranch_execz .LBB6_8944
.LBB6_8943:                             ;   in Loop: Header=BB6_8809 Depth=2
	v_and_b32_e32 v2, 3, v35
	v_lshrrev_b16 v42, 2, v35
	v_ffbh_u32_e32 v3, v2
	v_and_b32_e32 v42, 31, v42
	v_min_u32_e32 v3, 32, v3
	v_cmp_eq_u32_e32 vcc_lo, 0, v42
	v_subrev_nc_u32_e32 v111, 29, v3
	v_sub_nc_u32_e32 v3, 30, v3
	v_lshlrev_b32_e32 v111, v111, v35
	v_lshlrev_b32_e32 v35, 24, v35
	v_cndmask_b32_e32 v3, v42, v3, vcc_lo
	v_and_b32_e32 v111, 3, v111
	v_and_b32_e32 v35, 0x80000000, v35
	v_lshl_add_u32 v3, v3, 23, 0x37800000
	v_cndmask_b32_e32 v2, v2, v111, vcc_lo
	v_lshlrev_b32_e32 v2, 21, v2
	v_or3_b32 v2, v35, v3, v2
.LBB6_8944:                             ;   in Loop: Header=BB6_8809 Depth=2
	s_or_b32 exec_lo, exec_lo, s29
	v_max_f32_e32 v2, v2, v2
	v_max_f32_e32 v3, v120, v120
	v_min_f32_e32 v120, v3, v2
.LBB6_8945:                             ;   in Loop: Header=BB6_8809 Depth=2
	v_and_b32_e32 v2, 0x7f800000, v120
	s_waitcnt vmcnt(28) lgkmcnt(28)
	v_mov_b32_e32 v35, 0x80
	s_mov_b32 s29, exec_lo
	v_cmpx_ne_u32_e32 0x7f800000, v2
	s_cbranch_execz .LBB6_8953
; %bb.8946:                             ;   in Loop: Header=BB6_8809 Depth=2
	v_mov_b32_e32 v35, 0
	s_mov_b32 s40, exec_lo
	v_cmpx_ne_u32_e32 0, v120
	s_cbranch_execz .LBB6_8952
; %bb.8947:                             ;   in Loop: Header=BB6_8809 Depth=2
	v_bfe_u32 v2, v120, 23, 8
	v_and_b32_e32 v3, 0x7fffff, v120
	v_sub_nc_u32_e32 v35, 0x70, v2
	v_cmp_gt_u32_e32 vcc_lo, 0x71, v2
	v_or_b32_e32 v42, 0x800000, v3
	v_cndmask_b32_e32 v35, 0, v35, vcc_lo
	v_cmp_eq_u32_e32 vcc_lo, 0, v2
	v_add_nc_u32_e32 v2, 0xffffff91, v2
	v_cndmask_b32_e64 v35, v35, 0x6f, vcc_lo
	v_cndmask_b32_e32 v3, v42, v3, vcc_lo
	v_cndmask_b32_e64 v2, v2, 0xffffff92, vcc_lo
	v_lshl_add_u32 v42, 0x200000, v35, -1
	v_lshrrev_b32_e32 v111, v35, v3
	v_lshlrev_b32_e64 v122, v35, 0x100000
	v_and_b32_e32 v3, v42, v3
	v_bfe_u32 v121, v111, 21, 1
	v_cmp_eq_u32_e64 s12, v3, v122
	v_add_nc_u32_e32 v42, -1, v121
	v_lshrrev_b32_e32 v121, 23, v111
	v_cndmask_b32_e64 v3, 0, v42, s12
	s_mov_b32 s12, exec_lo
	v_add_nc_u32_e32 v42, v3, v111
	v_add_nc_u32_e32 v3, v35, v2
                                        ; implicit-def: $vgpr35
	v_and_b32_e32 v2, 0x1fffff, v42
	v_xor_b32_e32 v42, 1, v121
	v_add_nc_u32_e32 v2, v2, v111
	v_cmpx_ne_u32_e64 v3, v42
	s_xor_b32 s12, exec_lo, s12
; %bb.8948:                             ;   in Loop: Header=BB6_8809 Depth=2
	v_cmp_lt_u32_e32 vcc_lo, 0xffffff, v2
	v_sub_nc_u32_e32 v3, v3, v42
	v_cndmask_b32_e64 v42, 0, 1, vcc_lo
	v_add_co_ci_u32_e64 v35, null, 0, v3, vcc_lo
	v_lshrrev_b32_e32 v2, v42, v2
; %bb.8949:                             ;   in Loop: Header=BB6_8809 Depth=2
	s_andn2_saveexec_b32 s12, s12
; %bb.8950:                             ;   in Loop: Header=BB6_8809 Depth=2
	v_bfe_u32 v35, v2, 23, 1
; %bb.8951:                             ;   in Loop: Header=BB6_8809 Depth=2
	s_or_b32 exec_lo, exec_lo, s12
	v_lshrrev_b32_e32 v2, 21, v2
	v_cmp_gt_i32_e32 vcc_lo, 32, v35
	v_min_i32_e32 v3, 31, v35
	v_and_b32_sdwa v42, v120, v44 dst_sel:DWORD dst_unused:UNUSED_PAD src0_sel:BYTE_3 src1_sel:DWORD
	v_cndmask_b32_e32 v2, 3, v2, vcc_lo
	v_lshlrev_b32_e32 v3, 2, v3
	v_and_b32_e32 v111, 3, v2
	v_or_b32_e32 v2, v35, v2
	v_or3_b32 v3, v3, v42, v111
	v_cmp_ne_u32_e32 vcc_lo, 0, v2
	v_cndmask_b32_e32 v35, 0, v3, vcc_lo
.LBB6_8952:                             ;   in Loop: Header=BB6_8809 Depth=2
	s_or_b32 exec_lo, exec_lo, s40
.LBB6_8953:                             ;   in Loop: Header=BB6_8809 Depth=2
	s_or_b32 exec_lo, exec_lo, s29
	v_cmp_gt_i16_sdwa s29, v110, v43 src0_sel:BYTE_0 src1_sel:DWORD
	s_andn2_b32 vcc_lo, exec_lo, s27
	s_mov_b32 s12, -1
                                        ; implicit-def: $vgpr111
	s_cbranch_vccnz .LBB6_8967
; %bb.8954:                             ;   in Loop: Header=BB6_8809 Depth=2
	s_mov_b32 s12, 0
	s_and_saveexec_b32 s40, s29
	s_xor_b32 s29, exec_lo, s40
	s_cbranch_execz .LBB6_9991
; %bb.8955:                             ;   in Loop: Header=BB6_8809 Depth=2
	v_cmp_eq_u16_sdwa s41, v110, v44 src0_sel:BYTE_0 src1_sel:DWORD
	s_mov_b32 s12, -1
	s_and_saveexec_b32 s40, s41
; %bb.8956:                             ;   in Loop: Header=BB6_8809 Depth=2
	s_xor_b32 s12, exec_lo, -1
; %bb.8957:                             ;   in Loop: Header=BB6_8809 Depth=2
	s_or_b32 exec_lo, exec_lo, s40
	s_and_b32 s12, s12, exec_lo
	s_or_saveexec_b32 s29, s29
	v_mov_b32_e32 v111, 0x7f800001
	s_xor_b32 exec_lo, exec_lo, s29
	s_cbranch_execnz .LBB6_9992
.LBB6_8958:                             ;   in Loop: Header=BB6_8809 Depth=2
	s_or_b32 exec_lo, exec_lo, s29
	s_and_saveexec_b32 s29, s12
	s_cbranch_execz .LBB6_8960
.LBB6_8959:                             ;   in Loop: Header=BB6_8809 Depth=2
	v_and_b32_e32 v2, 3, v110
	v_lshrrev_b16 v42, 2, v110
	v_lshlrev_b32_e32 v120, 24, v110
	v_ffbh_u32_e32 v3, v2
	v_and_b32_e32 v42, 31, v42
	v_min_u32_e32 v3, 32, v3
	v_cmp_eq_u32_e32 vcc_lo, 0, v42
	v_subrev_nc_u32_e32 v111, 29, v3
	v_sub_nc_u32_e32 v3, 30, v3
	v_lshlrev_b32_e32 v111, v111, v110
	v_cndmask_b32_e32 v3, v42, v3, vcc_lo
	v_and_b32_e32 v42, 0x80000000, v120
	v_and_b32_e32 v111, 3, v111
	v_lshl_add_u32 v3, v3, 23, 0x37800000
	v_cndmask_b32_e32 v2, v2, v111, vcc_lo
	v_lshlrev_b32_e32 v2, 21, v2
	v_or3_b32 v111, v42, v3, v2
.LBB6_8960:                             ;   in Loop: Header=BB6_8809 Depth=2
	s_or_b32 exec_lo, exec_lo, s29
	s_waitcnt vmcnt(27) lgkmcnt(27)
	v_cmp_gt_i16_sdwa s29, v38, v43 src0_sel:BYTE_0 src1_sel:DWORD
	s_mov_b32 s12, 0
	s_and_saveexec_b32 s40, s29
	s_xor_b32 s29, exec_lo, s40
	s_cbranch_execz .LBB6_9993
; %bb.8961:                             ;   in Loop: Header=BB6_8809 Depth=2
	v_cmp_eq_u16_sdwa s41, v38, v44 src0_sel:BYTE_0 src1_sel:DWORD
	s_mov_b32 s12, -1
	s_and_saveexec_b32 s40, s41
; %bb.8962:                             ;   in Loop: Header=BB6_8809 Depth=2
	s_xor_b32 s12, exec_lo, -1
; %bb.8963:                             ;   in Loop: Header=BB6_8809 Depth=2
	s_or_b32 exec_lo, exec_lo, s40
	s_and_b32 s12, s12, exec_lo
	s_or_saveexec_b32 s29, s29
	v_mov_b32_e32 v2, 0x7f800001
	s_xor_b32 exec_lo, exec_lo, s29
	s_cbranch_execnz .LBB6_9994
.LBB6_8964:                             ;   in Loop: Header=BB6_8809 Depth=2
	s_or_b32 exec_lo, exec_lo, s29
	s_and_saveexec_b32 s29, s12
	s_cbranch_execz .LBB6_8966
.LBB6_8965:                             ;   in Loop: Header=BB6_8809 Depth=2
	v_and_b32_e32 v2, 3, v38
	v_lshrrev_b16 v42, 2, v38
	v_lshlrev_b32_e32 v121, 24, v38
	v_ffbh_u32_e32 v3, v2
	v_and_b32_e32 v42, 31, v42
	v_min_u32_e32 v3, 32, v3
	v_cmp_eq_u32_e32 vcc_lo, 0, v42
	v_subrev_nc_u32_e32 v120, 29, v3
	v_sub_nc_u32_e32 v3, 30, v3
	v_lshlrev_b32_e32 v120, v120, v38
	v_cndmask_b32_e32 v3, v42, v3, vcc_lo
	v_and_b32_e32 v42, 0x80000000, v121
	v_and_b32_e32 v120, 3, v120
	v_lshl_add_u32 v3, v3, 23, 0x37800000
	v_cndmask_b32_e32 v2, v2, v120, vcc_lo
	v_lshlrev_b32_e32 v2, 21, v2
	v_or3_b32 v2, v42, v3, v2
.LBB6_8966:                             ;   in Loop: Header=BB6_8809 Depth=2
	s_or_b32 exec_lo, exec_lo, s29
	v_max_f32_e32 v2, v2, v2
	v_max_f32_e32 v3, v111, v111
	s_mov_b32 s12, 0
	v_max_f32_e32 v111, v3, v2
.LBB6_8967:                             ;   in Loop: Header=BB6_8809 Depth=2
	s_and_b32 vcc_lo, exec_lo, s12
	s_cbranch_vccz .LBB6_8981
; %bb.8968:                             ;   in Loop: Header=BB6_8809 Depth=2
	v_cmp_gt_i16_sdwa s29, v110, v43 src0_sel:BYTE_0 src1_sel:DWORD
	s_mov_b32 s12, 0
	s_and_saveexec_b32 s40, s29
	s_xor_b32 s29, exec_lo, s40
	s_cbranch_execz .LBB6_9995
; %bb.8969:                             ;   in Loop: Header=BB6_8809 Depth=2
	v_cmp_eq_u16_sdwa s41, v110, v44 src0_sel:BYTE_0 src1_sel:DWORD
	s_mov_b32 s12, -1
	s_and_saveexec_b32 s40, s41
; %bb.8970:                             ;   in Loop: Header=BB6_8809 Depth=2
	s_xor_b32 s12, exec_lo, -1
; %bb.8971:                             ;   in Loop: Header=BB6_8809 Depth=2
	s_or_b32 exec_lo, exec_lo, s40
	s_and_b32 s12, s12, exec_lo
	s_or_saveexec_b32 s29, s29
	v_mov_b32_e32 v111, 0x7f800001
	s_xor_b32 exec_lo, exec_lo, s29
	s_cbranch_execnz .LBB6_9996
.LBB6_8972:                             ;   in Loop: Header=BB6_8809 Depth=2
	s_or_b32 exec_lo, exec_lo, s29
	s_and_saveexec_b32 s29, s12
	s_cbranch_execz .LBB6_8974
.LBB6_8973:                             ;   in Loop: Header=BB6_8809 Depth=2
	v_and_b32_e32 v2, 3, v110
	v_lshrrev_b16 v42, 2, v110
	v_ffbh_u32_e32 v3, v2
	v_and_b32_e32 v42, 31, v42
	v_min_u32_e32 v3, 32, v3
	v_cmp_eq_u32_e32 vcc_lo, 0, v42
	v_subrev_nc_u32_e32 v111, 29, v3
	v_sub_nc_u32_e32 v3, 30, v3
	v_lshlrev_b32_e32 v111, v111, v110
	v_lshlrev_b32_e32 v110, 24, v110
	v_cndmask_b32_e32 v3, v42, v3, vcc_lo
	v_and_b32_e32 v111, 3, v111
	v_and_b32_e32 v42, 0x80000000, v110
	v_lshl_add_u32 v3, v3, 23, 0x37800000
	v_cndmask_b32_e32 v2, v2, v111, vcc_lo
	v_lshlrev_b32_e32 v2, 21, v2
	v_or3_b32 v111, v42, v3, v2
.LBB6_8974:                             ;   in Loop: Header=BB6_8809 Depth=2
	s_or_b32 exec_lo, exec_lo, s29
	s_waitcnt vmcnt(27) lgkmcnt(27)
	v_cmp_gt_i16_sdwa s29, v38, v43 src0_sel:BYTE_0 src1_sel:DWORD
	s_mov_b32 s12, 0
	s_and_saveexec_b32 s40, s29
	s_xor_b32 s29, exec_lo, s40
	s_cbranch_execz .LBB6_9997
; %bb.8975:                             ;   in Loop: Header=BB6_8809 Depth=2
	v_cmp_eq_u16_sdwa s41, v38, v44 src0_sel:BYTE_0 src1_sel:DWORD
	s_mov_b32 s12, -1
	s_and_saveexec_b32 s40, s41
; %bb.8976:                             ;   in Loop: Header=BB6_8809 Depth=2
	s_xor_b32 s12, exec_lo, -1
; %bb.8977:                             ;   in Loop: Header=BB6_8809 Depth=2
	s_or_b32 exec_lo, exec_lo, s40
	s_and_b32 s12, s12, exec_lo
	s_or_saveexec_b32 s29, s29
	v_mov_b32_e32 v2, 0x7f800001
	s_xor_b32 exec_lo, exec_lo, s29
	s_cbranch_execnz .LBB6_9998
.LBB6_8978:                             ;   in Loop: Header=BB6_8809 Depth=2
	s_or_b32 exec_lo, exec_lo, s29
	s_and_saveexec_b32 s29, s12
	s_cbranch_execz .LBB6_8980
.LBB6_8979:                             ;   in Loop: Header=BB6_8809 Depth=2
	v_and_b32_e32 v2, 3, v38
	v_lshrrev_b16 v42, 2, v38
	v_ffbh_u32_e32 v3, v2
	v_and_b32_e32 v42, 31, v42
	v_min_u32_e32 v3, 32, v3
	v_cmp_eq_u32_e32 vcc_lo, 0, v42
	v_subrev_nc_u32_e32 v110, 29, v3
	v_sub_nc_u32_e32 v3, 30, v3
	v_lshlrev_b32_e32 v110, v110, v38
	v_lshlrev_b32_e32 v38, 24, v38
	v_cndmask_b32_e32 v3, v42, v3, vcc_lo
	v_and_b32_e32 v110, 3, v110
	v_and_b32_e32 v38, 0x80000000, v38
	v_lshl_add_u32 v3, v3, 23, 0x37800000
	v_cndmask_b32_e32 v2, v2, v110, vcc_lo
	v_lshlrev_b32_e32 v2, 21, v2
	v_or3_b32 v2, v38, v3, v2
.LBB6_8980:                             ;   in Loop: Header=BB6_8809 Depth=2
	s_or_b32 exec_lo, exec_lo, s29
	v_max_f32_e32 v2, v2, v2
	v_max_f32_e32 v3, v111, v111
	v_min_f32_e32 v111, v3, v2
.LBB6_8981:                             ;   in Loop: Header=BB6_8809 Depth=2
	v_and_b32_e32 v2, 0x7f800000, v111
	s_waitcnt vmcnt(27) lgkmcnt(27)
	v_mov_b32_e32 v38, 0x80
	s_mov_b32 s29, exec_lo
	v_cmpx_ne_u32_e32 0x7f800000, v2
	s_cbranch_execz .LBB6_8989
; %bb.8982:                             ;   in Loop: Header=BB6_8809 Depth=2
	v_mov_b32_e32 v38, 0
	s_mov_b32 s40, exec_lo
	v_cmpx_ne_u32_e32 0, v111
	s_cbranch_execz .LBB6_8988
; %bb.8983:                             ;   in Loop: Header=BB6_8809 Depth=2
	v_bfe_u32 v2, v111, 23, 8
	v_and_b32_e32 v3, 0x7fffff, v111
	v_sub_nc_u32_e32 v38, 0x70, v2
	v_cmp_gt_u32_e32 vcc_lo, 0x71, v2
	v_or_b32_e32 v42, 0x800000, v3
	v_cndmask_b32_e32 v38, 0, v38, vcc_lo
	v_cmp_eq_u32_e32 vcc_lo, 0, v2
	v_add_nc_u32_e32 v2, 0xffffff91, v2
	v_cndmask_b32_e64 v38, v38, 0x6f, vcc_lo
	v_cndmask_b32_e32 v3, v42, v3, vcc_lo
	v_cndmask_b32_e64 v2, v2, 0xffffff92, vcc_lo
	v_lshl_add_u32 v42, 0x200000, v38, -1
	v_lshrrev_b32_e32 v110, v38, v3
	v_lshlrev_b32_e64 v121, v38, 0x100000
	v_and_b32_e32 v3, v42, v3
	v_bfe_u32 v120, v110, 21, 1
	v_cmp_eq_u32_e64 s12, v3, v121
	v_add_nc_u32_e32 v42, -1, v120
	v_lshrrev_b32_e32 v120, 23, v110
	v_cndmask_b32_e64 v3, 0, v42, s12
	s_mov_b32 s12, exec_lo
	v_add_nc_u32_e32 v42, v3, v110
	v_add_nc_u32_e32 v3, v38, v2
                                        ; implicit-def: $vgpr38
	v_and_b32_e32 v2, 0x1fffff, v42
	v_xor_b32_e32 v42, 1, v120
	v_add_nc_u32_e32 v2, v2, v110
	v_cmpx_ne_u32_e64 v3, v42
	s_xor_b32 s12, exec_lo, s12
; %bb.8984:                             ;   in Loop: Header=BB6_8809 Depth=2
	v_cmp_lt_u32_e32 vcc_lo, 0xffffff, v2
	v_sub_nc_u32_e32 v3, v3, v42
	v_cndmask_b32_e64 v42, 0, 1, vcc_lo
	v_add_co_ci_u32_e64 v38, null, 0, v3, vcc_lo
	v_lshrrev_b32_e32 v2, v42, v2
; %bb.8985:                             ;   in Loop: Header=BB6_8809 Depth=2
	s_andn2_saveexec_b32 s12, s12
; %bb.8986:                             ;   in Loop: Header=BB6_8809 Depth=2
	v_bfe_u32 v38, v2, 23, 1
; %bb.8987:                             ;   in Loop: Header=BB6_8809 Depth=2
	s_or_b32 exec_lo, exec_lo, s12
	v_lshrrev_b32_e32 v2, 21, v2
	v_cmp_gt_i32_e32 vcc_lo, 32, v38
	v_min_i32_e32 v3, 31, v38
	v_and_b32_sdwa v42, v111, v44 dst_sel:DWORD dst_unused:UNUSED_PAD src0_sel:BYTE_3 src1_sel:DWORD
	v_cndmask_b32_e32 v2, 3, v2, vcc_lo
	v_lshlrev_b32_e32 v3, 2, v3
	v_and_b32_e32 v110, 3, v2
	v_or_b32_e32 v2, v38, v2
	v_or3_b32 v3, v3, v42, v110
	v_cmp_ne_u32_e32 vcc_lo, 0, v2
	v_cndmask_b32_e32 v38, 0, v3, vcc_lo
.LBB6_8988:                             ;   in Loop: Header=BB6_8809 Depth=2
	s_or_b32 exec_lo, exec_lo, s40
.LBB6_8989:                             ;   in Loop: Header=BB6_8809 Depth=2
	s_or_b32 exec_lo, exec_lo, s29
	v_cmp_gt_i16_sdwa s29, v109, v43 src0_sel:BYTE_0 src1_sel:DWORD
	s_andn2_b32 vcc_lo, exec_lo, s27
	s_mov_b32 s12, -1
                                        ; implicit-def: $vgpr110
	s_cbranch_vccnz .LBB6_9003
; %bb.8990:                             ;   in Loop: Header=BB6_8809 Depth=2
	s_mov_b32 s12, 0
	s_and_saveexec_b32 s40, s29
	s_xor_b32 s29, exec_lo, s40
	s_cbranch_execz .LBB6_9999
; %bb.8991:                             ;   in Loop: Header=BB6_8809 Depth=2
	v_cmp_eq_u16_sdwa s41, v109, v44 src0_sel:BYTE_0 src1_sel:DWORD
	s_mov_b32 s12, -1
	s_and_saveexec_b32 s40, s41
; %bb.8992:                             ;   in Loop: Header=BB6_8809 Depth=2
	s_xor_b32 s12, exec_lo, -1
; %bb.8993:                             ;   in Loop: Header=BB6_8809 Depth=2
	s_or_b32 exec_lo, exec_lo, s40
	s_and_b32 s12, s12, exec_lo
	s_or_saveexec_b32 s29, s29
	v_mov_b32_e32 v110, 0x7f800001
	s_xor_b32 exec_lo, exec_lo, s29
	s_cbranch_execnz .LBB6_10000
.LBB6_8994:                             ;   in Loop: Header=BB6_8809 Depth=2
	s_or_b32 exec_lo, exec_lo, s29
	s_and_saveexec_b32 s29, s12
	s_cbranch_execz .LBB6_8996
.LBB6_8995:                             ;   in Loop: Header=BB6_8809 Depth=2
	v_and_b32_e32 v2, 3, v109
	v_lshrrev_b16 v42, 2, v109
	v_lshlrev_b32_e32 v111, 24, v109
	v_ffbh_u32_e32 v3, v2
	v_and_b32_e32 v42, 31, v42
	v_min_u32_e32 v3, 32, v3
	v_cmp_eq_u32_e32 vcc_lo, 0, v42
	v_subrev_nc_u32_e32 v110, 29, v3
	v_sub_nc_u32_e32 v3, 30, v3
	v_lshlrev_b32_e32 v110, v110, v109
	v_cndmask_b32_e32 v3, v42, v3, vcc_lo
	v_and_b32_e32 v42, 0x80000000, v111
	v_and_b32_e32 v110, 3, v110
	v_lshl_add_u32 v3, v3, 23, 0x37800000
	v_cndmask_b32_e32 v2, v2, v110, vcc_lo
	v_lshlrev_b32_e32 v2, 21, v2
	v_or3_b32 v110, v42, v3, v2
.LBB6_8996:                             ;   in Loop: Header=BB6_8809 Depth=2
	s_or_b32 exec_lo, exec_lo, s29
	s_waitcnt vmcnt(26) lgkmcnt(26)
	v_cmp_gt_i16_sdwa s29, v49, v43 src0_sel:BYTE_0 src1_sel:DWORD
	s_mov_b32 s12, 0
	s_and_saveexec_b32 s40, s29
	s_xor_b32 s29, exec_lo, s40
	s_cbranch_execz .LBB6_10001
; %bb.8997:                             ;   in Loop: Header=BB6_8809 Depth=2
	v_cmp_eq_u16_sdwa s41, v49, v44 src0_sel:BYTE_0 src1_sel:DWORD
	s_mov_b32 s12, -1
	s_and_saveexec_b32 s40, s41
; %bb.8998:                             ;   in Loop: Header=BB6_8809 Depth=2
	s_xor_b32 s12, exec_lo, -1
; %bb.8999:                             ;   in Loop: Header=BB6_8809 Depth=2
	s_or_b32 exec_lo, exec_lo, s40
	s_and_b32 s12, s12, exec_lo
	s_or_saveexec_b32 s29, s29
	v_mov_b32_e32 v2, 0x7f800001
	s_xor_b32 exec_lo, exec_lo, s29
	s_cbranch_execnz .LBB6_10002
.LBB6_9000:                             ;   in Loop: Header=BB6_8809 Depth=2
	s_or_b32 exec_lo, exec_lo, s29
	s_and_saveexec_b32 s29, s12
	s_cbranch_execz .LBB6_9002
.LBB6_9001:                             ;   in Loop: Header=BB6_8809 Depth=2
	v_and_b32_e32 v2, 3, v49
	v_lshrrev_b16 v42, 2, v49
	v_lshlrev_b32_e32 v120, 24, v49
	v_ffbh_u32_e32 v3, v2
	v_and_b32_e32 v42, 31, v42
	v_min_u32_e32 v3, 32, v3
	v_cmp_eq_u32_e32 vcc_lo, 0, v42
	v_subrev_nc_u32_e32 v111, 29, v3
	v_sub_nc_u32_e32 v3, 30, v3
	v_lshlrev_b32_e32 v111, v111, v49
	v_cndmask_b32_e32 v3, v42, v3, vcc_lo
	v_and_b32_e32 v42, 0x80000000, v120
	v_and_b32_e32 v111, 3, v111
	v_lshl_add_u32 v3, v3, 23, 0x37800000
	v_cndmask_b32_e32 v2, v2, v111, vcc_lo
	v_lshlrev_b32_e32 v2, 21, v2
	v_or3_b32 v2, v42, v3, v2
.LBB6_9002:                             ;   in Loop: Header=BB6_8809 Depth=2
	s_or_b32 exec_lo, exec_lo, s29
	v_max_f32_e32 v2, v2, v2
	v_max_f32_e32 v3, v110, v110
	s_mov_b32 s12, 0
	v_max_f32_e32 v110, v3, v2
.LBB6_9003:                             ;   in Loop: Header=BB6_8809 Depth=2
	s_and_b32 vcc_lo, exec_lo, s12
	s_cbranch_vccz .LBB6_9017
; %bb.9004:                             ;   in Loop: Header=BB6_8809 Depth=2
	v_cmp_gt_i16_sdwa s29, v109, v43 src0_sel:BYTE_0 src1_sel:DWORD
	s_mov_b32 s12, 0
	s_and_saveexec_b32 s40, s29
	s_xor_b32 s29, exec_lo, s40
	s_cbranch_execz .LBB6_10003
; %bb.9005:                             ;   in Loop: Header=BB6_8809 Depth=2
	v_cmp_eq_u16_sdwa s41, v109, v44 src0_sel:BYTE_0 src1_sel:DWORD
	s_mov_b32 s12, -1
	s_and_saveexec_b32 s40, s41
; %bb.9006:                             ;   in Loop: Header=BB6_8809 Depth=2
	s_xor_b32 s12, exec_lo, -1
; %bb.9007:                             ;   in Loop: Header=BB6_8809 Depth=2
	s_or_b32 exec_lo, exec_lo, s40
	s_and_b32 s12, s12, exec_lo
	s_or_saveexec_b32 s29, s29
	v_mov_b32_e32 v110, 0x7f800001
	s_xor_b32 exec_lo, exec_lo, s29
	s_cbranch_execnz .LBB6_10004
.LBB6_9008:                             ;   in Loop: Header=BB6_8809 Depth=2
	s_or_b32 exec_lo, exec_lo, s29
	s_and_saveexec_b32 s29, s12
	s_cbranch_execz .LBB6_9010
.LBB6_9009:                             ;   in Loop: Header=BB6_8809 Depth=2
	v_and_b32_e32 v2, 3, v109
	v_lshrrev_b16 v42, 2, v109
	v_ffbh_u32_e32 v3, v2
	v_and_b32_e32 v42, 31, v42
	v_min_u32_e32 v3, 32, v3
	v_cmp_eq_u32_e32 vcc_lo, 0, v42
	v_subrev_nc_u32_e32 v110, 29, v3
	v_sub_nc_u32_e32 v3, 30, v3
	v_lshlrev_b32_e32 v110, v110, v109
	v_lshlrev_b32_e32 v109, 24, v109
	v_cndmask_b32_e32 v3, v42, v3, vcc_lo
	v_and_b32_e32 v110, 3, v110
	v_and_b32_e32 v42, 0x80000000, v109
	v_lshl_add_u32 v3, v3, 23, 0x37800000
	v_cndmask_b32_e32 v2, v2, v110, vcc_lo
	v_lshlrev_b32_e32 v2, 21, v2
	v_or3_b32 v110, v42, v3, v2
.LBB6_9010:                             ;   in Loop: Header=BB6_8809 Depth=2
	s_or_b32 exec_lo, exec_lo, s29
	s_waitcnt vmcnt(26) lgkmcnt(26)
	v_cmp_gt_i16_sdwa s29, v49, v43 src0_sel:BYTE_0 src1_sel:DWORD
	s_mov_b32 s12, 0
	s_and_saveexec_b32 s40, s29
	s_xor_b32 s29, exec_lo, s40
	s_cbranch_execz .LBB6_10005
; %bb.9011:                             ;   in Loop: Header=BB6_8809 Depth=2
	v_cmp_eq_u16_sdwa s41, v49, v44 src0_sel:BYTE_0 src1_sel:DWORD
	s_mov_b32 s12, -1
	s_and_saveexec_b32 s40, s41
; %bb.9012:                             ;   in Loop: Header=BB6_8809 Depth=2
	s_xor_b32 s12, exec_lo, -1
; %bb.9013:                             ;   in Loop: Header=BB6_8809 Depth=2
	s_or_b32 exec_lo, exec_lo, s40
	s_and_b32 s12, s12, exec_lo
	s_or_saveexec_b32 s29, s29
	v_mov_b32_e32 v2, 0x7f800001
	s_xor_b32 exec_lo, exec_lo, s29
	s_cbranch_execnz .LBB6_10006
.LBB6_9014:                             ;   in Loop: Header=BB6_8809 Depth=2
	s_or_b32 exec_lo, exec_lo, s29
	s_and_saveexec_b32 s29, s12
	s_cbranch_execz .LBB6_9016
.LBB6_9015:                             ;   in Loop: Header=BB6_8809 Depth=2
	v_and_b32_e32 v2, 3, v49
	v_lshrrev_b16 v42, 2, v49
	v_ffbh_u32_e32 v3, v2
	v_and_b32_e32 v42, 31, v42
	v_min_u32_e32 v3, 32, v3
	v_cmp_eq_u32_e32 vcc_lo, 0, v42
	v_subrev_nc_u32_e32 v109, 29, v3
	v_sub_nc_u32_e32 v3, 30, v3
	v_lshlrev_b32_e32 v109, v109, v49
	v_lshlrev_b32_e32 v49, 24, v49
	v_cndmask_b32_e32 v3, v42, v3, vcc_lo
	v_and_b32_e32 v109, 3, v109
	v_and_b32_e32 v49, 0x80000000, v49
	v_lshl_add_u32 v3, v3, 23, 0x37800000
	v_cndmask_b32_e32 v2, v2, v109, vcc_lo
	v_lshlrev_b32_e32 v2, 21, v2
	v_or3_b32 v2, v49, v3, v2
.LBB6_9016:                             ;   in Loop: Header=BB6_8809 Depth=2
	s_or_b32 exec_lo, exec_lo, s29
	v_max_f32_e32 v2, v2, v2
	v_max_f32_e32 v3, v110, v110
	v_min_f32_e32 v110, v3, v2
.LBB6_9017:                             ;   in Loop: Header=BB6_8809 Depth=2
	v_and_b32_e32 v2, 0x7f800000, v110
	s_waitcnt vmcnt(26) lgkmcnt(26)
	v_mov_b32_e32 v49, 0x80
	s_mov_b32 s29, exec_lo
	v_cmpx_ne_u32_e32 0x7f800000, v2
	s_cbranch_execz .LBB6_9025
; %bb.9018:                             ;   in Loop: Header=BB6_8809 Depth=2
	v_mov_b32_e32 v49, 0
	s_mov_b32 s40, exec_lo
	v_cmpx_ne_u32_e32 0, v110
	s_cbranch_execz .LBB6_9024
; %bb.9019:                             ;   in Loop: Header=BB6_8809 Depth=2
	v_bfe_u32 v2, v110, 23, 8
	v_and_b32_e32 v3, 0x7fffff, v110
	v_sub_nc_u32_e32 v49, 0x70, v2
	v_cmp_gt_u32_e32 vcc_lo, 0x71, v2
	v_or_b32_e32 v42, 0x800000, v3
	v_cndmask_b32_e32 v49, 0, v49, vcc_lo
	v_cmp_eq_u32_e32 vcc_lo, 0, v2
	v_add_nc_u32_e32 v2, 0xffffff91, v2
	v_cndmask_b32_e64 v49, v49, 0x6f, vcc_lo
	v_cndmask_b32_e32 v3, v42, v3, vcc_lo
	v_cndmask_b32_e64 v2, v2, 0xffffff92, vcc_lo
	v_lshl_add_u32 v42, 0x200000, v49, -1
	v_lshrrev_b32_e32 v109, v49, v3
	v_lshlrev_b32_e64 v120, v49, 0x100000
	v_and_b32_e32 v3, v42, v3
	v_bfe_u32 v111, v109, 21, 1
	v_cmp_eq_u32_e64 s12, v3, v120
	v_add_nc_u32_e32 v42, -1, v111
	v_lshrrev_b32_e32 v111, 23, v109
	v_cndmask_b32_e64 v3, 0, v42, s12
	s_mov_b32 s12, exec_lo
	v_add_nc_u32_e32 v42, v3, v109
	v_add_nc_u32_e32 v3, v49, v2
                                        ; implicit-def: $vgpr49
	v_and_b32_e32 v2, 0x1fffff, v42
	v_xor_b32_e32 v42, 1, v111
	v_add_nc_u32_e32 v2, v2, v109
	v_cmpx_ne_u32_e64 v3, v42
	s_xor_b32 s12, exec_lo, s12
; %bb.9020:                             ;   in Loop: Header=BB6_8809 Depth=2
	v_cmp_lt_u32_e32 vcc_lo, 0xffffff, v2
	v_sub_nc_u32_e32 v3, v3, v42
	v_cndmask_b32_e64 v42, 0, 1, vcc_lo
	v_add_co_ci_u32_e64 v49, null, 0, v3, vcc_lo
	v_lshrrev_b32_e32 v2, v42, v2
; %bb.9021:                             ;   in Loop: Header=BB6_8809 Depth=2
	s_andn2_saveexec_b32 s12, s12
; %bb.9022:                             ;   in Loop: Header=BB6_8809 Depth=2
	v_bfe_u32 v49, v2, 23, 1
; %bb.9023:                             ;   in Loop: Header=BB6_8809 Depth=2
	s_or_b32 exec_lo, exec_lo, s12
	v_lshrrev_b32_e32 v2, 21, v2
	v_cmp_gt_i32_e32 vcc_lo, 32, v49
	v_min_i32_e32 v3, 31, v49
	v_and_b32_sdwa v42, v110, v44 dst_sel:DWORD dst_unused:UNUSED_PAD src0_sel:BYTE_3 src1_sel:DWORD
	v_cndmask_b32_e32 v2, 3, v2, vcc_lo
	v_lshlrev_b32_e32 v3, 2, v3
	v_and_b32_e32 v109, 3, v2
	v_or_b32_e32 v2, v49, v2
	v_or3_b32 v3, v3, v42, v109
	v_cmp_ne_u32_e32 vcc_lo, 0, v2
	v_cndmask_b32_e32 v49, 0, v3, vcc_lo
.LBB6_9024:                             ;   in Loop: Header=BB6_8809 Depth=2
	s_or_b32 exec_lo, exec_lo, s40
.LBB6_9025:                             ;   in Loop: Header=BB6_8809 Depth=2
	s_or_b32 exec_lo, exec_lo, s29
	v_cmp_gt_i16_sdwa s29, v108, v43 src0_sel:BYTE_0 src1_sel:DWORD
	s_andn2_b32 vcc_lo, exec_lo, s27
	s_mov_b32 s12, -1
                                        ; implicit-def: $vgpr109
	s_cbranch_vccnz .LBB6_9039
; %bb.9026:                             ;   in Loop: Header=BB6_8809 Depth=2
	s_mov_b32 s12, 0
	s_and_saveexec_b32 s40, s29
	s_xor_b32 s29, exec_lo, s40
	s_cbranch_execz .LBB6_10007
; %bb.9027:                             ;   in Loop: Header=BB6_8809 Depth=2
	v_cmp_eq_u16_sdwa s41, v108, v44 src0_sel:BYTE_0 src1_sel:DWORD
	s_mov_b32 s12, -1
	s_and_saveexec_b32 s40, s41
; %bb.9028:                             ;   in Loop: Header=BB6_8809 Depth=2
	s_xor_b32 s12, exec_lo, -1
; %bb.9029:                             ;   in Loop: Header=BB6_8809 Depth=2
	s_or_b32 exec_lo, exec_lo, s40
	s_and_b32 s12, s12, exec_lo
	s_or_saveexec_b32 s29, s29
	v_mov_b32_e32 v109, 0x7f800001
	s_xor_b32 exec_lo, exec_lo, s29
	s_cbranch_execnz .LBB6_10008
.LBB6_9030:                             ;   in Loop: Header=BB6_8809 Depth=2
	s_or_b32 exec_lo, exec_lo, s29
	s_and_saveexec_b32 s29, s12
	s_cbranch_execz .LBB6_9032
.LBB6_9031:                             ;   in Loop: Header=BB6_8809 Depth=2
	v_and_b32_e32 v2, 3, v108
	v_lshrrev_b16 v42, 2, v108
	v_lshlrev_b32_e32 v110, 24, v108
	v_ffbh_u32_e32 v3, v2
	v_and_b32_e32 v42, 31, v42
	v_min_u32_e32 v3, 32, v3
	v_cmp_eq_u32_e32 vcc_lo, 0, v42
	v_subrev_nc_u32_e32 v109, 29, v3
	v_sub_nc_u32_e32 v3, 30, v3
	v_lshlrev_b32_e32 v109, v109, v108
	v_cndmask_b32_e32 v3, v42, v3, vcc_lo
	v_and_b32_e32 v42, 0x80000000, v110
	v_and_b32_e32 v109, 3, v109
	v_lshl_add_u32 v3, v3, 23, 0x37800000
	v_cndmask_b32_e32 v2, v2, v109, vcc_lo
	v_lshlrev_b32_e32 v2, 21, v2
	v_or3_b32 v109, v42, v3, v2
.LBB6_9032:                             ;   in Loop: Header=BB6_8809 Depth=2
	s_or_b32 exec_lo, exec_lo, s29
	s_waitcnt vmcnt(25) lgkmcnt(25)
	v_cmp_gt_i16_sdwa s29, v51, v43 src0_sel:BYTE_0 src1_sel:DWORD
	s_mov_b32 s12, 0
	s_and_saveexec_b32 s40, s29
	s_xor_b32 s29, exec_lo, s40
	s_cbranch_execz .LBB6_10009
; %bb.9033:                             ;   in Loop: Header=BB6_8809 Depth=2
	v_cmp_eq_u16_sdwa s41, v51, v44 src0_sel:BYTE_0 src1_sel:DWORD
	s_mov_b32 s12, -1
	s_and_saveexec_b32 s40, s41
; %bb.9034:                             ;   in Loop: Header=BB6_8809 Depth=2
	s_xor_b32 s12, exec_lo, -1
; %bb.9035:                             ;   in Loop: Header=BB6_8809 Depth=2
	s_or_b32 exec_lo, exec_lo, s40
	s_and_b32 s12, s12, exec_lo
	s_or_saveexec_b32 s29, s29
	v_mov_b32_e32 v2, 0x7f800001
	s_xor_b32 exec_lo, exec_lo, s29
	s_cbranch_execnz .LBB6_10010
.LBB6_9036:                             ;   in Loop: Header=BB6_8809 Depth=2
	s_or_b32 exec_lo, exec_lo, s29
	s_and_saveexec_b32 s29, s12
	s_cbranch_execz .LBB6_9038
.LBB6_9037:                             ;   in Loop: Header=BB6_8809 Depth=2
	v_and_b32_e32 v2, 3, v51
	v_lshrrev_b16 v42, 2, v51
	v_lshlrev_b32_e32 v111, 24, v51
	v_ffbh_u32_e32 v3, v2
	v_and_b32_e32 v42, 31, v42
	v_min_u32_e32 v3, 32, v3
	v_cmp_eq_u32_e32 vcc_lo, 0, v42
	v_subrev_nc_u32_e32 v110, 29, v3
	v_sub_nc_u32_e32 v3, 30, v3
	v_lshlrev_b32_e32 v110, v110, v51
	v_cndmask_b32_e32 v3, v42, v3, vcc_lo
	v_and_b32_e32 v42, 0x80000000, v111
	v_and_b32_e32 v110, 3, v110
	v_lshl_add_u32 v3, v3, 23, 0x37800000
	v_cndmask_b32_e32 v2, v2, v110, vcc_lo
	v_lshlrev_b32_e32 v2, 21, v2
	v_or3_b32 v2, v42, v3, v2
.LBB6_9038:                             ;   in Loop: Header=BB6_8809 Depth=2
	s_or_b32 exec_lo, exec_lo, s29
	v_max_f32_e32 v2, v2, v2
	v_max_f32_e32 v3, v109, v109
	s_mov_b32 s12, 0
	v_max_f32_e32 v109, v3, v2
.LBB6_9039:                             ;   in Loop: Header=BB6_8809 Depth=2
	s_and_b32 vcc_lo, exec_lo, s12
	s_cbranch_vccz .LBB6_9053
; %bb.9040:                             ;   in Loop: Header=BB6_8809 Depth=2
	v_cmp_gt_i16_sdwa s29, v108, v43 src0_sel:BYTE_0 src1_sel:DWORD
	s_mov_b32 s12, 0
	s_and_saveexec_b32 s40, s29
	s_xor_b32 s29, exec_lo, s40
	s_cbranch_execz .LBB6_10011
; %bb.9041:                             ;   in Loop: Header=BB6_8809 Depth=2
	v_cmp_eq_u16_sdwa s41, v108, v44 src0_sel:BYTE_0 src1_sel:DWORD
	s_mov_b32 s12, -1
	s_and_saveexec_b32 s40, s41
; %bb.9042:                             ;   in Loop: Header=BB6_8809 Depth=2
	s_xor_b32 s12, exec_lo, -1
; %bb.9043:                             ;   in Loop: Header=BB6_8809 Depth=2
	s_or_b32 exec_lo, exec_lo, s40
	s_and_b32 s12, s12, exec_lo
	s_or_saveexec_b32 s29, s29
	v_mov_b32_e32 v109, 0x7f800001
	s_xor_b32 exec_lo, exec_lo, s29
	s_cbranch_execnz .LBB6_10012
.LBB6_9044:                             ;   in Loop: Header=BB6_8809 Depth=2
	s_or_b32 exec_lo, exec_lo, s29
	s_and_saveexec_b32 s29, s12
	s_cbranch_execz .LBB6_9046
.LBB6_9045:                             ;   in Loop: Header=BB6_8809 Depth=2
	v_and_b32_e32 v2, 3, v108
	v_lshrrev_b16 v42, 2, v108
	v_ffbh_u32_e32 v3, v2
	v_and_b32_e32 v42, 31, v42
	v_min_u32_e32 v3, 32, v3
	v_cmp_eq_u32_e32 vcc_lo, 0, v42
	v_subrev_nc_u32_e32 v109, 29, v3
	v_sub_nc_u32_e32 v3, 30, v3
	v_lshlrev_b32_e32 v109, v109, v108
	v_lshlrev_b32_e32 v108, 24, v108
	v_cndmask_b32_e32 v3, v42, v3, vcc_lo
	v_and_b32_e32 v109, 3, v109
	v_and_b32_e32 v42, 0x80000000, v108
	v_lshl_add_u32 v3, v3, 23, 0x37800000
	v_cndmask_b32_e32 v2, v2, v109, vcc_lo
	v_lshlrev_b32_e32 v2, 21, v2
	v_or3_b32 v109, v42, v3, v2
.LBB6_9046:                             ;   in Loop: Header=BB6_8809 Depth=2
	s_or_b32 exec_lo, exec_lo, s29
	s_waitcnt vmcnt(25) lgkmcnt(25)
	v_cmp_gt_i16_sdwa s29, v51, v43 src0_sel:BYTE_0 src1_sel:DWORD
	s_mov_b32 s12, 0
	s_and_saveexec_b32 s40, s29
	s_xor_b32 s29, exec_lo, s40
	s_cbranch_execz .LBB6_10013
; %bb.9047:                             ;   in Loop: Header=BB6_8809 Depth=2
	v_cmp_eq_u16_sdwa s41, v51, v44 src0_sel:BYTE_0 src1_sel:DWORD
	s_mov_b32 s12, -1
	s_and_saveexec_b32 s40, s41
; %bb.9048:                             ;   in Loop: Header=BB6_8809 Depth=2
	s_xor_b32 s12, exec_lo, -1
; %bb.9049:                             ;   in Loop: Header=BB6_8809 Depth=2
	s_or_b32 exec_lo, exec_lo, s40
	s_and_b32 s12, s12, exec_lo
	s_or_saveexec_b32 s29, s29
	v_mov_b32_e32 v2, 0x7f800001
	s_xor_b32 exec_lo, exec_lo, s29
	s_cbranch_execnz .LBB6_10014
.LBB6_9050:                             ;   in Loop: Header=BB6_8809 Depth=2
	s_or_b32 exec_lo, exec_lo, s29
	s_and_saveexec_b32 s29, s12
	s_cbranch_execz .LBB6_9052
.LBB6_9051:                             ;   in Loop: Header=BB6_8809 Depth=2
	v_and_b32_e32 v2, 3, v51
	v_lshrrev_b16 v42, 2, v51
	v_ffbh_u32_e32 v3, v2
	v_and_b32_e32 v42, 31, v42
	v_min_u32_e32 v3, 32, v3
	v_cmp_eq_u32_e32 vcc_lo, 0, v42
	v_subrev_nc_u32_e32 v108, 29, v3
	v_sub_nc_u32_e32 v3, 30, v3
	v_lshlrev_b32_e32 v108, v108, v51
	v_lshlrev_b32_e32 v51, 24, v51
	v_cndmask_b32_e32 v3, v42, v3, vcc_lo
	v_and_b32_e32 v108, 3, v108
	v_and_b32_e32 v51, 0x80000000, v51
	v_lshl_add_u32 v3, v3, 23, 0x37800000
	v_cndmask_b32_e32 v2, v2, v108, vcc_lo
	v_lshlrev_b32_e32 v2, 21, v2
	v_or3_b32 v2, v51, v3, v2
.LBB6_9052:                             ;   in Loop: Header=BB6_8809 Depth=2
	s_or_b32 exec_lo, exec_lo, s29
	v_max_f32_e32 v2, v2, v2
	v_max_f32_e32 v3, v109, v109
	v_min_f32_e32 v109, v3, v2
.LBB6_9053:                             ;   in Loop: Header=BB6_8809 Depth=2
	v_and_b32_e32 v2, 0x7f800000, v109
	s_waitcnt vmcnt(25) lgkmcnt(25)
	v_mov_b32_e32 v51, 0x80
	s_mov_b32 s29, exec_lo
	v_cmpx_ne_u32_e32 0x7f800000, v2
	s_cbranch_execz .LBB6_9061
; %bb.9054:                             ;   in Loop: Header=BB6_8809 Depth=2
	v_mov_b32_e32 v51, 0
	s_mov_b32 s40, exec_lo
	v_cmpx_ne_u32_e32 0, v109
	s_cbranch_execz .LBB6_9060
; %bb.9055:                             ;   in Loop: Header=BB6_8809 Depth=2
	v_bfe_u32 v2, v109, 23, 8
	v_and_b32_e32 v3, 0x7fffff, v109
	v_sub_nc_u32_e32 v51, 0x70, v2
	v_cmp_gt_u32_e32 vcc_lo, 0x71, v2
	v_or_b32_e32 v42, 0x800000, v3
	v_cndmask_b32_e32 v51, 0, v51, vcc_lo
	v_cmp_eq_u32_e32 vcc_lo, 0, v2
	v_add_nc_u32_e32 v2, 0xffffff91, v2
	v_cndmask_b32_e64 v51, v51, 0x6f, vcc_lo
	v_cndmask_b32_e32 v3, v42, v3, vcc_lo
	v_cndmask_b32_e64 v2, v2, 0xffffff92, vcc_lo
	v_lshl_add_u32 v42, 0x200000, v51, -1
	v_lshrrev_b32_e32 v108, v51, v3
	v_lshlrev_b32_e64 v111, v51, 0x100000
	v_and_b32_e32 v3, v42, v3
	v_bfe_u32 v110, v108, 21, 1
	v_cmp_eq_u32_e64 s12, v3, v111
	v_add_nc_u32_e32 v42, -1, v110
	v_lshrrev_b32_e32 v110, 23, v108
	v_cndmask_b32_e64 v3, 0, v42, s12
	s_mov_b32 s12, exec_lo
	v_add_nc_u32_e32 v42, v3, v108
	v_add_nc_u32_e32 v3, v51, v2
                                        ; implicit-def: $vgpr51
	v_and_b32_e32 v2, 0x1fffff, v42
	v_xor_b32_e32 v42, 1, v110
	v_add_nc_u32_e32 v2, v2, v108
	v_cmpx_ne_u32_e64 v3, v42
	s_xor_b32 s12, exec_lo, s12
; %bb.9056:                             ;   in Loop: Header=BB6_8809 Depth=2
	v_cmp_lt_u32_e32 vcc_lo, 0xffffff, v2
	v_sub_nc_u32_e32 v3, v3, v42
	v_cndmask_b32_e64 v42, 0, 1, vcc_lo
	v_add_co_ci_u32_e64 v51, null, 0, v3, vcc_lo
	v_lshrrev_b32_e32 v2, v42, v2
; %bb.9057:                             ;   in Loop: Header=BB6_8809 Depth=2
	s_andn2_saveexec_b32 s12, s12
; %bb.9058:                             ;   in Loop: Header=BB6_8809 Depth=2
	v_bfe_u32 v51, v2, 23, 1
; %bb.9059:                             ;   in Loop: Header=BB6_8809 Depth=2
	s_or_b32 exec_lo, exec_lo, s12
	v_lshrrev_b32_e32 v2, 21, v2
	v_cmp_gt_i32_e32 vcc_lo, 32, v51
	v_min_i32_e32 v3, 31, v51
	v_and_b32_sdwa v42, v109, v44 dst_sel:DWORD dst_unused:UNUSED_PAD src0_sel:BYTE_3 src1_sel:DWORD
	v_cndmask_b32_e32 v2, 3, v2, vcc_lo
	v_lshlrev_b32_e32 v3, 2, v3
	v_and_b32_e32 v108, 3, v2
	v_or_b32_e32 v2, v51, v2
	v_or3_b32 v3, v3, v42, v108
	v_cmp_ne_u32_e32 vcc_lo, 0, v2
	v_cndmask_b32_e32 v51, 0, v3, vcc_lo
.LBB6_9060:                             ;   in Loop: Header=BB6_8809 Depth=2
	s_or_b32 exec_lo, exec_lo, s40
.LBB6_9061:                             ;   in Loop: Header=BB6_8809 Depth=2
	s_or_b32 exec_lo, exec_lo, s29
	v_cmp_gt_i16_sdwa s29, v107, v43 src0_sel:BYTE_0 src1_sel:DWORD
	s_andn2_b32 vcc_lo, exec_lo, s27
	s_mov_b32 s12, -1
                                        ; implicit-def: $vgpr108
	s_cbranch_vccnz .LBB6_9075
; %bb.9062:                             ;   in Loop: Header=BB6_8809 Depth=2
	s_mov_b32 s12, 0
	s_and_saveexec_b32 s40, s29
	s_xor_b32 s29, exec_lo, s40
	s_cbranch_execz .LBB6_10015
; %bb.9063:                             ;   in Loop: Header=BB6_8809 Depth=2
	v_cmp_eq_u16_sdwa s41, v107, v44 src0_sel:BYTE_0 src1_sel:DWORD
	s_mov_b32 s12, -1
	s_and_saveexec_b32 s40, s41
; %bb.9064:                             ;   in Loop: Header=BB6_8809 Depth=2
	s_xor_b32 s12, exec_lo, -1
; %bb.9065:                             ;   in Loop: Header=BB6_8809 Depth=2
	s_or_b32 exec_lo, exec_lo, s40
	s_and_b32 s12, s12, exec_lo
	s_or_saveexec_b32 s29, s29
	v_mov_b32_e32 v108, 0x7f800001
	s_xor_b32 exec_lo, exec_lo, s29
	s_cbranch_execnz .LBB6_10016
.LBB6_9066:                             ;   in Loop: Header=BB6_8809 Depth=2
	s_or_b32 exec_lo, exec_lo, s29
	s_and_saveexec_b32 s29, s12
	s_cbranch_execz .LBB6_9068
.LBB6_9067:                             ;   in Loop: Header=BB6_8809 Depth=2
	v_and_b32_e32 v2, 3, v107
	v_lshrrev_b16 v42, 2, v107
	v_lshlrev_b32_e32 v109, 24, v107
	v_ffbh_u32_e32 v3, v2
	v_and_b32_e32 v42, 31, v42
	v_min_u32_e32 v3, 32, v3
	v_cmp_eq_u32_e32 vcc_lo, 0, v42
	v_subrev_nc_u32_e32 v108, 29, v3
	v_sub_nc_u32_e32 v3, 30, v3
	v_lshlrev_b32_e32 v108, v108, v107
	v_cndmask_b32_e32 v3, v42, v3, vcc_lo
	v_and_b32_e32 v42, 0x80000000, v109
	v_and_b32_e32 v108, 3, v108
	v_lshl_add_u32 v3, v3, 23, 0x37800000
	v_cndmask_b32_e32 v2, v2, v108, vcc_lo
	v_lshlrev_b32_e32 v2, 21, v2
	v_or3_b32 v108, v42, v3, v2
.LBB6_9068:                             ;   in Loop: Header=BB6_8809 Depth=2
	s_or_b32 exec_lo, exec_lo, s29
	s_waitcnt vmcnt(24) lgkmcnt(24)
	v_cmp_gt_i16_sdwa s29, v96, v43 src0_sel:BYTE_0 src1_sel:DWORD
	s_mov_b32 s12, 0
	s_and_saveexec_b32 s40, s29
	s_xor_b32 s29, exec_lo, s40
	s_cbranch_execz .LBB6_10017
; %bb.9069:                             ;   in Loop: Header=BB6_8809 Depth=2
	v_cmp_eq_u16_sdwa s41, v96, v44 src0_sel:BYTE_0 src1_sel:DWORD
	s_mov_b32 s12, -1
	s_and_saveexec_b32 s40, s41
; %bb.9070:                             ;   in Loop: Header=BB6_8809 Depth=2
	s_xor_b32 s12, exec_lo, -1
; %bb.9071:                             ;   in Loop: Header=BB6_8809 Depth=2
	s_or_b32 exec_lo, exec_lo, s40
	s_and_b32 s12, s12, exec_lo
	s_or_saveexec_b32 s29, s29
	v_mov_b32_e32 v2, 0x7f800001
	s_xor_b32 exec_lo, exec_lo, s29
	s_cbranch_execnz .LBB6_10018
.LBB6_9072:                             ;   in Loop: Header=BB6_8809 Depth=2
	s_or_b32 exec_lo, exec_lo, s29
	s_and_saveexec_b32 s29, s12
	s_cbranch_execz .LBB6_9074
.LBB6_9073:                             ;   in Loop: Header=BB6_8809 Depth=2
	v_and_b32_e32 v2, 3, v96
	v_lshrrev_b16 v42, 2, v96
	v_lshlrev_b32_e32 v110, 24, v96
	v_ffbh_u32_e32 v3, v2
	v_and_b32_e32 v42, 31, v42
	v_min_u32_e32 v3, 32, v3
	v_cmp_eq_u32_e32 vcc_lo, 0, v42
	v_subrev_nc_u32_e32 v109, 29, v3
	v_sub_nc_u32_e32 v3, 30, v3
	v_lshlrev_b32_e32 v109, v109, v96
	v_cndmask_b32_e32 v3, v42, v3, vcc_lo
	v_and_b32_e32 v42, 0x80000000, v110
	v_and_b32_e32 v109, 3, v109
	v_lshl_add_u32 v3, v3, 23, 0x37800000
	v_cndmask_b32_e32 v2, v2, v109, vcc_lo
	v_lshlrev_b32_e32 v2, 21, v2
	v_or3_b32 v2, v42, v3, v2
.LBB6_9074:                             ;   in Loop: Header=BB6_8809 Depth=2
	s_or_b32 exec_lo, exec_lo, s29
	v_max_f32_e32 v2, v2, v2
	v_max_f32_e32 v3, v108, v108
	s_mov_b32 s12, 0
	v_max_f32_e32 v108, v3, v2
.LBB6_9075:                             ;   in Loop: Header=BB6_8809 Depth=2
	s_and_b32 vcc_lo, exec_lo, s12
	s_cbranch_vccz .LBB6_9089
; %bb.9076:                             ;   in Loop: Header=BB6_8809 Depth=2
	v_cmp_gt_i16_sdwa s29, v107, v43 src0_sel:BYTE_0 src1_sel:DWORD
	s_mov_b32 s12, 0
	s_and_saveexec_b32 s40, s29
	s_xor_b32 s29, exec_lo, s40
	s_cbranch_execz .LBB6_10019
; %bb.9077:                             ;   in Loop: Header=BB6_8809 Depth=2
	v_cmp_eq_u16_sdwa s41, v107, v44 src0_sel:BYTE_0 src1_sel:DWORD
	s_mov_b32 s12, -1
	s_and_saveexec_b32 s40, s41
; %bb.9078:                             ;   in Loop: Header=BB6_8809 Depth=2
	s_xor_b32 s12, exec_lo, -1
; %bb.9079:                             ;   in Loop: Header=BB6_8809 Depth=2
	s_or_b32 exec_lo, exec_lo, s40
	s_and_b32 s12, s12, exec_lo
	s_or_saveexec_b32 s29, s29
	v_mov_b32_e32 v108, 0x7f800001
	s_xor_b32 exec_lo, exec_lo, s29
	s_cbranch_execnz .LBB6_10020
.LBB6_9080:                             ;   in Loop: Header=BB6_8809 Depth=2
	s_or_b32 exec_lo, exec_lo, s29
	s_and_saveexec_b32 s29, s12
	s_cbranch_execz .LBB6_9082
.LBB6_9081:                             ;   in Loop: Header=BB6_8809 Depth=2
	v_and_b32_e32 v2, 3, v107
	v_lshrrev_b16 v42, 2, v107
	v_ffbh_u32_e32 v3, v2
	v_and_b32_e32 v42, 31, v42
	v_min_u32_e32 v3, 32, v3
	v_cmp_eq_u32_e32 vcc_lo, 0, v42
	v_subrev_nc_u32_e32 v108, 29, v3
	v_sub_nc_u32_e32 v3, 30, v3
	v_lshlrev_b32_e32 v108, v108, v107
	v_lshlrev_b32_e32 v107, 24, v107
	v_cndmask_b32_e32 v3, v42, v3, vcc_lo
	v_and_b32_e32 v108, 3, v108
	v_and_b32_e32 v42, 0x80000000, v107
	v_lshl_add_u32 v3, v3, 23, 0x37800000
	v_cndmask_b32_e32 v2, v2, v108, vcc_lo
	v_lshlrev_b32_e32 v2, 21, v2
	v_or3_b32 v108, v42, v3, v2
.LBB6_9082:                             ;   in Loop: Header=BB6_8809 Depth=2
	s_or_b32 exec_lo, exec_lo, s29
	s_waitcnt vmcnt(24) lgkmcnt(24)
	v_cmp_gt_i16_sdwa s29, v96, v43 src0_sel:BYTE_0 src1_sel:DWORD
	s_mov_b32 s12, 0
	s_and_saveexec_b32 s40, s29
	s_xor_b32 s29, exec_lo, s40
	s_cbranch_execz .LBB6_10021
; %bb.9083:                             ;   in Loop: Header=BB6_8809 Depth=2
	v_cmp_eq_u16_sdwa s41, v96, v44 src0_sel:BYTE_0 src1_sel:DWORD
	s_mov_b32 s12, -1
	s_and_saveexec_b32 s40, s41
; %bb.9084:                             ;   in Loop: Header=BB6_8809 Depth=2
	s_xor_b32 s12, exec_lo, -1
; %bb.9085:                             ;   in Loop: Header=BB6_8809 Depth=2
	s_or_b32 exec_lo, exec_lo, s40
	s_and_b32 s12, s12, exec_lo
	s_or_saveexec_b32 s29, s29
	v_mov_b32_e32 v2, 0x7f800001
	s_xor_b32 exec_lo, exec_lo, s29
	s_cbranch_execnz .LBB6_10022
.LBB6_9086:                             ;   in Loop: Header=BB6_8809 Depth=2
	s_or_b32 exec_lo, exec_lo, s29
	s_and_saveexec_b32 s29, s12
	s_cbranch_execz .LBB6_9088
.LBB6_9087:                             ;   in Loop: Header=BB6_8809 Depth=2
	v_and_b32_e32 v2, 3, v96
	v_lshrrev_b16 v42, 2, v96
	v_ffbh_u32_e32 v3, v2
	v_and_b32_e32 v42, 31, v42
	v_min_u32_e32 v3, 32, v3
	v_cmp_eq_u32_e32 vcc_lo, 0, v42
	v_subrev_nc_u32_e32 v107, 29, v3
	v_sub_nc_u32_e32 v3, 30, v3
	v_lshlrev_b32_e32 v107, v107, v96
	v_lshlrev_b32_e32 v96, 24, v96
	v_cndmask_b32_e32 v3, v42, v3, vcc_lo
	v_and_b32_e32 v107, 3, v107
	v_and_b32_e32 v96, 0x80000000, v96
	v_lshl_add_u32 v3, v3, 23, 0x37800000
	v_cndmask_b32_e32 v2, v2, v107, vcc_lo
	v_lshlrev_b32_e32 v2, 21, v2
	v_or3_b32 v2, v96, v3, v2
.LBB6_9088:                             ;   in Loop: Header=BB6_8809 Depth=2
	s_or_b32 exec_lo, exec_lo, s29
	v_max_f32_e32 v2, v2, v2
	v_max_f32_e32 v3, v108, v108
	v_min_f32_e32 v108, v3, v2
.LBB6_9089:                             ;   in Loop: Header=BB6_8809 Depth=2
	v_and_b32_e32 v2, 0x7f800000, v108
	s_waitcnt vmcnt(24) lgkmcnt(24)
	v_mov_b32_e32 v96, 0x80
	s_mov_b32 s29, exec_lo
	v_cmpx_ne_u32_e32 0x7f800000, v2
	s_cbranch_execz .LBB6_9097
; %bb.9090:                             ;   in Loop: Header=BB6_8809 Depth=2
	v_mov_b32_e32 v96, 0
	s_mov_b32 s40, exec_lo
	v_cmpx_ne_u32_e32 0, v108
	s_cbranch_execz .LBB6_9096
; %bb.9091:                             ;   in Loop: Header=BB6_8809 Depth=2
	v_bfe_u32 v2, v108, 23, 8
	v_and_b32_e32 v3, 0x7fffff, v108
	v_sub_nc_u32_e32 v96, 0x70, v2
	v_cmp_gt_u32_e32 vcc_lo, 0x71, v2
	v_or_b32_e32 v42, 0x800000, v3
	v_cndmask_b32_e32 v96, 0, v96, vcc_lo
	v_cmp_eq_u32_e32 vcc_lo, 0, v2
	v_add_nc_u32_e32 v2, 0xffffff91, v2
	v_cndmask_b32_e64 v96, v96, 0x6f, vcc_lo
	v_cndmask_b32_e32 v3, v42, v3, vcc_lo
	v_cndmask_b32_e64 v2, v2, 0xffffff92, vcc_lo
	v_lshl_add_u32 v42, 0x200000, v96, -1
	v_lshrrev_b32_e32 v107, v96, v3
	v_lshlrev_b32_e64 v110, v96, 0x100000
	v_and_b32_e32 v3, v42, v3
	v_bfe_u32 v109, v107, 21, 1
	v_cmp_eq_u32_e64 s12, v3, v110
	v_add_nc_u32_e32 v42, -1, v109
	v_lshrrev_b32_e32 v109, 23, v107
	v_cndmask_b32_e64 v3, 0, v42, s12
	s_mov_b32 s12, exec_lo
	v_add_nc_u32_e32 v42, v3, v107
	v_add_nc_u32_e32 v3, v96, v2
                                        ; implicit-def: $vgpr96
	v_and_b32_e32 v2, 0x1fffff, v42
	v_xor_b32_e32 v42, 1, v109
	v_add_nc_u32_e32 v2, v2, v107
	v_cmpx_ne_u32_e64 v3, v42
	s_xor_b32 s12, exec_lo, s12
; %bb.9092:                             ;   in Loop: Header=BB6_8809 Depth=2
	v_cmp_lt_u32_e32 vcc_lo, 0xffffff, v2
	v_sub_nc_u32_e32 v3, v3, v42
	v_cndmask_b32_e64 v42, 0, 1, vcc_lo
	v_add_co_ci_u32_e64 v96, null, 0, v3, vcc_lo
	v_lshrrev_b32_e32 v2, v42, v2
; %bb.9093:                             ;   in Loop: Header=BB6_8809 Depth=2
	s_andn2_saveexec_b32 s12, s12
; %bb.9094:                             ;   in Loop: Header=BB6_8809 Depth=2
	v_bfe_u32 v96, v2, 23, 1
; %bb.9095:                             ;   in Loop: Header=BB6_8809 Depth=2
	s_or_b32 exec_lo, exec_lo, s12
	v_lshrrev_b32_e32 v2, 21, v2
	v_cmp_gt_i32_e32 vcc_lo, 32, v96
	v_min_i32_e32 v3, 31, v96
	v_and_b32_sdwa v42, v108, v44 dst_sel:DWORD dst_unused:UNUSED_PAD src0_sel:BYTE_3 src1_sel:DWORD
	v_cndmask_b32_e32 v2, 3, v2, vcc_lo
	v_lshlrev_b32_e32 v3, 2, v3
	v_and_b32_e32 v107, 3, v2
	v_or_b32_e32 v2, v96, v2
	v_or3_b32 v3, v3, v42, v107
	v_cmp_ne_u32_e32 vcc_lo, 0, v2
	v_cndmask_b32_e32 v96, 0, v3, vcc_lo
.LBB6_9096:                             ;   in Loop: Header=BB6_8809 Depth=2
	s_or_b32 exec_lo, exec_lo, s40
.LBB6_9097:                             ;   in Loop: Header=BB6_8809 Depth=2
	s_or_b32 exec_lo, exec_lo, s29
	v_cmp_gt_i16_sdwa s29, v106, v43 src0_sel:BYTE_0 src1_sel:DWORD
	s_andn2_b32 vcc_lo, exec_lo, s27
	s_mov_b32 s12, -1
                                        ; implicit-def: $vgpr107
	s_cbranch_vccnz .LBB6_9111
; %bb.9098:                             ;   in Loop: Header=BB6_8809 Depth=2
	s_mov_b32 s12, 0
	s_and_saveexec_b32 s40, s29
	s_xor_b32 s29, exec_lo, s40
	s_cbranch_execz .LBB6_10023
; %bb.9099:                             ;   in Loop: Header=BB6_8809 Depth=2
	v_cmp_eq_u16_sdwa s41, v106, v44 src0_sel:BYTE_0 src1_sel:DWORD
	s_mov_b32 s12, -1
	s_and_saveexec_b32 s40, s41
; %bb.9100:                             ;   in Loop: Header=BB6_8809 Depth=2
	s_xor_b32 s12, exec_lo, -1
; %bb.9101:                             ;   in Loop: Header=BB6_8809 Depth=2
	s_or_b32 exec_lo, exec_lo, s40
	s_and_b32 s12, s12, exec_lo
	s_or_saveexec_b32 s29, s29
	v_mov_b32_e32 v107, 0x7f800001
	s_xor_b32 exec_lo, exec_lo, s29
	s_cbranch_execnz .LBB6_10024
.LBB6_9102:                             ;   in Loop: Header=BB6_8809 Depth=2
	s_or_b32 exec_lo, exec_lo, s29
	s_and_saveexec_b32 s29, s12
	s_cbranch_execz .LBB6_9104
.LBB6_9103:                             ;   in Loop: Header=BB6_8809 Depth=2
	v_and_b32_e32 v2, 3, v106
	v_lshrrev_b16 v42, 2, v106
	v_lshlrev_b32_e32 v108, 24, v106
	v_ffbh_u32_e32 v3, v2
	v_and_b32_e32 v42, 31, v42
	v_min_u32_e32 v3, 32, v3
	v_cmp_eq_u32_e32 vcc_lo, 0, v42
	v_subrev_nc_u32_e32 v107, 29, v3
	v_sub_nc_u32_e32 v3, 30, v3
	v_lshlrev_b32_e32 v107, v107, v106
	v_cndmask_b32_e32 v3, v42, v3, vcc_lo
	v_and_b32_e32 v42, 0x80000000, v108
	v_and_b32_e32 v107, 3, v107
	v_lshl_add_u32 v3, v3, 23, 0x37800000
	v_cndmask_b32_e32 v2, v2, v107, vcc_lo
	v_lshlrev_b32_e32 v2, 21, v2
	v_or3_b32 v107, v42, v3, v2
.LBB6_9104:                             ;   in Loop: Header=BB6_8809 Depth=2
	s_or_b32 exec_lo, exec_lo, s29
	s_waitcnt vmcnt(23) lgkmcnt(23)
	v_cmp_gt_i16_sdwa s29, v99, v43 src0_sel:BYTE_0 src1_sel:DWORD
	s_mov_b32 s12, 0
	s_and_saveexec_b32 s40, s29
	s_xor_b32 s29, exec_lo, s40
	s_cbranch_execz .LBB6_10025
; %bb.9105:                             ;   in Loop: Header=BB6_8809 Depth=2
	v_cmp_eq_u16_sdwa s41, v99, v44 src0_sel:BYTE_0 src1_sel:DWORD
	s_mov_b32 s12, -1
	s_and_saveexec_b32 s40, s41
; %bb.9106:                             ;   in Loop: Header=BB6_8809 Depth=2
	s_xor_b32 s12, exec_lo, -1
; %bb.9107:                             ;   in Loop: Header=BB6_8809 Depth=2
	s_or_b32 exec_lo, exec_lo, s40
	s_and_b32 s12, s12, exec_lo
	s_or_saveexec_b32 s29, s29
	v_mov_b32_e32 v2, 0x7f800001
	s_xor_b32 exec_lo, exec_lo, s29
	s_cbranch_execnz .LBB6_10026
.LBB6_9108:                             ;   in Loop: Header=BB6_8809 Depth=2
	s_or_b32 exec_lo, exec_lo, s29
	s_and_saveexec_b32 s29, s12
	s_cbranch_execz .LBB6_9110
.LBB6_9109:                             ;   in Loop: Header=BB6_8809 Depth=2
	v_and_b32_e32 v2, 3, v99
	v_lshrrev_b16 v42, 2, v99
	v_lshlrev_b32_e32 v109, 24, v99
	v_ffbh_u32_e32 v3, v2
	v_and_b32_e32 v42, 31, v42
	v_min_u32_e32 v3, 32, v3
	v_cmp_eq_u32_e32 vcc_lo, 0, v42
	v_subrev_nc_u32_e32 v108, 29, v3
	v_sub_nc_u32_e32 v3, 30, v3
	v_lshlrev_b32_e32 v108, v108, v99
	v_cndmask_b32_e32 v3, v42, v3, vcc_lo
	v_and_b32_e32 v42, 0x80000000, v109
	v_and_b32_e32 v108, 3, v108
	v_lshl_add_u32 v3, v3, 23, 0x37800000
	v_cndmask_b32_e32 v2, v2, v108, vcc_lo
	v_lshlrev_b32_e32 v2, 21, v2
	v_or3_b32 v2, v42, v3, v2
.LBB6_9110:                             ;   in Loop: Header=BB6_8809 Depth=2
	s_or_b32 exec_lo, exec_lo, s29
	v_max_f32_e32 v2, v2, v2
	v_max_f32_e32 v3, v107, v107
	s_mov_b32 s12, 0
	v_max_f32_e32 v107, v3, v2
.LBB6_9111:                             ;   in Loop: Header=BB6_8809 Depth=2
	s_and_b32 vcc_lo, exec_lo, s12
	s_cbranch_vccz .LBB6_9125
; %bb.9112:                             ;   in Loop: Header=BB6_8809 Depth=2
	v_cmp_gt_i16_sdwa s29, v106, v43 src0_sel:BYTE_0 src1_sel:DWORD
	s_mov_b32 s12, 0
	s_and_saveexec_b32 s40, s29
	s_xor_b32 s29, exec_lo, s40
	s_cbranch_execz .LBB6_10027
; %bb.9113:                             ;   in Loop: Header=BB6_8809 Depth=2
	v_cmp_eq_u16_sdwa s41, v106, v44 src0_sel:BYTE_0 src1_sel:DWORD
	s_mov_b32 s12, -1
	s_and_saveexec_b32 s40, s41
; %bb.9114:                             ;   in Loop: Header=BB6_8809 Depth=2
	s_xor_b32 s12, exec_lo, -1
; %bb.9115:                             ;   in Loop: Header=BB6_8809 Depth=2
	s_or_b32 exec_lo, exec_lo, s40
	s_and_b32 s12, s12, exec_lo
	s_or_saveexec_b32 s29, s29
	v_mov_b32_e32 v107, 0x7f800001
	s_xor_b32 exec_lo, exec_lo, s29
	s_cbranch_execnz .LBB6_10028
.LBB6_9116:                             ;   in Loop: Header=BB6_8809 Depth=2
	s_or_b32 exec_lo, exec_lo, s29
	s_and_saveexec_b32 s29, s12
	s_cbranch_execz .LBB6_9118
.LBB6_9117:                             ;   in Loop: Header=BB6_8809 Depth=2
	v_and_b32_e32 v2, 3, v106
	v_lshrrev_b16 v42, 2, v106
	v_ffbh_u32_e32 v3, v2
	v_and_b32_e32 v42, 31, v42
	v_min_u32_e32 v3, 32, v3
	v_cmp_eq_u32_e32 vcc_lo, 0, v42
	v_subrev_nc_u32_e32 v107, 29, v3
	v_sub_nc_u32_e32 v3, 30, v3
	v_lshlrev_b32_e32 v107, v107, v106
	v_lshlrev_b32_e32 v106, 24, v106
	v_cndmask_b32_e32 v3, v42, v3, vcc_lo
	v_and_b32_e32 v107, 3, v107
	v_and_b32_e32 v42, 0x80000000, v106
	v_lshl_add_u32 v3, v3, 23, 0x37800000
	v_cndmask_b32_e32 v2, v2, v107, vcc_lo
	v_lshlrev_b32_e32 v2, 21, v2
	v_or3_b32 v107, v42, v3, v2
.LBB6_9118:                             ;   in Loop: Header=BB6_8809 Depth=2
	s_or_b32 exec_lo, exec_lo, s29
	s_waitcnt vmcnt(23) lgkmcnt(23)
	v_cmp_gt_i16_sdwa s29, v99, v43 src0_sel:BYTE_0 src1_sel:DWORD
	s_mov_b32 s12, 0
	s_and_saveexec_b32 s40, s29
	s_xor_b32 s29, exec_lo, s40
	s_cbranch_execz .LBB6_10029
; %bb.9119:                             ;   in Loop: Header=BB6_8809 Depth=2
	v_cmp_eq_u16_sdwa s41, v99, v44 src0_sel:BYTE_0 src1_sel:DWORD
	s_mov_b32 s12, -1
	s_and_saveexec_b32 s40, s41
; %bb.9120:                             ;   in Loop: Header=BB6_8809 Depth=2
	s_xor_b32 s12, exec_lo, -1
; %bb.9121:                             ;   in Loop: Header=BB6_8809 Depth=2
	s_or_b32 exec_lo, exec_lo, s40
	s_and_b32 s12, s12, exec_lo
	s_or_saveexec_b32 s29, s29
	v_mov_b32_e32 v2, 0x7f800001
	s_xor_b32 exec_lo, exec_lo, s29
	s_cbranch_execnz .LBB6_10030
.LBB6_9122:                             ;   in Loop: Header=BB6_8809 Depth=2
	s_or_b32 exec_lo, exec_lo, s29
	s_and_saveexec_b32 s29, s12
	s_cbranch_execz .LBB6_9124
.LBB6_9123:                             ;   in Loop: Header=BB6_8809 Depth=2
	v_and_b32_e32 v2, 3, v99
	v_lshrrev_b16 v42, 2, v99
	v_ffbh_u32_e32 v3, v2
	v_and_b32_e32 v42, 31, v42
	v_min_u32_e32 v3, 32, v3
	v_cmp_eq_u32_e32 vcc_lo, 0, v42
	v_subrev_nc_u32_e32 v106, 29, v3
	v_sub_nc_u32_e32 v3, 30, v3
	v_lshlrev_b32_e32 v106, v106, v99
	v_lshlrev_b32_e32 v99, 24, v99
	v_cndmask_b32_e32 v3, v42, v3, vcc_lo
	v_and_b32_e32 v106, 3, v106
	v_and_b32_e32 v99, 0x80000000, v99
	v_lshl_add_u32 v3, v3, 23, 0x37800000
	v_cndmask_b32_e32 v2, v2, v106, vcc_lo
	v_lshlrev_b32_e32 v2, 21, v2
	v_or3_b32 v2, v99, v3, v2
.LBB6_9124:                             ;   in Loop: Header=BB6_8809 Depth=2
	s_or_b32 exec_lo, exec_lo, s29
	v_max_f32_e32 v2, v2, v2
	v_max_f32_e32 v3, v107, v107
	v_min_f32_e32 v107, v3, v2
.LBB6_9125:                             ;   in Loop: Header=BB6_8809 Depth=2
	v_and_b32_e32 v2, 0x7f800000, v107
	s_waitcnt vmcnt(23) lgkmcnt(23)
	v_mov_b32_e32 v99, 0x80
	s_mov_b32 s29, exec_lo
	v_cmpx_ne_u32_e32 0x7f800000, v2
	s_cbranch_execz .LBB6_9133
; %bb.9126:                             ;   in Loop: Header=BB6_8809 Depth=2
	v_mov_b32_e32 v99, 0
	s_mov_b32 s40, exec_lo
	v_cmpx_ne_u32_e32 0, v107
	s_cbranch_execz .LBB6_9132
; %bb.9127:                             ;   in Loop: Header=BB6_8809 Depth=2
	v_bfe_u32 v2, v107, 23, 8
	v_and_b32_e32 v3, 0x7fffff, v107
	v_sub_nc_u32_e32 v99, 0x70, v2
	v_cmp_gt_u32_e32 vcc_lo, 0x71, v2
	v_or_b32_e32 v42, 0x800000, v3
	v_cndmask_b32_e32 v99, 0, v99, vcc_lo
	v_cmp_eq_u32_e32 vcc_lo, 0, v2
	v_add_nc_u32_e32 v2, 0xffffff91, v2
	v_cndmask_b32_e64 v99, v99, 0x6f, vcc_lo
	v_cndmask_b32_e32 v3, v42, v3, vcc_lo
	v_cndmask_b32_e64 v2, v2, 0xffffff92, vcc_lo
	v_lshl_add_u32 v42, 0x200000, v99, -1
	v_lshrrev_b32_e32 v106, v99, v3
	v_lshlrev_b32_e64 v109, v99, 0x100000
	v_and_b32_e32 v3, v42, v3
	v_bfe_u32 v108, v106, 21, 1
	v_cmp_eq_u32_e64 s12, v3, v109
	v_add_nc_u32_e32 v42, -1, v108
	v_lshrrev_b32_e32 v108, 23, v106
	v_cndmask_b32_e64 v3, 0, v42, s12
	s_mov_b32 s12, exec_lo
	v_add_nc_u32_e32 v42, v3, v106
	v_add_nc_u32_e32 v3, v99, v2
                                        ; implicit-def: $vgpr99
	v_and_b32_e32 v2, 0x1fffff, v42
	v_xor_b32_e32 v42, 1, v108
	v_add_nc_u32_e32 v2, v2, v106
	v_cmpx_ne_u32_e64 v3, v42
	s_xor_b32 s12, exec_lo, s12
; %bb.9128:                             ;   in Loop: Header=BB6_8809 Depth=2
	v_cmp_lt_u32_e32 vcc_lo, 0xffffff, v2
	v_sub_nc_u32_e32 v3, v3, v42
	v_cndmask_b32_e64 v42, 0, 1, vcc_lo
	v_add_co_ci_u32_e64 v99, null, 0, v3, vcc_lo
	v_lshrrev_b32_e32 v2, v42, v2
; %bb.9129:                             ;   in Loop: Header=BB6_8809 Depth=2
	s_andn2_saveexec_b32 s12, s12
; %bb.9130:                             ;   in Loop: Header=BB6_8809 Depth=2
	v_bfe_u32 v99, v2, 23, 1
; %bb.9131:                             ;   in Loop: Header=BB6_8809 Depth=2
	s_or_b32 exec_lo, exec_lo, s12
	v_lshrrev_b32_e32 v2, 21, v2
	v_cmp_gt_i32_e32 vcc_lo, 32, v99
	v_min_i32_e32 v3, 31, v99
	v_and_b32_sdwa v42, v107, v44 dst_sel:DWORD dst_unused:UNUSED_PAD src0_sel:BYTE_3 src1_sel:DWORD
	v_cndmask_b32_e32 v2, 3, v2, vcc_lo
	v_lshlrev_b32_e32 v3, 2, v3
	v_and_b32_e32 v106, 3, v2
	v_or_b32_e32 v2, v99, v2
	v_or3_b32 v3, v3, v42, v106
	v_cmp_ne_u32_e32 vcc_lo, 0, v2
	v_cndmask_b32_e32 v99, 0, v3, vcc_lo
.LBB6_9132:                             ;   in Loop: Header=BB6_8809 Depth=2
	s_or_b32 exec_lo, exec_lo, s40
.LBB6_9133:                             ;   in Loop: Header=BB6_8809 Depth=2
	s_or_b32 exec_lo, exec_lo, s29
	v_cmp_gt_i16_sdwa s29, v105, v43 src0_sel:BYTE_0 src1_sel:DWORD
	s_andn2_b32 vcc_lo, exec_lo, s27
	s_mov_b32 s12, -1
                                        ; implicit-def: $vgpr106
	s_cbranch_vccnz .LBB6_9147
; %bb.9134:                             ;   in Loop: Header=BB6_8809 Depth=2
	s_mov_b32 s12, 0
	s_and_saveexec_b32 s40, s29
	s_xor_b32 s29, exec_lo, s40
	s_cbranch_execz .LBB6_10031
; %bb.9135:                             ;   in Loop: Header=BB6_8809 Depth=2
	v_cmp_eq_u16_sdwa s41, v105, v44 src0_sel:BYTE_0 src1_sel:DWORD
	s_mov_b32 s12, -1
	s_and_saveexec_b32 s40, s41
; %bb.9136:                             ;   in Loop: Header=BB6_8809 Depth=2
	s_xor_b32 s12, exec_lo, -1
; %bb.9137:                             ;   in Loop: Header=BB6_8809 Depth=2
	s_or_b32 exec_lo, exec_lo, s40
	s_and_b32 s12, s12, exec_lo
	s_or_saveexec_b32 s29, s29
	v_mov_b32_e32 v106, 0x7f800001
	s_xor_b32 exec_lo, exec_lo, s29
	s_cbranch_execnz .LBB6_10032
.LBB6_9138:                             ;   in Loop: Header=BB6_8809 Depth=2
	s_or_b32 exec_lo, exec_lo, s29
	s_and_saveexec_b32 s29, s12
	s_cbranch_execz .LBB6_9140
.LBB6_9139:                             ;   in Loop: Header=BB6_8809 Depth=2
	v_and_b32_e32 v2, 3, v105
	v_lshrrev_b16 v42, 2, v105
	v_lshlrev_b32_e32 v107, 24, v105
	v_ffbh_u32_e32 v3, v2
	v_and_b32_e32 v42, 31, v42
	v_min_u32_e32 v3, 32, v3
	v_cmp_eq_u32_e32 vcc_lo, 0, v42
	v_subrev_nc_u32_e32 v106, 29, v3
	v_sub_nc_u32_e32 v3, 30, v3
	v_lshlrev_b32_e32 v106, v106, v105
	v_cndmask_b32_e32 v3, v42, v3, vcc_lo
	v_and_b32_e32 v42, 0x80000000, v107
	v_and_b32_e32 v106, 3, v106
	v_lshl_add_u32 v3, v3, 23, 0x37800000
	v_cndmask_b32_e32 v2, v2, v106, vcc_lo
	v_lshlrev_b32_e32 v2, 21, v2
	v_or3_b32 v106, v42, v3, v2
.LBB6_9140:                             ;   in Loop: Header=BB6_8809 Depth=2
	s_or_b32 exec_lo, exec_lo, s29
	s_waitcnt vmcnt(22) lgkmcnt(22)
	v_cmp_gt_i16_sdwa s29, v102, v43 src0_sel:BYTE_0 src1_sel:DWORD
	s_mov_b32 s12, 0
	s_and_saveexec_b32 s40, s29
	s_xor_b32 s29, exec_lo, s40
	s_cbranch_execz .LBB6_10033
; %bb.9141:                             ;   in Loop: Header=BB6_8809 Depth=2
	v_cmp_eq_u16_sdwa s41, v102, v44 src0_sel:BYTE_0 src1_sel:DWORD
	s_mov_b32 s12, -1
	s_and_saveexec_b32 s40, s41
; %bb.9142:                             ;   in Loop: Header=BB6_8809 Depth=2
	s_xor_b32 s12, exec_lo, -1
; %bb.9143:                             ;   in Loop: Header=BB6_8809 Depth=2
	s_or_b32 exec_lo, exec_lo, s40
	s_and_b32 s12, s12, exec_lo
	s_or_saveexec_b32 s29, s29
	v_mov_b32_e32 v2, 0x7f800001
	s_xor_b32 exec_lo, exec_lo, s29
	s_cbranch_execnz .LBB6_10034
.LBB6_9144:                             ;   in Loop: Header=BB6_8809 Depth=2
	s_or_b32 exec_lo, exec_lo, s29
	s_and_saveexec_b32 s29, s12
	s_cbranch_execz .LBB6_9146
.LBB6_9145:                             ;   in Loop: Header=BB6_8809 Depth=2
	v_and_b32_e32 v2, 3, v102
	v_lshrrev_b16 v42, 2, v102
	v_lshlrev_b32_e32 v108, 24, v102
	v_ffbh_u32_e32 v3, v2
	v_and_b32_e32 v42, 31, v42
	v_min_u32_e32 v3, 32, v3
	v_cmp_eq_u32_e32 vcc_lo, 0, v42
	v_subrev_nc_u32_e32 v107, 29, v3
	v_sub_nc_u32_e32 v3, 30, v3
	v_lshlrev_b32_e32 v107, v107, v102
	v_cndmask_b32_e32 v3, v42, v3, vcc_lo
	v_and_b32_e32 v42, 0x80000000, v108
	v_and_b32_e32 v107, 3, v107
	v_lshl_add_u32 v3, v3, 23, 0x37800000
	v_cndmask_b32_e32 v2, v2, v107, vcc_lo
	v_lshlrev_b32_e32 v2, 21, v2
	v_or3_b32 v2, v42, v3, v2
.LBB6_9146:                             ;   in Loop: Header=BB6_8809 Depth=2
	s_or_b32 exec_lo, exec_lo, s29
	v_max_f32_e32 v2, v2, v2
	v_max_f32_e32 v3, v106, v106
	s_mov_b32 s12, 0
	v_max_f32_e32 v106, v3, v2
.LBB6_9147:                             ;   in Loop: Header=BB6_8809 Depth=2
	s_and_b32 vcc_lo, exec_lo, s12
	s_cbranch_vccz .LBB6_9161
; %bb.9148:                             ;   in Loop: Header=BB6_8809 Depth=2
	v_cmp_gt_i16_sdwa s29, v105, v43 src0_sel:BYTE_0 src1_sel:DWORD
	s_mov_b32 s12, 0
	s_and_saveexec_b32 s40, s29
	s_xor_b32 s29, exec_lo, s40
	s_cbranch_execz .LBB6_10035
; %bb.9149:                             ;   in Loop: Header=BB6_8809 Depth=2
	v_cmp_eq_u16_sdwa s41, v105, v44 src0_sel:BYTE_0 src1_sel:DWORD
	s_mov_b32 s12, -1
	s_and_saveexec_b32 s40, s41
; %bb.9150:                             ;   in Loop: Header=BB6_8809 Depth=2
	s_xor_b32 s12, exec_lo, -1
; %bb.9151:                             ;   in Loop: Header=BB6_8809 Depth=2
	s_or_b32 exec_lo, exec_lo, s40
	s_and_b32 s12, s12, exec_lo
	s_or_saveexec_b32 s29, s29
	v_mov_b32_e32 v106, 0x7f800001
	s_xor_b32 exec_lo, exec_lo, s29
	s_cbranch_execnz .LBB6_10036
.LBB6_9152:                             ;   in Loop: Header=BB6_8809 Depth=2
	s_or_b32 exec_lo, exec_lo, s29
	s_and_saveexec_b32 s29, s12
	s_cbranch_execz .LBB6_9154
.LBB6_9153:                             ;   in Loop: Header=BB6_8809 Depth=2
	v_and_b32_e32 v2, 3, v105
	v_lshrrev_b16 v42, 2, v105
	v_ffbh_u32_e32 v3, v2
	v_and_b32_e32 v42, 31, v42
	v_min_u32_e32 v3, 32, v3
	v_cmp_eq_u32_e32 vcc_lo, 0, v42
	v_subrev_nc_u32_e32 v106, 29, v3
	v_sub_nc_u32_e32 v3, 30, v3
	v_lshlrev_b32_e32 v106, v106, v105
	v_lshlrev_b32_e32 v105, 24, v105
	v_cndmask_b32_e32 v3, v42, v3, vcc_lo
	v_and_b32_e32 v106, 3, v106
	v_and_b32_e32 v42, 0x80000000, v105
	v_lshl_add_u32 v3, v3, 23, 0x37800000
	v_cndmask_b32_e32 v2, v2, v106, vcc_lo
	v_lshlrev_b32_e32 v2, 21, v2
	v_or3_b32 v106, v42, v3, v2
.LBB6_9154:                             ;   in Loop: Header=BB6_8809 Depth=2
	s_or_b32 exec_lo, exec_lo, s29
	s_waitcnt vmcnt(22) lgkmcnt(22)
	v_cmp_gt_i16_sdwa s29, v102, v43 src0_sel:BYTE_0 src1_sel:DWORD
	s_mov_b32 s12, 0
	s_and_saveexec_b32 s40, s29
	s_xor_b32 s29, exec_lo, s40
	s_cbranch_execz .LBB6_10037
; %bb.9155:                             ;   in Loop: Header=BB6_8809 Depth=2
	v_cmp_eq_u16_sdwa s41, v102, v44 src0_sel:BYTE_0 src1_sel:DWORD
	s_mov_b32 s12, -1
	s_and_saveexec_b32 s40, s41
; %bb.9156:                             ;   in Loop: Header=BB6_8809 Depth=2
	s_xor_b32 s12, exec_lo, -1
; %bb.9157:                             ;   in Loop: Header=BB6_8809 Depth=2
	s_or_b32 exec_lo, exec_lo, s40
	s_and_b32 s12, s12, exec_lo
	s_or_saveexec_b32 s29, s29
	v_mov_b32_e32 v2, 0x7f800001
	s_xor_b32 exec_lo, exec_lo, s29
	s_cbranch_execnz .LBB6_10038
.LBB6_9158:                             ;   in Loop: Header=BB6_8809 Depth=2
	s_or_b32 exec_lo, exec_lo, s29
	s_and_saveexec_b32 s29, s12
	s_cbranch_execz .LBB6_9160
.LBB6_9159:                             ;   in Loop: Header=BB6_8809 Depth=2
	v_and_b32_e32 v2, 3, v102
	v_lshrrev_b16 v42, 2, v102
	v_ffbh_u32_e32 v3, v2
	v_and_b32_e32 v42, 31, v42
	v_min_u32_e32 v3, 32, v3
	v_cmp_eq_u32_e32 vcc_lo, 0, v42
	v_subrev_nc_u32_e32 v105, 29, v3
	v_sub_nc_u32_e32 v3, 30, v3
	v_lshlrev_b32_e32 v105, v105, v102
	v_lshlrev_b32_e32 v102, 24, v102
	v_cndmask_b32_e32 v3, v42, v3, vcc_lo
	v_and_b32_e32 v105, 3, v105
	v_and_b32_e32 v102, 0x80000000, v102
	v_lshl_add_u32 v3, v3, 23, 0x37800000
	v_cndmask_b32_e32 v2, v2, v105, vcc_lo
	v_lshlrev_b32_e32 v2, 21, v2
	v_or3_b32 v2, v102, v3, v2
.LBB6_9160:                             ;   in Loop: Header=BB6_8809 Depth=2
	s_or_b32 exec_lo, exec_lo, s29
	v_max_f32_e32 v2, v2, v2
	v_max_f32_e32 v3, v106, v106
	v_min_f32_e32 v106, v3, v2
.LBB6_9161:                             ;   in Loop: Header=BB6_8809 Depth=2
	v_and_b32_e32 v2, 0x7f800000, v106
	s_waitcnt vmcnt(22) lgkmcnt(22)
	v_mov_b32_e32 v102, 0x80
	s_mov_b32 s29, exec_lo
	v_cmpx_ne_u32_e32 0x7f800000, v2
	s_cbranch_execz .LBB6_9169
; %bb.9162:                             ;   in Loop: Header=BB6_8809 Depth=2
	v_mov_b32_e32 v102, 0
	s_mov_b32 s40, exec_lo
	v_cmpx_ne_u32_e32 0, v106
	s_cbranch_execz .LBB6_9168
; %bb.9163:                             ;   in Loop: Header=BB6_8809 Depth=2
	v_bfe_u32 v2, v106, 23, 8
	v_and_b32_e32 v3, 0x7fffff, v106
	v_sub_nc_u32_e32 v102, 0x70, v2
	v_cmp_gt_u32_e32 vcc_lo, 0x71, v2
	v_or_b32_e32 v42, 0x800000, v3
	v_cndmask_b32_e32 v102, 0, v102, vcc_lo
	v_cmp_eq_u32_e32 vcc_lo, 0, v2
	v_add_nc_u32_e32 v2, 0xffffff91, v2
	v_cndmask_b32_e64 v102, v102, 0x6f, vcc_lo
	v_cndmask_b32_e32 v3, v42, v3, vcc_lo
	v_cndmask_b32_e64 v2, v2, 0xffffff92, vcc_lo
	v_lshl_add_u32 v42, 0x200000, v102, -1
	v_lshrrev_b32_e32 v105, v102, v3
	v_lshlrev_b32_e64 v108, v102, 0x100000
	v_and_b32_e32 v3, v42, v3
	v_bfe_u32 v107, v105, 21, 1
	v_cmp_eq_u32_e64 s12, v3, v108
	v_add_nc_u32_e32 v42, -1, v107
	v_lshrrev_b32_e32 v107, 23, v105
	v_cndmask_b32_e64 v3, 0, v42, s12
	s_mov_b32 s12, exec_lo
	v_add_nc_u32_e32 v42, v3, v105
	v_add_nc_u32_e32 v3, v102, v2
                                        ; implicit-def: $vgpr102
	v_and_b32_e32 v2, 0x1fffff, v42
	v_xor_b32_e32 v42, 1, v107
	v_add_nc_u32_e32 v2, v2, v105
	v_cmpx_ne_u32_e64 v3, v42
	s_xor_b32 s12, exec_lo, s12
; %bb.9164:                             ;   in Loop: Header=BB6_8809 Depth=2
	v_cmp_lt_u32_e32 vcc_lo, 0xffffff, v2
	v_sub_nc_u32_e32 v3, v3, v42
	v_cndmask_b32_e64 v42, 0, 1, vcc_lo
	v_add_co_ci_u32_e64 v102, null, 0, v3, vcc_lo
	v_lshrrev_b32_e32 v2, v42, v2
; %bb.9165:                             ;   in Loop: Header=BB6_8809 Depth=2
	s_andn2_saveexec_b32 s12, s12
; %bb.9166:                             ;   in Loop: Header=BB6_8809 Depth=2
	v_bfe_u32 v102, v2, 23, 1
; %bb.9167:                             ;   in Loop: Header=BB6_8809 Depth=2
	s_or_b32 exec_lo, exec_lo, s12
	v_lshrrev_b32_e32 v2, 21, v2
	v_cmp_gt_i32_e32 vcc_lo, 32, v102
	v_min_i32_e32 v3, 31, v102
	v_and_b32_sdwa v42, v106, v44 dst_sel:DWORD dst_unused:UNUSED_PAD src0_sel:BYTE_3 src1_sel:DWORD
	v_cndmask_b32_e32 v2, 3, v2, vcc_lo
	v_lshlrev_b32_e32 v3, 2, v3
	v_and_b32_e32 v105, 3, v2
	v_or_b32_e32 v2, v102, v2
	v_or3_b32 v3, v3, v42, v105
	v_cmp_ne_u32_e32 vcc_lo, 0, v2
	v_cndmask_b32_e32 v102, 0, v3, vcc_lo
.LBB6_9168:                             ;   in Loop: Header=BB6_8809 Depth=2
	s_or_b32 exec_lo, exec_lo, s40
.LBB6_9169:                             ;   in Loop: Header=BB6_8809 Depth=2
	s_or_b32 exec_lo, exec_lo, s29
	v_cmp_gt_i16_sdwa s29, v104, v43 src0_sel:BYTE_0 src1_sel:DWORD
	s_andn2_b32 vcc_lo, exec_lo, s27
	s_mov_b32 s12, -1
                                        ; implicit-def: $vgpr105
	s_cbranch_vccnz .LBB6_9183
; %bb.9170:                             ;   in Loop: Header=BB6_8809 Depth=2
	s_mov_b32 s12, 0
	s_and_saveexec_b32 s40, s29
	s_xor_b32 s29, exec_lo, s40
	s_cbranch_execz .LBB6_10039
; %bb.9171:                             ;   in Loop: Header=BB6_8809 Depth=2
	v_cmp_eq_u16_sdwa s41, v104, v44 src0_sel:BYTE_0 src1_sel:DWORD
	s_mov_b32 s12, -1
	s_and_saveexec_b32 s40, s41
; %bb.9172:                             ;   in Loop: Header=BB6_8809 Depth=2
	s_xor_b32 s12, exec_lo, -1
; %bb.9173:                             ;   in Loop: Header=BB6_8809 Depth=2
	s_or_b32 exec_lo, exec_lo, s40
	s_and_b32 s12, s12, exec_lo
	s_or_saveexec_b32 s29, s29
	v_mov_b32_e32 v105, 0x7f800001
	s_xor_b32 exec_lo, exec_lo, s29
	s_cbranch_execnz .LBB6_10040
.LBB6_9174:                             ;   in Loop: Header=BB6_8809 Depth=2
	s_or_b32 exec_lo, exec_lo, s29
	s_and_saveexec_b32 s29, s12
	s_cbranch_execz .LBB6_9176
.LBB6_9175:                             ;   in Loop: Header=BB6_8809 Depth=2
	v_and_b32_e32 v2, 3, v104
	v_lshrrev_b16 v42, 2, v104
	v_lshlrev_b32_e32 v106, 24, v104
	v_ffbh_u32_e32 v3, v2
	v_and_b32_e32 v42, 31, v42
	v_min_u32_e32 v3, 32, v3
	v_cmp_eq_u32_e32 vcc_lo, 0, v42
	v_subrev_nc_u32_e32 v105, 29, v3
	v_sub_nc_u32_e32 v3, 30, v3
	v_lshlrev_b32_e32 v105, v105, v104
	v_cndmask_b32_e32 v3, v42, v3, vcc_lo
	v_and_b32_e32 v42, 0x80000000, v106
	v_and_b32_e32 v105, 3, v105
	v_lshl_add_u32 v3, v3, 23, 0x37800000
	v_cndmask_b32_e32 v2, v2, v105, vcc_lo
	v_lshlrev_b32_e32 v2, 21, v2
	v_or3_b32 v105, v42, v3, v2
.LBB6_9176:                             ;   in Loop: Header=BB6_8809 Depth=2
	s_or_b32 exec_lo, exec_lo, s29
	s_waitcnt vmcnt(21) lgkmcnt(21)
	v_cmp_gt_i16_sdwa s29, v59, v43 src0_sel:BYTE_0 src1_sel:DWORD
	s_mov_b32 s12, 0
	s_and_saveexec_b32 s40, s29
	s_xor_b32 s29, exec_lo, s40
	s_cbranch_execz .LBB6_10041
; %bb.9177:                             ;   in Loop: Header=BB6_8809 Depth=2
	v_cmp_eq_u16_sdwa s41, v59, v44 src0_sel:BYTE_0 src1_sel:DWORD
	s_mov_b32 s12, -1
	s_and_saveexec_b32 s40, s41
; %bb.9178:                             ;   in Loop: Header=BB6_8809 Depth=2
	s_xor_b32 s12, exec_lo, -1
; %bb.9179:                             ;   in Loop: Header=BB6_8809 Depth=2
	s_or_b32 exec_lo, exec_lo, s40
	s_and_b32 s12, s12, exec_lo
	s_or_saveexec_b32 s29, s29
	v_mov_b32_e32 v2, 0x7f800001
	s_xor_b32 exec_lo, exec_lo, s29
	s_cbranch_execnz .LBB6_10042
.LBB6_9180:                             ;   in Loop: Header=BB6_8809 Depth=2
	s_or_b32 exec_lo, exec_lo, s29
	s_and_saveexec_b32 s29, s12
	s_cbranch_execz .LBB6_9182
.LBB6_9181:                             ;   in Loop: Header=BB6_8809 Depth=2
	v_and_b32_e32 v2, 3, v59
	v_lshrrev_b16 v42, 2, v59
	v_lshlrev_b32_e32 v107, 24, v59
	v_ffbh_u32_e32 v3, v2
	v_and_b32_e32 v42, 31, v42
	v_min_u32_e32 v3, 32, v3
	v_cmp_eq_u32_e32 vcc_lo, 0, v42
	v_subrev_nc_u32_e32 v106, 29, v3
	v_sub_nc_u32_e32 v3, 30, v3
	v_lshlrev_b32_e32 v106, v106, v59
	v_cndmask_b32_e32 v3, v42, v3, vcc_lo
	v_and_b32_e32 v42, 0x80000000, v107
	v_and_b32_e32 v106, 3, v106
	v_lshl_add_u32 v3, v3, 23, 0x37800000
	v_cndmask_b32_e32 v2, v2, v106, vcc_lo
	v_lshlrev_b32_e32 v2, 21, v2
	v_or3_b32 v2, v42, v3, v2
.LBB6_9182:                             ;   in Loop: Header=BB6_8809 Depth=2
	s_or_b32 exec_lo, exec_lo, s29
	v_max_f32_e32 v2, v2, v2
	v_max_f32_e32 v3, v105, v105
	s_mov_b32 s12, 0
	v_max_f32_e32 v105, v3, v2
.LBB6_9183:                             ;   in Loop: Header=BB6_8809 Depth=2
	s_and_b32 vcc_lo, exec_lo, s12
	s_cbranch_vccz .LBB6_9197
; %bb.9184:                             ;   in Loop: Header=BB6_8809 Depth=2
	v_cmp_gt_i16_sdwa s29, v104, v43 src0_sel:BYTE_0 src1_sel:DWORD
	s_mov_b32 s12, 0
	s_and_saveexec_b32 s40, s29
	s_xor_b32 s29, exec_lo, s40
	s_cbranch_execz .LBB6_10043
; %bb.9185:                             ;   in Loop: Header=BB6_8809 Depth=2
	v_cmp_eq_u16_sdwa s41, v104, v44 src0_sel:BYTE_0 src1_sel:DWORD
	s_mov_b32 s12, -1
	s_and_saveexec_b32 s40, s41
; %bb.9186:                             ;   in Loop: Header=BB6_8809 Depth=2
	s_xor_b32 s12, exec_lo, -1
; %bb.9187:                             ;   in Loop: Header=BB6_8809 Depth=2
	s_or_b32 exec_lo, exec_lo, s40
	s_and_b32 s12, s12, exec_lo
	s_or_saveexec_b32 s29, s29
	v_mov_b32_e32 v105, 0x7f800001
	s_xor_b32 exec_lo, exec_lo, s29
	s_cbranch_execnz .LBB6_10044
.LBB6_9188:                             ;   in Loop: Header=BB6_8809 Depth=2
	s_or_b32 exec_lo, exec_lo, s29
	s_and_saveexec_b32 s29, s12
	s_cbranch_execz .LBB6_9190
.LBB6_9189:                             ;   in Loop: Header=BB6_8809 Depth=2
	v_and_b32_e32 v2, 3, v104
	v_lshrrev_b16 v42, 2, v104
	v_ffbh_u32_e32 v3, v2
	v_and_b32_e32 v42, 31, v42
	v_min_u32_e32 v3, 32, v3
	v_cmp_eq_u32_e32 vcc_lo, 0, v42
	v_subrev_nc_u32_e32 v105, 29, v3
	v_sub_nc_u32_e32 v3, 30, v3
	v_lshlrev_b32_e32 v105, v105, v104
	v_lshlrev_b32_e32 v104, 24, v104
	v_cndmask_b32_e32 v3, v42, v3, vcc_lo
	v_and_b32_e32 v105, 3, v105
	v_and_b32_e32 v42, 0x80000000, v104
	v_lshl_add_u32 v3, v3, 23, 0x37800000
	v_cndmask_b32_e32 v2, v2, v105, vcc_lo
	v_lshlrev_b32_e32 v2, 21, v2
	v_or3_b32 v105, v42, v3, v2
.LBB6_9190:                             ;   in Loop: Header=BB6_8809 Depth=2
	s_or_b32 exec_lo, exec_lo, s29
	s_waitcnt vmcnt(21) lgkmcnt(21)
	v_cmp_gt_i16_sdwa s29, v59, v43 src0_sel:BYTE_0 src1_sel:DWORD
	s_mov_b32 s12, 0
	s_and_saveexec_b32 s40, s29
	s_xor_b32 s29, exec_lo, s40
	s_cbranch_execz .LBB6_10045
; %bb.9191:                             ;   in Loop: Header=BB6_8809 Depth=2
	v_cmp_eq_u16_sdwa s41, v59, v44 src0_sel:BYTE_0 src1_sel:DWORD
	s_mov_b32 s12, -1
	s_and_saveexec_b32 s40, s41
; %bb.9192:                             ;   in Loop: Header=BB6_8809 Depth=2
	s_xor_b32 s12, exec_lo, -1
; %bb.9193:                             ;   in Loop: Header=BB6_8809 Depth=2
	s_or_b32 exec_lo, exec_lo, s40
	s_and_b32 s12, s12, exec_lo
	s_or_saveexec_b32 s29, s29
	v_mov_b32_e32 v2, 0x7f800001
	s_xor_b32 exec_lo, exec_lo, s29
	s_cbranch_execnz .LBB6_10046
.LBB6_9194:                             ;   in Loop: Header=BB6_8809 Depth=2
	s_or_b32 exec_lo, exec_lo, s29
	s_and_saveexec_b32 s29, s12
	s_cbranch_execz .LBB6_9196
.LBB6_9195:                             ;   in Loop: Header=BB6_8809 Depth=2
	v_and_b32_e32 v2, 3, v59
	v_lshrrev_b16 v42, 2, v59
	v_ffbh_u32_e32 v3, v2
	v_and_b32_e32 v42, 31, v42
	v_min_u32_e32 v3, 32, v3
	v_cmp_eq_u32_e32 vcc_lo, 0, v42
	v_subrev_nc_u32_e32 v104, 29, v3
	v_sub_nc_u32_e32 v3, 30, v3
	v_lshlrev_b32_e32 v104, v104, v59
	v_lshlrev_b32_e32 v59, 24, v59
	v_cndmask_b32_e32 v3, v42, v3, vcc_lo
	v_and_b32_e32 v104, 3, v104
	v_and_b32_e32 v42, 0x80000000, v59
	v_lshl_add_u32 v3, v3, 23, 0x37800000
	v_cndmask_b32_e32 v2, v2, v104, vcc_lo
	v_lshlrev_b32_e32 v2, 21, v2
	v_or3_b32 v2, v42, v3, v2
.LBB6_9196:                             ;   in Loop: Header=BB6_8809 Depth=2
	s_or_b32 exec_lo, exec_lo, s29
	v_max_f32_e32 v2, v2, v2
	v_max_f32_e32 v3, v105, v105
	v_min_f32_e32 v105, v3, v2
.LBB6_9197:                             ;   in Loop: Header=BB6_8809 Depth=2
	v_and_b32_e32 v2, 0x7f800000, v105
	s_waitcnt vmcnt(21) lgkmcnt(21)
	v_mov_b32_e32 v59, 0x80
	s_mov_b32 s29, exec_lo
	v_cmpx_ne_u32_e32 0x7f800000, v2
	s_cbranch_execz .LBB6_9205
; %bb.9198:                             ;   in Loop: Header=BB6_8809 Depth=2
	v_mov_b32_e32 v59, 0
	s_mov_b32 s40, exec_lo
	v_cmpx_ne_u32_e32 0, v105
	s_cbranch_execz .LBB6_9204
; %bb.9199:                             ;   in Loop: Header=BB6_8809 Depth=2
	v_bfe_u32 v2, v105, 23, 8
	v_and_b32_e32 v3, 0x7fffff, v105
	v_sub_nc_u32_e32 v42, 0x70, v2
	v_cmp_gt_u32_e32 vcc_lo, 0x71, v2
	v_or_b32_e32 v59, 0x800000, v3
	v_cndmask_b32_e32 v42, 0, v42, vcc_lo
	v_cmp_eq_u32_e32 vcc_lo, 0, v2
	v_add_nc_u32_e32 v2, 0xffffff91, v2
	v_cndmask_b32_e64 v42, v42, 0x6f, vcc_lo
	v_cndmask_b32_e32 v3, v59, v3, vcc_lo
	v_cndmask_b32_e64 v2, v2, 0xffffff92, vcc_lo
	v_lshl_add_u32 v59, 0x200000, v42, -1
	v_lshrrev_b32_e32 v104, v42, v3
	v_lshlrev_b32_e64 v107, v42, 0x100000
	v_and_b32_e32 v3, v59, v3
	v_bfe_u32 v106, v104, 21, 1
	v_cmp_eq_u32_e64 s12, v3, v107
	v_add_nc_u32_e32 v59, -1, v106
	v_lshrrev_b32_e32 v106, 23, v104
	v_cndmask_b32_e64 v3, 0, v59, s12
	s_mov_b32 s12, exec_lo
	v_add_nc_u32_e32 v59, v3, v104
	v_add_nc_u32_e32 v3, v42, v2
                                        ; implicit-def: $vgpr42
	v_and_b32_e32 v2, 0x1fffff, v59
	v_xor_b32_e32 v59, 1, v106
	v_add_nc_u32_e32 v2, v2, v104
	v_cmpx_ne_u32_e64 v3, v59
	s_xor_b32 s12, exec_lo, s12
; %bb.9200:                             ;   in Loop: Header=BB6_8809 Depth=2
	v_cmp_lt_u32_e32 vcc_lo, 0xffffff, v2
	v_sub_nc_u32_e32 v3, v3, v59
	v_cndmask_b32_e64 v59, 0, 1, vcc_lo
	v_add_co_ci_u32_e64 v42, null, 0, v3, vcc_lo
	v_lshrrev_b32_e32 v2, v59, v2
; %bb.9201:                             ;   in Loop: Header=BB6_8809 Depth=2
	s_andn2_saveexec_b32 s12, s12
; %bb.9202:                             ;   in Loop: Header=BB6_8809 Depth=2
	v_bfe_u32 v42, v2, 23, 1
; %bb.9203:                             ;   in Loop: Header=BB6_8809 Depth=2
	s_or_b32 exec_lo, exec_lo, s12
	v_lshrrev_b32_e32 v2, 21, v2
	v_cmp_gt_i32_e32 vcc_lo, 32, v42
	v_min_i32_e32 v3, 31, v42
	v_and_b32_sdwa v59, v105, v44 dst_sel:DWORD dst_unused:UNUSED_PAD src0_sel:BYTE_3 src1_sel:DWORD
	v_cndmask_b32_e32 v2, 3, v2, vcc_lo
	v_lshlrev_b32_e32 v3, 2, v3
	v_and_b32_e32 v104, 3, v2
	v_or_b32_e32 v2, v42, v2
	v_or3_b32 v3, v3, v59, v104
	v_cmp_ne_u32_e32 vcc_lo, 0, v2
	v_cndmask_b32_e32 v59, 0, v3, vcc_lo
.LBB6_9204:                             ;   in Loop: Header=BB6_8809 Depth=2
	s_or_b32 exec_lo, exec_lo, s40
.LBB6_9205:                             ;   in Loop: Header=BB6_8809 Depth=2
	s_or_b32 exec_lo, exec_lo, s29
	v_cmp_gt_i16_sdwa s29, v95, v43 src0_sel:BYTE_0 src1_sel:DWORD
	s_andn2_b32 vcc_lo, exec_lo, s27
	s_mov_b32 s12, -1
                                        ; implicit-def: $vgpr104
	s_cbranch_vccnz .LBB6_9219
; %bb.9206:                             ;   in Loop: Header=BB6_8809 Depth=2
	s_mov_b32 s12, 0
	s_and_saveexec_b32 s40, s29
	s_xor_b32 s29, exec_lo, s40
	s_cbranch_execz .LBB6_10047
; %bb.9207:                             ;   in Loop: Header=BB6_8809 Depth=2
	v_cmp_eq_u16_sdwa s41, v95, v44 src0_sel:BYTE_0 src1_sel:DWORD
	s_mov_b32 s12, -1
	s_and_saveexec_b32 s40, s41
; %bb.9208:                             ;   in Loop: Header=BB6_8809 Depth=2
	s_xor_b32 s12, exec_lo, -1
; %bb.9209:                             ;   in Loop: Header=BB6_8809 Depth=2
	s_or_b32 exec_lo, exec_lo, s40
	s_and_b32 s12, s12, exec_lo
	s_or_saveexec_b32 s29, s29
	v_mov_b32_e32 v104, 0x7f800001
	s_xor_b32 exec_lo, exec_lo, s29
	s_cbranch_execnz .LBB6_10048
.LBB6_9210:                             ;   in Loop: Header=BB6_8809 Depth=2
	s_or_b32 exec_lo, exec_lo, s29
	s_and_saveexec_b32 s29, s12
	s_cbranch_execz .LBB6_9212
.LBB6_9211:                             ;   in Loop: Header=BB6_8809 Depth=2
	v_and_b32_e32 v2, 3, v95
	v_lshrrev_b16 v42, 2, v95
	v_lshlrev_b32_e32 v105, 24, v95
	v_ffbh_u32_e32 v3, v2
	v_and_b32_e32 v42, 31, v42
	v_min_u32_e32 v3, 32, v3
	v_cmp_eq_u32_e32 vcc_lo, 0, v42
	v_subrev_nc_u32_e32 v104, 29, v3
	v_sub_nc_u32_e32 v3, 30, v3
	v_lshlrev_b32_e32 v104, v104, v95
	v_cndmask_b32_e32 v3, v42, v3, vcc_lo
	v_and_b32_e32 v42, 0x80000000, v105
	v_and_b32_e32 v104, 3, v104
	v_lshl_add_u32 v3, v3, 23, 0x37800000
	v_cndmask_b32_e32 v2, v2, v104, vcc_lo
	v_lshlrev_b32_e32 v2, 21, v2
	v_or3_b32 v104, v42, v3, v2
.LBB6_9212:                             ;   in Loop: Header=BB6_8809 Depth=2
	s_or_b32 exec_lo, exec_lo, s29
	s_waitcnt vmcnt(20) lgkmcnt(20)
	v_cmp_gt_i16_sdwa s29, v62, v43 src0_sel:BYTE_0 src1_sel:DWORD
	s_mov_b32 s12, 0
	s_and_saveexec_b32 s40, s29
	s_xor_b32 s29, exec_lo, s40
	s_cbranch_execz .LBB6_10049
; %bb.9213:                             ;   in Loop: Header=BB6_8809 Depth=2
	v_cmp_eq_u16_sdwa s41, v62, v44 src0_sel:BYTE_0 src1_sel:DWORD
	s_mov_b32 s12, -1
	s_and_saveexec_b32 s40, s41
; %bb.9214:                             ;   in Loop: Header=BB6_8809 Depth=2
	s_xor_b32 s12, exec_lo, -1
; %bb.9215:                             ;   in Loop: Header=BB6_8809 Depth=2
	s_or_b32 exec_lo, exec_lo, s40
	s_and_b32 s12, s12, exec_lo
	s_or_saveexec_b32 s29, s29
	v_mov_b32_e32 v2, 0x7f800001
	s_xor_b32 exec_lo, exec_lo, s29
	s_cbranch_execnz .LBB6_10050
.LBB6_9216:                             ;   in Loop: Header=BB6_8809 Depth=2
	s_or_b32 exec_lo, exec_lo, s29
	s_and_saveexec_b32 s29, s12
	s_cbranch_execz .LBB6_9218
.LBB6_9217:                             ;   in Loop: Header=BB6_8809 Depth=2
	v_and_b32_e32 v2, 3, v62
	v_lshrrev_b16 v42, 2, v62
	v_lshlrev_b32_e32 v106, 24, v62
	v_ffbh_u32_e32 v3, v2
	v_and_b32_e32 v42, 31, v42
	v_min_u32_e32 v3, 32, v3
	v_cmp_eq_u32_e32 vcc_lo, 0, v42
	v_subrev_nc_u32_e32 v105, 29, v3
	v_sub_nc_u32_e32 v3, 30, v3
	v_lshlrev_b32_e32 v105, v105, v62
	v_cndmask_b32_e32 v3, v42, v3, vcc_lo
	v_and_b32_e32 v42, 0x80000000, v106
	v_and_b32_e32 v105, 3, v105
	v_lshl_add_u32 v3, v3, 23, 0x37800000
	v_cndmask_b32_e32 v2, v2, v105, vcc_lo
	v_lshlrev_b32_e32 v2, 21, v2
	v_or3_b32 v2, v42, v3, v2
.LBB6_9218:                             ;   in Loop: Header=BB6_8809 Depth=2
	s_or_b32 exec_lo, exec_lo, s29
	v_max_f32_e32 v2, v2, v2
	v_max_f32_e32 v3, v104, v104
	s_mov_b32 s12, 0
	v_max_f32_e32 v104, v3, v2
.LBB6_9219:                             ;   in Loop: Header=BB6_8809 Depth=2
	s_and_b32 vcc_lo, exec_lo, s12
	s_cbranch_vccz .LBB6_9233
; %bb.9220:                             ;   in Loop: Header=BB6_8809 Depth=2
	v_cmp_gt_i16_sdwa s29, v95, v43 src0_sel:BYTE_0 src1_sel:DWORD
	s_mov_b32 s12, 0
	s_and_saveexec_b32 s40, s29
	s_xor_b32 s29, exec_lo, s40
	s_cbranch_execz .LBB6_10051
; %bb.9221:                             ;   in Loop: Header=BB6_8809 Depth=2
	v_cmp_eq_u16_sdwa s41, v95, v44 src0_sel:BYTE_0 src1_sel:DWORD
	s_mov_b32 s12, -1
	s_and_saveexec_b32 s40, s41
; %bb.9222:                             ;   in Loop: Header=BB6_8809 Depth=2
	s_xor_b32 s12, exec_lo, -1
; %bb.9223:                             ;   in Loop: Header=BB6_8809 Depth=2
	s_or_b32 exec_lo, exec_lo, s40
	s_and_b32 s12, s12, exec_lo
	s_or_saveexec_b32 s29, s29
	v_mov_b32_e32 v104, 0x7f800001
	s_xor_b32 exec_lo, exec_lo, s29
	s_cbranch_execnz .LBB6_10052
.LBB6_9224:                             ;   in Loop: Header=BB6_8809 Depth=2
	s_or_b32 exec_lo, exec_lo, s29
	s_and_saveexec_b32 s29, s12
	s_cbranch_execz .LBB6_9226
.LBB6_9225:                             ;   in Loop: Header=BB6_8809 Depth=2
	v_and_b32_e32 v2, 3, v95
	v_lshrrev_b16 v42, 2, v95
	v_ffbh_u32_e32 v3, v2
	v_and_b32_e32 v42, 31, v42
	v_min_u32_e32 v3, 32, v3
	v_cmp_eq_u32_e32 vcc_lo, 0, v42
	v_subrev_nc_u32_e32 v104, 29, v3
	v_sub_nc_u32_e32 v3, 30, v3
	v_lshlrev_b32_e32 v104, v104, v95
	v_lshlrev_b32_e32 v95, 24, v95
	v_cndmask_b32_e32 v3, v42, v3, vcc_lo
	v_and_b32_e32 v104, 3, v104
	v_and_b32_e32 v42, 0x80000000, v95
	v_lshl_add_u32 v3, v3, 23, 0x37800000
	v_cndmask_b32_e32 v2, v2, v104, vcc_lo
	v_lshlrev_b32_e32 v2, 21, v2
	v_or3_b32 v104, v42, v3, v2
.LBB6_9226:                             ;   in Loop: Header=BB6_8809 Depth=2
	s_or_b32 exec_lo, exec_lo, s29
	s_waitcnt vmcnt(20) lgkmcnt(20)
	v_cmp_gt_i16_sdwa s29, v62, v43 src0_sel:BYTE_0 src1_sel:DWORD
	s_mov_b32 s12, 0
	s_and_saveexec_b32 s40, s29
	s_xor_b32 s29, exec_lo, s40
	s_cbranch_execz .LBB6_10053
; %bb.9227:                             ;   in Loop: Header=BB6_8809 Depth=2
	v_cmp_eq_u16_sdwa s41, v62, v44 src0_sel:BYTE_0 src1_sel:DWORD
	s_mov_b32 s12, -1
	s_and_saveexec_b32 s40, s41
; %bb.9228:                             ;   in Loop: Header=BB6_8809 Depth=2
	s_xor_b32 s12, exec_lo, -1
; %bb.9229:                             ;   in Loop: Header=BB6_8809 Depth=2
	s_or_b32 exec_lo, exec_lo, s40
	s_and_b32 s12, s12, exec_lo
	s_or_saveexec_b32 s29, s29
	v_mov_b32_e32 v2, 0x7f800001
	s_xor_b32 exec_lo, exec_lo, s29
	s_cbranch_execnz .LBB6_10054
.LBB6_9230:                             ;   in Loop: Header=BB6_8809 Depth=2
	s_or_b32 exec_lo, exec_lo, s29
	s_and_saveexec_b32 s29, s12
	s_cbranch_execz .LBB6_9232
.LBB6_9231:                             ;   in Loop: Header=BB6_8809 Depth=2
	v_and_b32_e32 v2, 3, v62
	v_lshrrev_b16 v42, 2, v62
	v_ffbh_u32_e32 v3, v2
	v_and_b32_e32 v42, 31, v42
	v_min_u32_e32 v3, 32, v3
	v_cmp_eq_u32_e32 vcc_lo, 0, v42
	v_subrev_nc_u32_e32 v95, 29, v3
	v_sub_nc_u32_e32 v3, 30, v3
	v_lshlrev_b32_e32 v95, v95, v62
	v_lshlrev_b32_e32 v62, 24, v62
	v_cndmask_b32_e32 v3, v42, v3, vcc_lo
	v_and_b32_e32 v95, 3, v95
	v_and_b32_e32 v42, 0x80000000, v62
	v_lshl_add_u32 v3, v3, 23, 0x37800000
	v_cndmask_b32_e32 v2, v2, v95, vcc_lo
	v_lshlrev_b32_e32 v2, 21, v2
	v_or3_b32 v2, v42, v3, v2
.LBB6_9232:                             ;   in Loop: Header=BB6_8809 Depth=2
	s_or_b32 exec_lo, exec_lo, s29
	v_max_f32_e32 v2, v2, v2
	v_max_f32_e32 v3, v104, v104
	v_min_f32_e32 v104, v3, v2
.LBB6_9233:                             ;   in Loop: Header=BB6_8809 Depth=2
	v_and_b32_e32 v2, 0x7f800000, v104
	s_waitcnt vmcnt(20) lgkmcnt(20)
	v_mov_b32_e32 v62, 0x80
	s_mov_b32 s29, exec_lo
	v_cmpx_ne_u32_e32 0x7f800000, v2
	s_cbranch_execz .LBB6_9241
; %bb.9234:                             ;   in Loop: Header=BB6_8809 Depth=2
	v_mov_b32_e32 v62, 0
	s_mov_b32 s40, exec_lo
	v_cmpx_ne_u32_e32 0, v104
	s_cbranch_execz .LBB6_9240
; %bb.9235:                             ;   in Loop: Header=BB6_8809 Depth=2
	v_bfe_u32 v2, v104, 23, 8
	v_and_b32_e32 v3, 0x7fffff, v104
	v_sub_nc_u32_e32 v42, 0x70, v2
	v_cmp_gt_u32_e32 vcc_lo, 0x71, v2
	v_or_b32_e32 v62, 0x800000, v3
	v_cndmask_b32_e32 v42, 0, v42, vcc_lo
	v_cmp_eq_u32_e32 vcc_lo, 0, v2
	v_add_nc_u32_e32 v2, 0xffffff91, v2
	v_cndmask_b32_e64 v42, v42, 0x6f, vcc_lo
	v_cndmask_b32_e32 v3, v62, v3, vcc_lo
	v_cndmask_b32_e64 v2, v2, 0xffffff92, vcc_lo
	v_lshl_add_u32 v62, 0x200000, v42, -1
	v_lshrrev_b32_e32 v95, v42, v3
	v_lshlrev_b32_e64 v106, v42, 0x100000
	v_and_b32_e32 v3, v62, v3
	v_bfe_u32 v105, v95, 21, 1
	v_cmp_eq_u32_e64 s12, v3, v106
	v_add_nc_u32_e32 v62, -1, v105
	v_lshrrev_b32_e32 v105, 23, v95
	v_cndmask_b32_e64 v3, 0, v62, s12
	s_mov_b32 s12, exec_lo
	v_add_nc_u32_e32 v62, v3, v95
	v_add_nc_u32_e32 v3, v42, v2
                                        ; implicit-def: $vgpr42
	v_and_b32_e32 v2, 0x1fffff, v62
	v_xor_b32_e32 v62, 1, v105
	v_add_nc_u32_e32 v2, v2, v95
	v_cmpx_ne_u32_e64 v3, v62
	s_xor_b32 s12, exec_lo, s12
; %bb.9236:                             ;   in Loop: Header=BB6_8809 Depth=2
	v_cmp_lt_u32_e32 vcc_lo, 0xffffff, v2
	v_sub_nc_u32_e32 v3, v3, v62
	v_cndmask_b32_e64 v62, 0, 1, vcc_lo
	v_add_co_ci_u32_e64 v42, null, 0, v3, vcc_lo
	v_lshrrev_b32_e32 v2, v62, v2
; %bb.9237:                             ;   in Loop: Header=BB6_8809 Depth=2
	s_andn2_saveexec_b32 s12, s12
; %bb.9238:                             ;   in Loop: Header=BB6_8809 Depth=2
	v_bfe_u32 v42, v2, 23, 1
; %bb.9239:                             ;   in Loop: Header=BB6_8809 Depth=2
	s_or_b32 exec_lo, exec_lo, s12
	v_lshrrev_b32_e32 v2, 21, v2
	v_cmp_gt_i32_e32 vcc_lo, 32, v42
	v_min_i32_e32 v3, 31, v42
	v_and_b32_sdwa v62, v104, v44 dst_sel:DWORD dst_unused:UNUSED_PAD src0_sel:BYTE_3 src1_sel:DWORD
	v_cndmask_b32_e32 v2, 3, v2, vcc_lo
	v_lshlrev_b32_e32 v3, 2, v3
	v_and_b32_e32 v95, 3, v2
	v_or_b32_e32 v2, v42, v2
	v_or3_b32 v3, v3, v62, v95
	v_cmp_ne_u32_e32 vcc_lo, 0, v2
	v_cndmask_b32_e32 v62, 0, v3, vcc_lo
.LBB6_9240:                             ;   in Loop: Header=BB6_8809 Depth=2
	s_or_b32 exec_lo, exec_lo, s40
.LBB6_9241:                             ;   in Loop: Header=BB6_8809 Depth=2
	s_or_b32 exec_lo, exec_lo, s29
	v_cmp_gt_i16_sdwa s29, v94, v43 src0_sel:BYTE_0 src1_sel:DWORD
	s_andn2_b32 vcc_lo, exec_lo, s27
	s_mov_b32 s12, -1
                                        ; implicit-def: $vgpr95
	s_cbranch_vccnz .LBB6_9255
; %bb.9242:                             ;   in Loop: Header=BB6_8809 Depth=2
	s_mov_b32 s12, 0
	s_and_saveexec_b32 s40, s29
	s_xor_b32 s29, exec_lo, s40
	s_cbranch_execz .LBB6_10055
; %bb.9243:                             ;   in Loop: Header=BB6_8809 Depth=2
	v_cmp_eq_u16_sdwa s41, v94, v44 src0_sel:BYTE_0 src1_sel:DWORD
	s_mov_b32 s12, -1
	s_and_saveexec_b32 s40, s41
; %bb.9244:                             ;   in Loop: Header=BB6_8809 Depth=2
	s_xor_b32 s12, exec_lo, -1
; %bb.9245:                             ;   in Loop: Header=BB6_8809 Depth=2
	s_or_b32 exec_lo, exec_lo, s40
	s_and_b32 s12, s12, exec_lo
	s_or_saveexec_b32 s29, s29
	v_mov_b32_e32 v95, 0x7f800001
	s_xor_b32 exec_lo, exec_lo, s29
	s_cbranch_execnz .LBB6_10056
.LBB6_9246:                             ;   in Loop: Header=BB6_8809 Depth=2
	s_or_b32 exec_lo, exec_lo, s29
	s_and_saveexec_b32 s29, s12
	s_cbranch_execz .LBB6_9248
.LBB6_9247:                             ;   in Loop: Header=BB6_8809 Depth=2
	v_and_b32_e32 v2, 3, v94
	v_lshrrev_b16 v42, 2, v94
	v_lshlrev_b32_e32 v104, 24, v94
	v_ffbh_u32_e32 v3, v2
	v_and_b32_e32 v42, 31, v42
	v_min_u32_e32 v3, 32, v3
	v_cmp_eq_u32_e32 vcc_lo, 0, v42
	v_subrev_nc_u32_e32 v95, 29, v3
	v_sub_nc_u32_e32 v3, 30, v3
	v_lshlrev_b32_e32 v95, v95, v94
	v_cndmask_b32_e32 v3, v42, v3, vcc_lo
	v_and_b32_e32 v42, 0x80000000, v104
	v_and_b32_e32 v95, 3, v95
	v_lshl_add_u32 v3, v3, 23, 0x37800000
	v_cndmask_b32_e32 v2, v2, v95, vcc_lo
	v_lshlrev_b32_e32 v2, 21, v2
	v_or3_b32 v95, v42, v3, v2
.LBB6_9248:                             ;   in Loop: Header=BB6_8809 Depth=2
	s_or_b32 exec_lo, exec_lo, s29
	s_waitcnt vmcnt(19) lgkmcnt(19)
	v_cmp_gt_i16_sdwa s29, v73, v43 src0_sel:BYTE_0 src1_sel:DWORD
	s_mov_b32 s12, 0
	s_and_saveexec_b32 s40, s29
	s_xor_b32 s29, exec_lo, s40
	s_cbranch_execz .LBB6_10057
; %bb.9249:                             ;   in Loop: Header=BB6_8809 Depth=2
	v_cmp_eq_u16_sdwa s41, v73, v44 src0_sel:BYTE_0 src1_sel:DWORD
	s_mov_b32 s12, -1
	s_and_saveexec_b32 s40, s41
; %bb.9250:                             ;   in Loop: Header=BB6_8809 Depth=2
	s_xor_b32 s12, exec_lo, -1
; %bb.9251:                             ;   in Loop: Header=BB6_8809 Depth=2
	s_or_b32 exec_lo, exec_lo, s40
	s_and_b32 s12, s12, exec_lo
	s_or_saveexec_b32 s29, s29
	v_mov_b32_e32 v2, 0x7f800001
	s_xor_b32 exec_lo, exec_lo, s29
	s_cbranch_execnz .LBB6_10058
.LBB6_9252:                             ;   in Loop: Header=BB6_8809 Depth=2
	s_or_b32 exec_lo, exec_lo, s29
	s_and_saveexec_b32 s29, s12
	s_cbranch_execz .LBB6_9254
.LBB6_9253:                             ;   in Loop: Header=BB6_8809 Depth=2
	v_and_b32_e32 v2, 3, v73
	v_lshrrev_b16 v42, 2, v73
	v_lshlrev_b32_e32 v105, 24, v73
	v_ffbh_u32_e32 v3, v2
	v_and_b32_e32 v42, 31, v42
	v_min_u32_e32 v3, 32, v3
	v_cmp_eq_u32_e32 vcc_lo, 0, v42
	v_subrev_nc_u32_e32 v104, 29, v3
	v_sub_nc_u32_e32 v3, 30, v3
	v_lshlrev_b32_e32 v104, v104, v73
	v_cndmask_b32_e32 v3, v42, v3, vcc_lo
	v_and_b32_e32 v42, 0x80000000, v105
	v_and_b32_e32 v104, 3, v104
	v_lshl_add_u32 v3, v3, 23, 0x37800000
	v_cndmask_b32_e32 v2, v2, v104, vcc_lo
	v_lshlrev_b32_e32 v2, 21, v2
	v_or3_b32 v2, v42, v3, v2
.LBB6_9254:                             ;   in Loop: Header=BB6_8809 Depth=2
	s_or_b32 exec_lo, exec_lo, s29
	v_max_f32_e32 v2, v2, v2
	v_max_f32_e32 v3, v95, v95
	s_mov_b32 s12, 0
	v_max_f32_e32 v95, v3, v2
.LBB6_9255:                             ;   in Loop: Header=BB6_8809 Depth=2
	s_and_b32 vcc_lo, exec_lo, s12
	s_cbranch_vccz .LBB6_9269
; %bb.9256:                             ;   in Loop: Header=BB6_8809 Depth=2
	v_cmp_gt_i16_sdwa s29, v94, v43 src0_sel:BYTE_0 src1_sel:DWORD
	s_mov_b32 s12, 0
	s_and_saveexec_b32 s40, s29
	s_xor_b32 s29, exec_lo, s40
	s_cbranch_execz .LBB6_10059
; %bb.9257:                             ;   in Loop: Header=BB6_8809 Depth=2
	v_cmp_eq_u16_sdwa s41, v94, v44 src0_sel:BYTE_0 src1_sel:DWORD
	s_mov_b32 s12, -1
	s_and_saveexec_b32 s40, s41
; %bb.9258:                             ;   in Loop: Header=BB6_8809 Depth=2
	s_xor_b32 s12, exec_lo, -1
; %bb.9259:                             ;   in Loop: Header=BB6_8809 Depth=2
	s_or_b32 exec_lo, exec_lo, s40
	s_and_b32 s12, s12, exec_lo
	s_or_saveexec_b32 s29, s29
	v_mov_b32_e32 v95, 0x7f800001
	s_xor_b32 exec_lo, exec_lo, s29
	s_cbranch_execnz .LBB6_10060
.LBB6_9260:                             ;   in Loop: Header=BB6_8809 Depth=2
	s_or_b32 exec_lo, exec_lo, s29
	s_and_saveexec_b32 s29, s12
	s_cbranch_execz .LBB6_9262
.LBB6_9261:                             ;   in Loop: Header=BB6_8809 Depth=2
	v_and_b32_e32 v2, 3, v94
	v_lshrrev_b16 v42, 2, v94
	v_ffbh_u32_e32 v3, v2
	v_and_b32_e32 v42, 31, v42
	v_min_u32_e32 v3, 32, v3
	v_cmp_eq_u32_e32 vcc_lo, 0, v42
	v_subrev_nc_u32_e32 v95, 29, v3
	v_sub_nc_u32_e32 v3, 30, v3
	v_lshlrev_b32_e32 v95, v95, v94
	v_lshlrev_b32_e32 v94, 24, v94
	v_cndmask_b32_e32 v3, v42, v3, vcc_lo
	v_and_b32_e32 v95, 3, v95
	v_and_b32_e32 v42, 0x80000000, v94
	v_lshl_add_u32 v3, v3, 23, 0x37800000
	v_cndmask_b32_e32 v2, v2, v95, vcc_lo
	v_lshlrev_b32_e32 v2, 21, v2
	v_or3_b32 v95, v42, v3, v2
.LBB6_9262:                             ;   in Loop: Header=BB6_8809 Depth=2
	s_or_b32 exec_lo, exec_lo, s29
	s_waitcnt vmcnt(19) lgkmcnt(19)
	v_cmp_gt_i16_sdwa s29, v73, v43 src0_sel:BYTE_0 src1_sel:DWORD
	s_mov_b32 s12, 0
	s_and_saveexec_b32 s40, s29
	s_xor_b32 s29, exec_lo, s40
	s_cbranch_execz .LBB6_10061
; %bb.9263:                             ;   in Loop: Header=BB6_8809 Depth=2
	v_cmp_eq_u16_sdwa s41, v73, v44 src0_sel:BYTE_0 src1_sel:DWORD
	s_mov_b32 s12, -1
	s_and_saveexec_b32 s40, s41
; %bb.9264:                             ;   in Loop: Header=BB6_8809 Depth=2
	s_xor_b32 s12, exec_lo, -1
; %bb.9265:                             ;   in Loop: Header=BB6_8809 Depth=2
	s_or_b32 exec_lo, exec_lo, s40
	s_and_b32 s12, s12, exec_lo
	s_or_saveexec_b32 s29, s29
	v_mov_b32_e32 v2, 0x7f800001
	s_xor_b32 exec_lo, exec_lo, s29
	s_cbranch_execnz .LBB6_10062
.LBB6_9266:                             ;   in Loop: Header=BB6_8809 Depth=2
	s_or_b32 exec_lo, exec_lo, s29
	s_and_saveexec_b32 s29, s12
	s_cbranch_execz .LBB6_9268
.LBB6_9267:                             ;   in Loop: Header=BB6_8809 Depth=2
	v_and_b32_e32 v2, 3, v73
	v_lshrrev_b16 v42, 2, v73
	v_ffbh_u32_e32 v3, v2
	v_and_b32_e32 v42, 31, v42
	v_min_u32_e32 v3, 32, v3
	v_cmp_eq_u32_e32 vcc_lo, 0, v42
	v_subrev_nc_u32_e32 v94, 29, v3
	v_sub_nc_u32_e32 v3, 30, v3
	v_lshlrev_b32_e32 v94, v94, v73
	v_lshlrev_b32_e32 v73, 24, v73
	v_cndmask_b32_e32 v3, v42, v3, vcc_lo
	v_and_b32_e32 v94, 3, v94
	v_and_b32_e32 v42, 0x80000000, v73
	v_lshl_add_u32 v3, v3, 23, 0x37800000
	v_cndmask_b32_e32 v2, v2, v94, vcc_lo
	v_lshlrev_b32_e32 v2, 21, v2
	v_or3_b32 v2, v42, v3, v2
.LBB6_9268:                             ;   in Loop: Header=BB6_8809 Depth=2
	s_or_b32 exec_lo, exec_lo, s29
	v_max_f32_e32 v2, v2, v2
	v_max_f32_e32 v3, v95, v95
	v_min_f32_e32 v95, v3, v2
.LBB6_9269:                             ;   in Loop: Header=BB6_8809 Depth=2
	v_and_b32_e32 v2, 0x7f800000, v95
	s_waitcnt vmcnt(19) lgkmcnt(19)
	v_mov_b32_e32 v73, 0x80
	s_mov_b32 s29, exec_lo
	v_cmpx_ne_u32_e32 0x7f800000, v2
	s_cbranch_execz .LBB6_9277
; %bb.9270:                             ;   in Loop: Header=BB6_8809 Depth=2
	v_mov_b32_e32 v73, 0
	s_mov_b32 s40, exec_lo
	v_cmpx_ne_u32_e32 0, v95
	s_cbranch_execz .LBB6_9276
; %bb.9271:                             ;   in Loop: Header=BB6_8809 Depth=2
	v_bfe_u32 v2, v95, 23, 8
	v_and_b32_e32 v3, 0x7fffff, v95
	v_sub_nc_u32_e32 v42, 0x70, v2
	v_cmp_gt_u32_e32 vcc_lo, 0x71, v2
	v_or_b32_e32 v73, 0x800000, v3
	v_cndmask_b32_e32 v42, 0, v42, vcc_lo
	v_cmp_eq_u32_e32 vcc_lo, 0, v2
	v_add_nc_u32_e32 v2, 0xffffff91, v2
	v_cndmask_b32_e64 v42, v42, 0x6f, vcc_lo
	v_cndmask_b32_e32 v3, v73, v3, vcc_lo
	v_cndmask_b32_e64 v2, v2, 0xffffff92, vcc_lo
	v_lshl_add_u32 v73, 0x200000, v42, -1
	v_lshrrev_b32_e32 v94, v42, v3
	v_lshlrev_b32_e64 v105, v42, 0x100000
	v_and_b32_e32 v3, v73, v3
	v_bfe_u32 v104, v94, 21, 1
	v_cmp_eq_u32_e64 s12, v3, v105
	v_add_nc_u32_e32 v73, -1, v104
	v_lshrrev_b32_e32 v104, 23, v94
	v_cndmask_b32_e64 v3, 0, v73, s12
	s_mov_b32 s12, exec_lo
	v_add_nc_u32_e32 v73, v3, v94
	v_add_nc_u32_e32 v3, v42, v2
                                        ; implicit-def: $vgpr42
	v_and_b32_e32 v2, 0x1fffff, v73
	v_xor_b32_e32 v73, 1, v104
	v_add_nc_u32_e32 v2, v2, v94
	v_cmpx_ne_u32_e64 v3, v73
	s_xor_b32 s12, exec_lo, s12
; %bb.9272:                             ;   in Loop: Header=BB6_8809 Depth=2
	v_cmp_lt_u32_e32 vcc_lo, 0xffffff, v2
	v_sub_nc_u32_e32 v3, v3, v73
	v_cndmask_b32_e64 v73, 0, 1, vcc_lo
	v_add_co_ci_u32_e64 v42, null, 0, v3, vcc_lo
	v_lshrrev_b32_e32 v2, v73, v2
; %bb.9273:                             ;   in Loop: Header=BB6_8809 Depth=2
	s_andn2_saveexec_b32 s12, s12
; %bb.9274:                             ;   in Loop: Header=BB6_8809 Depth=2
	v_bfe_u32 v42, v2, 23, 1
; %bb.9275:                             ;   in Loop: Header=BB6_8809 Depth=2
	s_or_b32 exec_lo, exec_lo, s12
	v_lshrrev_b32_e32 v2, 21, v2
	v_cmp_gt_i32_e32 vcc_lo, 32, v42
	v_min_i32_e32 v3, 31, v42
	v_and_b32_sdwa v73, v95, v44 dst_sel:DWORD dst_unused:UNUSED_PAD src0_sel:BYTE_3 src1_sel:DWORD
	v_cndmask_b32_e32 v2, 3, v2, vcc_lo
	v_lshlrev_b32_e32 v3, 2, v3
	v_and_b32_e32 v94, 3, v2
	v_or_b32_e32 v2, v42, v2
	v_or3_b32 v3, v3, v73, v94
	v_cmp_ne_u32_e32 vcc_lo, 0, v2
	v_cndmask_b32_e32 v73, 0, v3, vcc_lo
.LBB6_9276:                             ;   in Loop: Header=BB6_8809 Depth=2
	s_or_b32 exec_lo, exec_lo, s40
.LBB6_9277:                             ;   in Loop: Header=BB6_8809 Depth=2
	s_or_b32 exec_lo, exec_lo, s29
	v_cmp_gt_i16_sdwa s29, v93, v43 src0_sel:BYTE_0 src1_sel:DWORD
	s_andn2_b32 vcc_lo, exec_lo, s27
	s_mov_b32 s12, -1
                                        ; implicit-def: $vgpr94
	s_cbranch_vccnz .LBB6_9291
; %bb.9278:                             ;   in Loop: Header=BB6_8809 Depth=2
	s_mov_b32 s12, 0
	s_and_saveexec_b32 s40, s29
	s_xor_b32 s29, exec_lo, s40
	s_cbranch_execz .LBB6_10063
; %bb.9279:                             ;   in Loop: Header=BB6_8809 Depth=2
	v_cmp_eq_u16_sdwa s41, v93, v44 src0_sel:BYTE_0 src1_sel:DWORD
	s_mov_b32 s12, -1
	s_and_saveexec_b32 s40, s41
; %bb.9280:                             ;   in Loop: Header=BB6_8809 Depth=2
	s_xor_b32 s12, exec_lo, -1
; %bb.9281:                             ;   in Loop: Header=BB6_8809 Depth=2
	s_or_b32 exec_lo, exec_lo, s40
	s_and_b32 s12, s12, exec_lo
	s_or_saveexec_b32 s29, s29
	v_mov_b32_e32 v94, 0x7f800001
	s_xor_b32 exec_lo, exec_lo, s29
	s_cbranch_execnz .LBB6_10064
.LBB6_9282:                             ;   in Loop: Header=BB6_8809 Depth=2
	s_or_b32 exec_lo, exec_lo, s29
	s_and_saveexec_b32 s29, s12
	s_cbranch_execz .LBB6_9284
.LBB6_9283:                             ;   in Loop: Header=BB6_8809 Depth=2
	v_and_b32_e32 v2, 3, v93
	v_lshrrev_b16 v42, 2, v93
	v_lshlrev_b32_e32 v95, 24, v93
	v_ffbh_u32_e32 v3, v2
	v_and_b32_e32 v42, 31, v42
	v_min_u32_e32 v3, 32, v3
	v_cmp_eq_u32_e32 vcc_lo, 0, v42
	v_subrev_nc_u32_e32 v94, 29, v3
	v_sub_nc_u32_e32 v3, 30, v3
	v_lshlrev_b32_e32 v94, v94, v93
	v_cndmask_b32_e32 v3, v42, v3, vcc_lo
	v_and_b32_e32 v42, 0x80000000, v95
	v_and_b32_e32 v94, 3, v94
	v_lshl_add_u32 v3, v3, 23, 0x37800000
	v_cndmask_b32_e32 v2, v2, v94, vcc_lo
	v_lshlrev_b32_e32 v2, 21, v2
	v_or3_b32 v94, v42, v3, v2
.LBB6_9284:                             ;   in Loop: Header=BB6_8809 Depth=2
	s_or_b32 exec_lo, exec_lo, s29
	s_waitcnt vmcnt(18) lgkmcnt(18)
	v_cmp_gt_i16_sdwa s29, v76, v43 src0_sel:BYTE_0 src1_sel:DWORD
	s_mov_b32 s12, 0
	s_and_saveexec_b32 s40, s29
	s_xor_b32 s29, exec_lo, s40
	s_cbranch_execz .LBB6_10065
; %bb.9285:                             ;   in Loop: Header=BB6_8809 Depth=2
	v_cmp_eq_u16_sdwa s41, v76, v44 src0_sel:BYTE_0 src1_sel:DWORD
	s_mov_b32 s12, -1
	s_and_saveexec_b32 s40, s41
; %bb.9286:                             ;   in Loop: Header=BB6_8809 Depth=2
	s_xor_b32 s12, exec_lo, -1
; %bb.9287:                             ;   in Loop: Header=BB6_8809 Depth=2
	s_or_b32 exec_lo, exec_lo, s40
	s_and_b32 s12, s12, exec_lo
	s_or_saveexec_b32 s29, s29
	v_mov_b32_e32 v2, 0x7f800001
	s_xor_b32 exec_lo, exec_lo, s29
	s_cbranch_execnz .LBB6_10066
.LBB6_9288:                             ;   in Loop: Header=BB6_8809 Depth=2
	s_or_b32 exec_lo, exec_lo, s29
	s_and_saveexec_b32 s29, s12
	s_cbranch_execz .LBB6_9290
.LBB6_9289:                             ;   in Loop: Header=BB6_8809 Depth=2
	v_and_b32_e32 v2, 3, v76
	v_lshrrev_b16 v42, 2, v76
	v_lshlrev_b32_e32 v104, 24, v76
	v_ffbh_u32_e32 v3, v2
	v_and_b32_e32 v42, 31, v42
	v_min_u32_e32 v3, 32, v3
	v_cmp_eq_u32_e32 vcc_lo, 0, v42
	v_subrev_nc_u32_e32 v95, 29, v3
	v_sub_nc_u32_e32 v3, 30, v3
	v_lshlrev_b32_e32 v95, v95, v76
	v_cndmask_b32_e32 v3, v42, v3, vcc_lo
	v_and_b32_e32 v42, 0x80000000, v104
	v_and_b32_e32 v95, 3, v95
	v_lshl_add_u32 v3, v3, 23, 0x37800000
	v_cndmask_b32_e32 v2, v2, v95, vcc_lo
	v_lshlrev_b32_e32 v2, 21, v2
	v_or3_b32 v2, v42, v3, v2
.LBB6_9290:                             ;   in Loop: Header=BB6_8809 Depth=2
	s_or_b32 exec_lo, exec_lo, s29
	v_max_f32_e32 v2, v2, v2
	v_max_f32_e32 v3, v94, v94
	s_mov_b32 s12, 0
	v_max_f32_e32 v94, v3, v2
.LBB6_9291:                             ;   in Loop: Header=BB6_8809 Depth=2
	s_and_b32 vcc_lo, exec_lo, s12
	s_cbranch_vccz .LBB6_9305
; %bb.9292:                             ;   in Loop: Header=BB6_8809 Depth=2
	v_cmp_gt_i16_sdwa s29, v93, v43 src0_sel:BYTE_0 src1_sel:DWORD
	s_mov_b32 s12, 0
	s_and_saveexec_b32 s40, s29
	s_xor_b32 s29, exec_lo, s40
	s_cbranch_execz .LBB6_10067
; %bb.9293:                             ;   in Loop: Header=BB6_8809 Depth=2
	v_cmp_eq_u16_sdwa s41, v93, v44 src0_sel:BYTE_0 src1_sel:DWORD
	s_mov_b32 s12, -1
	s_and_saveexec_b32 s40, s41
; %bb.9294:                             ;   in Loop: Header=BB6_8809 Depth=2
	s_xor_b32 s12, exec_lo, -1
; %bb.9295:                             ;   in Loop: Header=BB6_8809 Depth=2
	s_or_b32 exec_lo, exec_lo, s40
	s_and_b32 s12, s12, exec_lo
	s_or_saveexec_b32 s29, s29
	v_mov_b32_e32 v94, 0x7f800001
	s_xor_b32 exec_lo, exec_lo, s29
	s_cbranch_execnz .LBB6_10068
.LBB6_9296:                             ;   in Loop: Header=BB6_8809 Depth=2
	s_or_b32 exec_lo, exec_lo, s29
	s_and_saveexec_b32 s29, s12
	s_cbranch_execz .LBB6_9298
.LBB6_9297:                             ;   in Loop: Header=BB6_8809 Depth=2
	v_and_b32_e32 v2, 3, v93
	v_lshrrev_b16 v42, 2, v93
	v_ffbh_u32_e32 v3, v2
	v_and_b32_e32 v42, 31, v42
	v_min_u32_e32 v3, 32, v3
	v_cmp_eq_u32_e32 vcc_lo, 0, v42
	v_subrev_nc_u32_e32 v94, 29, v3
	v_sub_nc_u32_e32 v3, 30, v3
	v_lshlrev_b32_e32 v94, v94, v93
	v_lshlrev_b32_e32 v93, 24, v93
	v_cndmask_b32_e32 v3, v42, v3, vcc_lo
	v_and_b32_e32 v94, 3, v94
	v_and_b32_e32 v42, 0x80000000, v93
	v_lshl_add_u32 v3, v3, 23, 0x37800000
	v_cndmask_b32_e32 v2, v2, v94, vcc_lo
	v_lshlrev_b32_e32 v2, 21, v2
	v_or3_b32 v94, v42, v3, v2
.LBB6_9298:                             ;   in Loop: Header=BB6_8809 Depth=2
	s_or_b32 exec_lo, exec_lo, s29
	s_waitcnt vmcnt(18) lgkmcnt(18)
	v_cmp_gt_i16_sdwa s29, v76, v43 src0_sel:BYTE_0 src1_sel:DWORD
	s_mov_b32 s12, 0
	s_and_saveexec_b32 s40, s29
	s_xor_b32 s29, exec_lo, s40
	s_cbranch_execz .LBB6_10069
; %bb.9299:                             ;   in Loop: Header=BB6_8809 Depth=2
	v_cmp_eq_u16_sdwa s41, v76, v44 src0_sel:BYTE_0 src1_sel:DWORD
	s_mov_b32 s12, -1
	s_and_saveexec_b32 s40, s41
; %bb.9300:                             ;   in Loop: Header=BB6_8809 Depth=2
	s_xor_b32 s12, exec_lo, -1
; %bb.9301:                             ;   in Loop: Header=BB6_8809 Depth=2
	s_or_b32 exec_lo, exec_lo, s40
	s_and_b32 s12, s12, exec_lo
	s_or_saveexec_b32 s29, s29
	v_mov_b32_e32 v2, 0x7f800001
	s_xor_b32 exec_lo, exec_lo, s29
	s_cbranch_execnz .LBB6_10070
.LBB6_9302:                             ;   in Loop: Header=BB6_8809 Depth=2
	s_or_b32 exec_lo, exec_lo, s29
	s_and_saveexec_b32 s29, s12
	s_cbranch_execz .LBB6_9304
.LBB6_9303:                             ;   in Loop: Header=BB6_8809 Depth=2
	v_and_b32_e32 v2, 3, v76
	v_lshrrev_b16 v42, 2, v76
	v_ffbh_u32_e32 v3, v2
	v_and_b32_e32 v42, 31, v42
	v_min_u32_e32 v3, 32, v3
	v_cmp_eq_u32_e32 vcc_lo, 0, v42
	v_subrev_nc_u32_e32 v93, 29, v3
	v_sub_nc_u32_e32 v3, 30, v3
	v_lshlrev_b32_e32 v93, v93, v76
	v_lshlrev_b32_e32 v76, 24, v76
	v_cndmask_b32_e32 v3, v42, v3, vcc_lo
	v_and_b32_e32 v93, 3, v93
	v_and_b32_e32 v42, 0x80000000, v76
	v_lshl_add_u32 v3, v3, 23, 0x37800000
	v_cndmask_b32_e32 v2, v2, v93, vcc_lo
	v_lshlrev_b32_e32 v2, 21, v2
	v_or3_b32 v2, v42, v3, v2
.LBB6_9304:                             ;   in Loop: Header=BB6_8809 Depth=2
	s_or_b32 exec_lo, exec_lo, s29
	v_max_f32_e32 v2, v2, v2
	v_max_f32_e32 v3, v94, v94
	v_min_f32_e32 v94, v3, v2
.LBB6_9305:                             ;   in Loop: Header=BB6_8809 Depth=2
	v_and_b32_e32 v2, 0x7f800000, v94
	s_waitcnt vmcnt(18) lgkmcnt(18)
	v_mov_b32_e32 v76, 0x80
	s_mov_b32 s29, exec_lo
	v_cmpx_ne_u32_e32 0x7f800000, v2
	s_cbranch_execz .LBB6_9313
; %bb.9306:                             ;   in Loop: Header=BB6_8809 Depth=2
	v_mov_b32_e32 v76, 0
	s_mov_b32 s40, exec_lo
	v_cmpx_ne_u32_e32 0, v94
	s_cbranch_execz .LBB6_9312
; %bb.9307:                             ;   in Loop: Header=BB6_8809 Depth=2
	v_bfe_u32 v2, v94, 23, 8
	v_and_b32_e32 v3, 0x7fffff, v94
	v_sub_nc_u32_e32 v42, 0x70, v2
	v_cmp_gt_u32_e32 vcc_lo, 0x71, v2
	v_or_b32_e32 v76, 0x800000, v3
	v_cndmask_b32_e32 v42, 0, v42, vcc_lo
	v_cmp_eq_u32_e32 vcc_lo, 0, v2
	v_add_nc_u32_e32 v2, 0xffffff91, v2
	v_cndmask_b32_e64 v42, v42, 0x6f, vcc_lo
	v_cndmask_b32_e32 v3, v76, v3, vcc_lo
	v_cndmask_b32_e64 v2, v2, 0xffffff92, vcc_lo
	v_lshl_add_u32 v76, 0x200000, v42, -1
	v_lshrrev_b32_e32 v93, v42, v3
	v_lshlrev_b32_e64 v104, v42, 0x100000
	v_and_b32_e32 v3, v76, v3
	v_bfe_u32 v95, v93, 21, 1
	v_cmp_eq_u32_e64 s12, v3, v104
	v_add_nc_u32_e32 v76, -1, v95
	v_lshrrev_b32_e32 v95, 23, v93
	v_cndmask_b32_e64 v3, 0, v76, s12
	s_mov_b32 s12, exec_lo
	v_add_nc_u32_e32 v76, v3, v93
	v_add_nc_u32_e32 v3, v42, v2
                                        ; implicit-def: $vgpr42
	v_and_b32_e32 v2, 0x1fffff, v76
	v_xor_b32_e32 v76, 1, v95
	v_add_nc_u32_e32 v2, v2, v93
	v_cmpx_ne_u32_e64 v3, v76
	s_xor_b32 s12, exec_lo, s12
; %bb.9308:                             ;   in Loop: Header=BB6_8809 Depth=2
	v_cmp_lt_u32_e32 vcc_lo, 0xffffff, v2
	v_sub_nc_u32_e32 v3, v3, v76
	v_cndmask_b32_e64 v76, 0, 1, vcc_lo
	v_add_co_ci_u32_e64 v42, null, 0, v3, vcc_lo
	v_lshrrev_b32_e32 v2, v76, v2
; %bb.9309:                             ;   in Loop: Header=BB6_8809 Depth=2
	s_andn2_saveexec_b32 s12, s12
; %bb.9310:                             ;   in Loop: Header=BB6_8809 Depth=2
	v_bfe_u32 v42, v2, 23, 1
; %bb.9311:                             ;   in Loop: Header=BB6_8809 Depth=2
	s_or_b32 exec_lo, exec_lo, s12
	v_lshrrev_b32_e32 v2, 21, v2
	v_cmp_gt_i32_e32 vcc_lo, 32, v42
	v_min_i32_e32 v3, 31, v42
	v_and_b32_sdwa v76, v94, v44 dst_sel:DWORD dst_unused:UNUSED_PAD src0_sel:BYTE_3 src1_sel:DWORD
	v_cndmask_b32_e32 v2, 3, v2, vcc_lo
	v_lshlrev_b32_e32 v3, 2, v3
	v_and_b32_e32 v93, 3, v2
	v_or_b32_e32 v2, v42, v2
	v_or3_b32 v3, v3, v76, v93
	v_cmp_ne_u32_e32 vcc_lo, 0, v2
	v_cndmask_b32_e32 v76, 0, v3, vcc_lo
.LBB6_9312:                             ;   in Loop: Header=BB6_8809 Depth=2
	s_or_b32 exec_lo, exec_lo, s40
.LBB6_9313:                             ;   in Loop: Header=BB6_8809 Depth=2
	s_or_b32 exec_lo, exec_lo, s29
	v_cmp_gt_i16_sdwa s29, v92, v43 src0_sel:BYTE_0 src1_sel:DWORD
	s_andn2_b32 vcc_lo, exec_lo, s27
	s_mov_b32 s12, -1
                                        ; implicit-def: $vgpr93
	s_cbranch_vccnz .LBB6_9327
; %bb.9314:                             ;   in Loop: Header=BB6_8809 Depth=2
	s_mov_b32 s12, 0
	s_and_saveexec_b32 s40, s29
	s_xor_b32 s29, exec_lo, s40
	s_cbranch_execz .LBB6_10071
; %bb.9315:                             ;   in Loop: Header=BB6_8809 Depth=2
	v_cmp_eq_u16_sdwa s41, v92, v44 src0_sel:BYTE_0 src1_sel:DWORD
	s_mov_b32 s12, -1
	s_and_saveexec_b32 s40, s41
; %bb.9316:                             ;   in Loop: Header=BB6_8809 Depth=2
	s_xor_b32 s12, exec_lo, -1
; %bb.9317:                             ;   in Loop: Header=BB6_8809 Depth=2
	s_or_b32 exec_lo, exec_lo, s40
	s_and_b32 s12, s12, exec_lo
	s_or_saveexec_b32 s29, s29
	v_mov_b32_e32 v93, 0x7f800001
	s_xor_b32 exec_lo, exec_lo, s29
	s_cbranch_execnz .LBB6_10072
.LBB6_9318:                             ;   in Loop: Header=BB6_8809 Depth=2
	s_or_b32 exec_lo, exec_lo, s29
	s_and_saveexec_b32 s29, s12
	s_cbranch_execz .LBB6_9320
.LBB6_9319:                             ;   in Loop: Header=BB6_8809 Depth=2
	v_and_b32_e32 v2, 3, v92
	v_lshrrev_b16 v42, 2, v92
	v_lshlrev_b32_e32 v94, 24, v92
	v_ffbh_u32_e32 v3, v2
	v_and_b32_e32 v42, 31, v42
	v_min_u32_e32 v3, 32, v3
	v_cmp_eq_u32_e32 vcc_lo, 0, v42
	v_subrev_nc_u32_e32 v93, 29, v3
	v_sub_nc_u32_e32 v3, 30, v3
	v_lshlrev_b32_e32 v93, v93, v92
	v_cndmask_b32_e32 v3, v42, v3, vcc_lo
	v_and_b32_e32 v42, 0x80000000, v94
	v_and_b32_e32 v93, 3, v93
	v_lshl_add_u32 v3, v3, 23, 0x37800000
	v_cndmask_b32_e32 v2, v2, v93, vcc_lo
	v_lshlrev_b32_e32 v2, 21, v2
	v_or3_b32 v93, v42, v3, v2
.LBB6_9320:                             ;   in Loop: Header=BB6_8809 Depth=2
	s_or_b32 exec_lo, exec_lo, s29
	s_waitcnt vmcnt(17) lgkmcnt(17)
	v_cmp_gt_i16_sdwa s29, v79, v43 src0_sel:BYTE_0 src1_sel:DWORD
	s_mov_b32 s12, 0
	s_and_saveexec_b32 s40, s29
	s_xor_b32 s29, exec_lo, s40
	s_cbranch_execz .LBB6_10073
; %bb.9321:                             ;   in Loop: Header=BB6_8809 Depth=2
	v_cmp_eq_u16_sdwa s41, v79, v44 src0_sel:BYTE_0 src1_sel:DWORD
	s_mov_b32 s12, -1
	s_and_saveexec_b32 s40, s41
; %bb.9322:                             ;   in Loop: Header=BB6_8809 Depth=2
	s_xor_b32 s12, exec_lo, -1
; %bb.9323:                             ;   in Loop: Header=BB6_8809 Depth=2
	s_or_b32 exec_lo, exec_lo, s40
	s_and_b32 s12, s12, exec_lo
	s_or_saveexec_b32 s29, s29
	v_mov_b32_e32 v2, 0x7f800001
	s_xor_b32 exec_lo, exec_lo, s29
	s_cbranch_execnz .LBB6_10074
.LBB6_9324:                             ;   in Loop: Header=BB6_8809 Depth=2
	s_or_b32 exec_lo, exec_lo, s29
	s_and_saveexec_b32 s29, s12
	s_cbranch_execz .LBB6_9326
.LBB6_9325:                             ;   in Loop: Header=BB6_8809 Depth=2
	v_and_b32_e32 v2, 3, v79
	v_lshrrev_b16 v42, 2, v79
	v_lshlrev_b32_e32 v95, 24, v79
	v_ffbh_u32_e32 v3, v2
	v_and_b32_e32 v42, 31, v42
	v_min_u32_e32 v3, 32, v3
	v_cmp_eq_u32_e32 vcc_lo, 0, v42
	v_subrev_nc_u32_e32 v94, 29, v3
	v_sub_nc_u32_e32 v3, 30, v3
	v_lshlrev_b32_e32 v94, v94, v79
	v_cndmask_b32_e32 v3, v42, v3, vcc_lo
	v_and_b32_e32 v42, 0x80000000, v95
	v_and_b32_e32 v94, 3, v94
	v_lshl_add_u32 v3, v3, 23, 0x37800000
	v_cndmask_b32_e32 v2, v2, v94, vcc_lo
	v_lshlrev_b32_e32 v2, 21, v2
	v_or3_b32 v2, v42, v3, v2
.LBB6_9326:                             ;   in Loop: Header=BB6_8809 Depth=2
	s_or_b32 exec_lo, exec_lo, s29
	v_max_f32_e32 v2, v2, v2
	v_max_f32_e32 v3, v93, v93
	s_mov_b32 s12, 0
	v_max_f32_e32 v93, v3, v2
.LBB6_9327:                             ;   in Loop: Header=BB6_8809 Depth=2
	s_and_b32 vcc_lo, exec_lo, s12
	s_cbranch_vccz .LBB6_9341
; %bb.9328:                             ;   in Loop: Header=BB6_8809 Depth=2
	v_cmp_gt_i16_sdwa s29, v92, v43 src0_sel:BYTE_0 src1_sel:DWORD
	s_mov_b32 s12, 0
	s_and_saveexec_b32 s40, s29
	s_xor_b32 s29, exec_lo, s40
	s_cbranch_execz .LBB6_10075
; %bb.9329:                             ;   in Loop: Header=BB6_8809 Depth=2
	v_cmp_eq_u16_sdwa s41, v92, v44 src0_sel:BYTE_0 src1_sel:DWORD
	s_mov_b32 s12, -1
	s_and_saveexec_b32 s40, s41
; %bb.9330:                             ;   in Loop: Header=BB6_8809 Depth=2
	s_xor_b32 s12, exec_lo, -1
; %bb.9331:                             ;   in Loop: Header=BB6_8809 Depth=2
	s_or_b32 exec_lo, exec_lo, s40
	s_and_b32 s12, s12, exec_lo
	s_or_saveexec_b32 s29, s29
	v_mov_b32_e32 v93, 0x7f800001
	s_xor_b32 exec_lo, exec_lo, s29
	s_cbranch_execnz .LBB6_10076
.LBB6_9332:                             ;   in Loop: Header=BB6_8809 Depth=2
	s_or_b32 exec_lo, exec_lo, s29
	s_and_saveexec_b32 s29, s12
	s_cbranch_execz .LBB6_9334
.LBB6_9333:                             ;   in Loop: Header=BB6_8809 Depth=2
	v_and_b32_e32 v2, 3, v92
	v_lshrrev_b16 v42, 2, v92
	v_ffbh_u32_e32 v3, v2
	v_and_b32_e32 v42, 31, v42
	v_min_u32_e32 v3, 32, v3
	v_cmp_eq_u32_e32 vcc_lo, 0, v42
	v_subrev_nc_u32_e32 v93, 29, v3
	v_sub_nc_u32_e32 v3, 30, v3
	v_lshlrev_b32_e32 v93, v93, v92
	v_lshlrev_b32_e32 v92, 24, v92
	v_cndmask_b32_e32 v3, v42, v3, vcc_lo
	v_and_b32_e32 v93, 3, v93
	v_and_b32_e32 v42, 0x80000000, v92
	v_lshl_add_u32 v3, v3, 23, 0x37800000
	v_cndmask_b32_e32 v2, v2, v93, vcc_lo
	v_lshlrev_b32_e32 v2, 21, v2
	v_or3_b32 v93, v42, v3, v2
.LBB6_9334:                             ;   in Loop: Header=BB6_8809 Depth=2
	s_or_b32 exec_lo, exec_lo, s29
	s_waitcnt vmcnt(17) lgkmcnt(17)
	v_cmp_gt_i16_sdwa s29, v79, v43 src0_sel:BYTE_0 src1_sel:DWORD
	s_mov_b32 s12, 0
	s_and_saveexec_b32 s40, s29
	s_xor_b32 s29, exec_lo, s40
	s_cbranch_execz .LBB6_10077
; %bb.9335:                             ;   in Loop: Header=BB6_8809 Depth=2
	v_cmp_eq_u16_sdwa s41, v79, v44 src0_sel:BYTE_0 src1_sel:DWORD
	s_mov_b32 s12, -1
	s_and_saveexec_b32 s40, s41
; %bb.9336:                             ;   in Loop: Header=BB6_8809 Depth=2
	s_xor_b32 s12, exec_lo, -1
; %bb.9337:                             ;   in Loop: Header=BB6_8809 Depth=2
	s_or_b32 exec_lo, exec_lo, s40
	s_and_b32 s12, s12, exec_lo
	s_or_saveexec_b32 s29, s29
	v_mov_b32_e32 v2, 0x7f800001
	s_xor_b32 exec_lo, exec_lo, s29
	s_cbranch_execnz .LBB6_10078
.LBB6_9338:                             ;   in Loop: Header=BB6_8809 Depth=2
	s_or_b32 exec_lo, exec_lo, s29
	s_and_saveexec_b32 s29, s12
	s_cbranch_execz .LBB6_9340
.LBB6_9339:                             ;   in Loop: Header=BB6_8809 Depth=2
	v_and_b32_e32 v2, 3, v79
	v_lshrrev_b16 v42, 2, v79
	v_ffbh_u32_e32 v3, v2
	v_and_b32_e32 v42, 31, v42
	v_min_u32_e32 v3, 32, v3
	v_cmp_eq_u32_e32 vcc_lo, 0, v42
	v_subrev_nc_u32_e32 v92, 29, v3
	v_sub_nc_u32_e32 v3, 30, v3
	v_lshlrev_b32_e32 v92, v92, v79
	v_lshlrev_b32_e32 v79, 24, v79
	v_cndmask_b32_e32 v3, v42, v3, vcc_lo
	v_and_b32_e32 v92, 3, v92
	v_and_b32_e32 v42, 0x80000000, v79
	v_lshl_add_u32 v3, v3, 23, 0x37800000
	v_cndmask_b32_e32 v2, v2, v92, vcc_lo
	v_lshlrev_b32_e32 v2, 21, v2
	v_or3_b32 v2, v42, v3, v2
.LBB6_9340:                             ;   in Loop: Header=BB6_8809 Depth=2
	s_or_b32 exec_lo, exec_lo, s29
	v_max_f32_e32 v2, v2, v2
	v_max_f32_e32 v3, v93, v93
	v_min_f32_e32 v93, v3, v2
.LBB6_9341:                             ;   in Loop: Header=BB6_8809 Depth=2
	v_and_b32_e32 v2, 0x7f800000, v93
	s_waitcnt vmcnt(17) lgkmcnt(17)
	v_mov_b32_e32 v79, 0x80
	s_mov_b32 s29, exec_lo
	v_cmpx_ne_u32_e32 0x7f800000, v2
	s_cbranch_execz .LBB6_9349
; %bb.9342:                             ;   in Loop: Header=BB6_8809 Depth=2
	v_mov_b32_e32 v79, 0
	s_mov_b32 s40, exec_lo
	v_cmpx_ne_u32_e32 0, v93
	s_cbranch_execz .LBB6_9348
; %bb.9343:                             ;   in Loop: Header=BB6_8809 Depth=2
	v_bfe_u32 v2, v93, 23, 8
	v_and_b32_e32 v3, 0x7fffff, v93
	v_sub_nc_u32_e32 v42, 0x70, v2
	v_cmp_gt_u32_e32 vcc_lo, 0x71, v2
	v_or_b32_e32 v79, 0x800000, v3
	v_cndmask_b32_e32 v42, 0, v42, vcc_lo
	v_cmp_eq_u32_e32 vcc_lo, 0, v2
	v_add_nc_u32_e32 v2, 0xffffff91, v2
	v_cndmask_b32_e64 v42, v42, 0x6f, vcc_lo
	v_cndmask_b32_e32 v3, v79, v3, vcc_lo
	v_cndmask_b32_e64 v2, v2, 0xffffff92, vcc_lo
	v_lshl_add_u32 v79, 0x200000, v42, -1
	v_lshrrev_b32_e32 v92, v42, v3
	v_lshlrev_b32_e64 v95, v42, 0x100000
	v_and_b32_e32 v3, v79, v3
	v_bfe_u32 v94, v92, 21, 1
	v_cmp_eq_u32_e64 s12, v3, v95
	v_add_nc_u32_e32 v79, -1, v94
	v_lshrrev_b32_e32 v94, 23, v92
	v_cndmask_b32_e64 v3, 0, v79, s12
	s_mov_b32 s12, exec_lo
	v_add_nc_u32_e32 v79, v3, v92
	v_add_nc_u32_e32 v3, v42, v2
                                        ; implicit-def: $vgpr42
	v_and_b32_e32 v2, 0x1fffff, v79
	v_xor_b32_e32 v79, 1, v94
	v_add_nc_u32_e32 v2, v2, v92
	v_cmpx_ne_u32_e64 v3, v79
	s_xor_b32 s12, exec_lo, s12
; %bb.9344:                             ;   in Loop: Header=BB6_8809 Depth=2
	v_cmp_lt_u32_e32 vcc_lo, 0xffffff, v2
	v_sub_nc_u32_e32 v3, v3, v79
	v_cndmask_b32_e64 v79, 0, 1, vcc_lo
	v_add_co_ci_u32_e64 v42, null, 0, v3, vcc_lo
	v_lshrrev_b32_e32 v2, v79, v2
; %bb.9345:                             ;   in Loop: Header=BB6_8809 Depth=2
	s_andn2_saveexec_b32 s12, s12
; %bb.9346:                             ;   in Loop: Header=BB6_8809 Depth=2
	v_bfe_u32 v42, v2, 23, 1
; %bb.9347:                             ;   in Loop: Header=BB6_8809 Depth=2
	s_or_b32 exec_lo, exec_lo, s12
	v_lshrrev_b32_e32 v2, 21, v2
	v_cmp_gt_i32_e32 vcc_lo, 32, v42
	v_min_i32_e32 v3, 31, v42
	v_and_b32_sdwa v79, v93, v44 dst_sel:DWORD dst_unused:UNUSED_PAD src0_sel:BYTE_3 src1_sel:DWORD
	v_cndmask_b32_e32 v2, 3, v2, vcc_lo
	v_lshlrev_b32_e32 v3, 2, v3
	v_and_b32_e32 v92, 3, v2
	v_or_b32_e32 v2, v42, v2
	v_or3_b32 v3, v3, v79, v92
	v_cmp_ne_u32_e32 vcc_lo, 0, v2
	v_cndmask_b32_e32 v79, 0, v3, vcc_lo
.LBB6_9348:                             ;   in Loop: Header=BB6_8809 Depth=2
	s_or_b32 exec_lo, exec_lo, s40
.LBB6_9349:                             ;   in Loop: Header=BB6_8809 Depth=2
	s_or_b32 exec_lo, exec_lo, s29
	v_cmp_gt_i16_sdwa s29, v91, v43 src0_sel:BYTE_0 src1_sel:DWORD
	s_andn2_b32 vcc_lo, exec_lo, s27
	s_mov_b32 s12, -1
                                        ; implicit-def: $vgpr92
	s_cbranch_vccnz .LBB6_9363
; %bb.9350:                             ;   in Loop: Header=BB6_8809 Depth=2
	s_mov_b32 s12, 0
	s_and_saveexec_b32 s40, s29
	s_xor_b32 s29, exec_lo, s40
	s_cbranch_execz .LBB6_10079
; %bb.9351:                             ;   in Loop: Header=BB6_8809 Depth=2
	v_cmp_eq_u16_sdwa s41, v91, v44 src0_sel:BYTE_0 src1_sel:DWORD
	s_mov_b32 s12, -1
	s_and_saveexec_b32 s40, s41
; %bb.9352:                             ;   in Loop: Header=BB6_8809 Depth=2
	s_xor_b32 s12, exec_lo, -1
; %bb.9353:                             ;   in Loop: Header=BB6_8809 Depth=2
	s_or_b32 exec_lo, exec_lo, s40
	s_and_b32 s12, s12, exec_lo
	s_or_saveexec_b32 s29, s29
	v_mov_b32_e32 v92, 0x7f800001
	s_xor_b32 exec_lo, exec_lo, s29
	s_cbranch_execnz .LBB6_10080
.LBB6_9354:                             ;   in Loop: Header=BB6_8809 Depth=2
	s_or_b32 exec_lo, exec_lo, s29
	s_and_saveexec_b32 s29, s12
	s_cbranch_execz .LBB6_9356
.LBB6_9355:                             ;   in Loop: Header=BB6_8809 Depth=2
	v_and_b32_e32 v2, 3, v91
	v_lshrrev_b16 v42, 2, v91
	v_lshlrev_b32_e32 v93, 24, v91
	v_ffbh_u32_e32 v3, v2
	v_and_b32_e32 v42, 31, v42
	v_min_u32_e32 v3, 32, v3
	v_cmp_eq_u32_e32 vcc_lo, 0, v42
	v_subrev_nc_u32_e32 v92, 29, v3
	v_sub_nc_u32_e32 v3, 30, v3
	v_lshlrev_b32_e32 v92, v92, v91
	v_cndmask_b32_e32 v3, v42, v3, vcc_lo
	v_and_b32_e32 v42, 0x80000000, v93
	v_and_b32_e32 v92, 3, v92
	v_lshl_add_u32 v3, v3, 23, 0x37800000
	v_cndmask_b32_e32 v2, v2, v92, vcc_lo
	v_lshlrev_b32_e32 v2, 21, v2
	v_or3_b32 v92, v42, v3, v2
.LBB6_9356:                             ;   in Loop: Header=BB6_8809 Depth=2
	s_or_b32 exec_lo, exec_lo, s29
	s_waitcnt vmcnt(16) lgkmcnt(16)
	v_cmp_gt_i16_sdwa s29, v90, v43 src0_sel:BYTE_0 src1_sel:DWORD
	s_mov_b32 s12, 0
	s_and_saveexec_b32 s40, s29
	s_xor_b32 s29, exec_lo, s40
	s_cbranch_execz .LBB6_10081
; %bb.9357:                             ;   in Loop: Header=BB6_8809 Depth=2
	v_cmp_eq_u16_sdwa s41, v90, v44 src0_sel:BYTE_0 src1_sel:DWORD
	s_mov_b32 s12, -1
	s_and_saveexec_b32 s40, s41
; %bb.9358:                             ;   in Loop: Header=BB6_8809 Depth=2
	s_xor_b32 s12, exec_lo, -1
; %bb.9359:                             ;   in Loop: Header=BB6_8809 Depth=2
	s_or_b32 exec_lo, exec_lo, s40
	s_and_b32 s12, s12, exec_lo
	s_or_saveexec_b32 s29, s29
	v_mov_b32_e32 v2, 0x7f800001
	s_xor_b32 exec_lo, exec_lo, s29
	s_cbranch_execnz .LBB6_10082
.LBB6_9360:                             ;   in Loop: Header=BB6_8809 Depth=2
	s_or_b32 exec_lo, exec_lo, s29
	s_and_saveexec_b32 s29, s12
	s_cbranch_execz .LBB6_9362
.LBB6_9361:                             ;   in Loop: Header=BB6_8809 Depth=2
	v_and_b32_e32 v2, 3, v90
	v_lshrrev_b16 v42, 2, v90
	v_lshlrev_b32_e32 v94, 24, v90
	v_ffbh_u32_e32 v3, v2
	v_and_b32_e32 v42, 31, v42
	v_min_u32_e32 v3, 32, v3
	v_cmp_eq_u32_e32 vcc_lo, 0, v42
	v_subrev_nc_u32_e32 v93, 29, v3
	v_sub_nc_u32_e32 v3, 30, v3
	v_lshlrev_b32_e32 v93, v93, v90
	v_cndmask_b32_e32 v3, v42, v3, vcc_lo
	v_and_b32_e32 v42, 0x80000000, v94
	v_and_b32_e32 v93, 3, v93
	v_lshl_add_u32 v3, v3, 23, 0x37800000
	v_cndmask_b32_e32 v2, v2, v93, vcc_lo
	v_lshlrev_b32_e32 v2, 21, v2
	v_or3_b32 v2, v42, v3, v2
.LBB6_9362:                             ;   in Loop: Header=BB6_8809 Depth=2
	s_or_b32 exec_lo, exec_lo, s29
	v_max_f32_e32 v2, v2, v2
	v_max_f32_e32 v3, v92, v92
	s_mov_b32 s12, 0
	v_max_f32_e32 v92, v3, v2
.LBB6_9363:                             ;   in Loop: Header=BB6_8809 Depth=2
	s_and_b32 vcc_lo, exec_lo, s12
	s_cbranch_vccz .LBB6_9377
; %bb.9364:                             ;   in Loop: Header=BB6_8809 Depth=2
	v_cmp_gt_i16_sdwa s29, v91, v43 src0_sel:BYTE_0 src1_sel:DWORD
	s_mov_b32 s12, 0
	s_and_saveexec_b32 s40, s29
	s_xor_b32 s29, exec_lo, s40
	s_cbranch_execz .LBB6_10083
; %bb.9365:                             ;   in Loop: Header=BB6_8809 Depth=2
	v_cmp_eq_u16_sdwa s41, v91, v44 src0_sel:BYTE_0 src1_sel:DWORD
	s_mov_b32 s12, -1
	s_and_saveexec_b32 s40, s41
; %bb.9366:                             ;   in Loop: Header=BB6_8809 Depth=2
	s_xor_b32 s12, exec_lo, -1
; %bb.9367:                             ;   in Loop: Header=BB6_8809 Depth=2
	s_or_b32 exec_lo, exec_lo, s40
	s_and_b32 s12, s12, exec_lo
	s_or_saveexec_b32 s29, s29
	v_mov_b32_e32 v92, 0x7f800001
	s_xor_b32 exec_lo, exec_lo, s29
	s_cbranch_execnz .LBB6_10084
.LBB6_9368:                             ;   in Loop: Header=BB6_8809 Depth=2
	s_or_b32 exec_lo, exec_lo, s29
	s_and_saveexec_b32 s29, s12
	s_cbranch_execz .LBB6_9370
.LBB6_9369:                             ;   in Loop: Header=BB6_8809 Depth=2
	v_and_b32_e32 v2, 3, v91
	v_lshrrev_b16 v42, 2, v91
	v_ffbh_u32_e32 v3, v2
	v_and_b32_e32 v42, 31, v42
	v_min_u32_e32 v3, 32, v3
	v_cmp_eq_u32_e32 vcc_lo, 0, v42
	v_subrev_nc_u32_e32 v92, 29, v3
	v_sub_nc_u32_e32 v3, 30, v3
	v_lshlrev_b32_e32 v92, v92, v91
	v_lshlrev_b32_e32 v91, 24, v91
	v_cndmask_b32_e32 v3, v42, v3, vcc_lo
	v_and_b32_e32 v92, 3, v92
	v_and_b32_e32 v42, 0x80000000, v91
	v_lshl_add_u32 v3, v3, 23, 0x37800000
	v_cndmask_b32_e32 v2, v2, v92, vcc_lo
	v_lshlrev_b32_e32 v2, 21, v2
	v_or3_b32 v92, v42, v3, v2
.LBB6_9370:                             ;   in Loop: Header=BB6_8809 Depth=2
	s_or_b32 exec_lo, exec_lo, s29
	s_waitcnt vmcnt(16) lgkmcnt(16)
	v_cmp_gt_i16_sdwa s29, v90, v43 src0_sel:BYTE_0 src1_sel:DWORD
	s_mov_b32 s12, 0
	s_and_saveexec_b32 s40, s29
	s_xor_b32 s29, exec_lo, s40
	s_cbranch_execz .LBB6_10085
; %bb.9371:                             ;   in Loop: Header=BB6_8809 Depth=2
	v_cmp_eq_u16_sdwa s41, v90, v44 src0_sel:BYTE_0 src1_sel:DWORD
	s_mov_b32 s12, -1
	s_and_saveexec_b32 s40, s41
; %bb.9372:                             ;   in Loop: Header=BB6_8809 Depth=2
	s_xor_b32 s12, exec_lo, -1
; %bb.9373:                             ;   in Loop: Header=BB6_8809 Depth=2
	s_or_b32 exec_lo, exec_lo, s40
	s_and_b32 s12, s12, exec_lo
	s_or_saveexec_b32 s29, s29
	v_mov_b32_e32 v2, 0x7f800001
	s_xor_b32 exec_lo, exec_lo, s29
	s_cbranch_execnz .LBB6_10086
.LBB6_9374:                             ;   in Loop: Header=BB6_8809 Depth=2
	s_or_b32 exec_lo, exec_lo, s29
	s_and_saveexec_b32 s29, s12
	s_cbranch_execz .LBB6_9376
.LBB6_9375:                             ;   in Loop: Header=BB6_8809 Depth=2
	v_and_b32_e32 v2, 3, v90
	v_lshrrev_b16 v42, 2, v90
	v_ffbh_u32_e32 v3, v2
	v_and_b32_e32 v42, 31, v42
	v_min_u32_e32 v3, 32, v3
	v_cmp_eq_u32_e32 vcc_lo, 0, v42
	v_subrev_nc_u32_e32 v91, 29, v3
	v_sub_nc_u32_e32 v3, 30, v3
	v_lshlrev_b32_e32 v91, v91, v90
	v_lshlrev_b32_e32 v90, 24, v90
	v_cndmask_b32_e32 v3, v42, v3, vcc_lo
	v_and_b32_e32 v91, 3, v91
	v_and_b32_e32 v42, 0x80000000, v90
	v_lshl_add_u32 v3, v3, 23, 0x37800000
	v_cndmask_b32_e32 v2, v2, v91, vcc_lo
	v_lshlrev_b32_e32 v2, 21, v2
	v_or3_b32 v2, v42, v3, v2
.LBB6_9376:                             ;   in Loop: Header=BB6_8809 Depth=2
	s_or_b32 exec_lo, exec_lo, s29
	v_max_f32_e32 v2, v2, v2
	v_max_f32_e32 v3, v92, v92
	v_min_f32_e32 v92, v3, v2
.LBB6_9377:                             ;   in Loop: Header=BB6_8809 Depth=2
	v_and_b32_e32 v2, 0x7f800000, v92
	s_waitcnt vmcnt(16) lgkmcnt(16)
	v_mov_b32_e32 v90, 0x80
	s_mov_b32 s29, exec_lo
	v_cmpx_ne_u32_e32 0x7f800000, v2
	s_cbranch_execz .LBB6_9385
; %bb.9378:                             ;   in Loop: Header=BB6_8809 Depth=2
	v_mov_b32_e32 v90, 0
	s_mov_b32 s40, exec_lo
	v_cmpx_ne_u32_e32 0, v92
	s_cbranch_execz .LBB6_9384
; %bb.9379:                             ;   in Loop: Header=BB6_8809 Depth=2
	v_bfe_u32 v2, v92, 23, 8
	v_and_b32_e32 v3, 0x7fffff, v92
	v_sub_nc_u32_e32 v42, 0x70, v2
	v_cmp_gt_u32_e32 vcc_lo, 0x71, v2
	v_or_b32_e32 v90, 0x800000, v3
	v_cndmask_b32_e32 v42, 0, v42, vcc_lo
	v_cmp_eq_u32_e32 vcc_lo, 0, v2
	v_add_nc_u32_e32 v2, 0xffffff91, v2
	v_cndmask_b32_e64 v42, v42, 0x6f, vcc_lo
	v_cndmask_b32_e32 v3, v90, v3, vcc_lo
	v_cndmask_b32_e64 v2, v2, 0xffffff92, vcc_lo
	v_lshl_add_u32 v90, 0x200000, v42, -1
	v_lshrrev_b32_e32 v91, v42, v3
	v_lshlrev_b32_e64 v94, v42, 0x100000
	v_and_b32_e32 v3, v90, v3
	v_bfe_u32 v93, v91, 21, 1
	v_cmp_eq_u32_e64 s12, v3, v94
	v_add_nc_u32_e32 v90, -1, v93
	v_lshrrev_b32_e32 v93, 23, v91
	v_cndmask_b32_e64 v3, 0, v90, s12
	s_mov_b32 s12, exec_lo
	v_add_nc_u32_e32 v90, v3, v91
	v_add_nc_u32_e32 v3, v42, v2
                                        ; implicit-def: $vgpr42
	v_and_b32_e32 v2, 0x1fffff, v90
	v_xor_b32_e32 v90, 1, v93
	v_add_nc_u32_e32 v2, v2, v91
	v_cmpx_ne_u32_e64 v3, v90
	s_xor_b32 s12, exec_lo, s12
; %bb.9380:                             ;   in Loop: Header=BB6_8809 Depth=2
	v_cmp_lt_u32_e32 vcc_lo, 0xffffff, v2
	v_sub_nc_u32_e32 v3, v3, v90
	v_cndmask_b32_e64 v90, 0, 1, vcc_lo
	v_add_co_ci_u32_e64 v42, null, 0, v3, vcc_lo
	v_lshrrev_b32_e32 v2, v90, v2
; %bb.9381:                             ;   in Loop: Header=BB6_8809 Depth=2
	s_andn2_saveexec_b32 s12, s12
; %bb.9382:                             ;   in Loop: Header=BB6_8809 Depth=2
	v_bfe_u32 v42, v2, 23, 1
; %bb.9383:                             ;   in Loop: Header=BB6_8809 Depth=2
	s_or_b32 exec_lo, exec_lo, s12
	v_lshrrev_b32_e32 v2, 21, v2
	v_cmp_gt_i32_e32 vcc_lo, 32, v42
	v_min_i32_e32 v3, 31, v42
	v_and_b32_sdwa v90, v92, v44 dst_sel:DWORD dst_unused:UNUSED_PAD src0_sel:BYTE_3 src1_sel:DWORD
	v_cndmask_b32_e32 v2, 3, v2, vcc_lo
	v_lshlrev_b32_e32 v3, 2, v3
	v_and_b32_e32 v91, 3, v2
	v_or_b32_e32 v2, v42, v2
	v_or3_b32 v3, v3, v90, v91
	v_cmp_ne_u32_e32 vcc_lo, 0, v2
	v_cndmask_b32_e32 v90, 0, v3, vcc_lo
.LBB6_9384:                             ;   in Loop: Header=BB6_8809 Depth=2
	s_or_b32 exec_lo, exec_lo, s40
.LBB6_9385:                             ;   in Loop: Header=BB6_8809 Depth=2
	s_or_b32 exec_lo, exec_lo, s29
	v_cmp_gt_i16_sdwa s29, v89, v43 src0_sel:BYTE_0 src1_sel:DWORD
	s_andn2_b32 vcc_lo, exec_lo, s27
	s_mov_b32 s12, -1
                                        ; implicit-def: $vgpr91
	s_cbranch_vccnz .LBB6_9399
; %bb.9386:                             ;   in Loop: Header=BB6_8809 Depth=2
	s_mov_b32 s12, 0
	s_and_saveexec_b32 s40, s29
	s_xor_b32 s29, exec_lo, s40
	s_cbranch_execz .LBB6_10087
; %bb.9387:                             ;   in Loop: Header=BB6_8809 Depth=2
	v_cmp_eq_u16_sdwa s41, v89, v44 src0_sel:BYTE_0 src1_sel:DWORD
	s_mov_b32 s12, -1
	s_and_saveexec_b32 s40, s41
; %bb.9388:                             ;   in Loop: Header=BB6_8809 Depth=2
	s_xor_b32 s12, exec_lo, -1
; %bb.9389:                             ;   in Loop: Header=BB6_8809 Depth=2
	s_or_b32 exec_lo, exec_lo, s40
	s_and_b32 s12, s12, exec_lo
	s_or_saveexec_b32 s29, s29
	v_mov_b32_e32 v91, 0x7f800001
	s_xor_b32 exec_lo, exec_lo, s29
	s_cbranch_execnz .LBB6_10088
.LBB6_9390:                             ;   in Loop: Header=BB6_8809 Depth=2
	s_or_b32 exec_lo, exec_lo, s29
	s_and_saveexec_b32 s29, s12
	s_cbranch_execz .LBB6_9392
.LBB6_9391:                             ;   in Loop: Header=BB6_8809 Depth=2
	v_and_b32_e32 v2, 3, v89
	v_lshrrev_b16 v42, 2, v89
	v_lshlrev_b32_e32 v92, 24, v89
	v_ffbh_u32_e32 v3, v2
	v_and_b32_e32 v42, 31, v42
	v_min_u32_e32 v3, 32, v3
	v_cmp_eq_u32_e32 vcc_lo, 0, v42
	v_subrev_nc_u32_e32 v91, 29, v3
	v_sub_nc_u32_e32 v3, 30, v3
	v_lshlrev_b32_e32 v91, v91, v89
	v_cndmask_b32_e32 v3, v42, v3, vcc_lo
	v_and_b32_e32 v42, 0x80000000, v92
	v_and_b32_e32 v91, 3, v91
	v_lshl_add_u32 v3, v3, 23, 0x37800000
	v_cndmask_b32_e32 v2, v2, v91, vcc_lo
	v_lshlrev_b32_e32 v2, 21, v2
	v_or3_b32 v91, v42, v3, v2
.LBB6_9392:                             ;   in Loop: Header=BB6_8809 Depth=2
	s_or_b32 exec_lo, exec_lo, s29
	s_waitcnt vmcnt(15) lgkmcnt(15)
	v_cmp_gt_i16_sdwa s29, v88, v43 src0_sel:BYTE_0 src1_sel:DWORD
	s_mov_b32 s12, 0
	s_and_saveexec_b32 s40, s29
	s_xor_b32 s29, exec_lo, s40
	s_cbranch_execz .LBB6_10089
; %bb.9393:                             ;   in Loop: Header=BB6_8809 Depth=2
	v_cmp_eq_u16_sdwa s41, v88, v44 src0_sel:BYTE_0 src1_sel:DWORD
	s_mov_b32 s12, -1
	s_and_saveexec_b32 s40, s41
; %bb.9394:                             ;   in Loop: Header=BB6_8809 Depth=2
	s_xor_b32 s12, exec_lo, -1
; %bb.9395:                             ;   in Loop: Header=BB6_8809 Depth=2
	s_or_b32 exec_lo, exec_lo, s40
	s_and_b32 s12, s12, exec_lo
	s_or_saveexec_b32 s29, s29
	v_mov_b32_e32 v2, 0x7f800001
	s_xor_b32 exec_lo, exec_lo, s29
	s_cbranch_execnz .LBB6_10090
.LBB6_9396:                             ;   in Loop: Header=BB6_8809 Depth=2
	s_or_b32 exec_lo, exec_lo, s29
	s_and_saveexec_b32 s29, s12
	s_cbranch_execz .LBB6_9398
.LBB6_9397:                             ;   in Loop: Header=BB6_8809 Depth=2
	v_and_b32_e32 v2, 3, v88
	v_lshrrev_b16 v42, 2, v88
	v_lshlrev_b32_e32 v93, 24, v88
	v_ffbh_u32_e32 v3, v2
	v_and_b32_e32 v42, 31, v42
	v_min_u32_e32 v3, 32, v3
	v_cmp_eq_u32_e32 vcc_lo, 0, v42
	v_subrev_nc_u32_e32 v92, 29, v3
	v_sub_nc_u32_e32 v3, 30, v3
	v_lshlrev_b32_e32 v92, v92, v88
	v_cndmask_b32_e32 v3, v42, v3, vcc_lo
	v_and_b32_e32 v42, 0x80000000, v93
	v_and_b32_e32 v92, 3, v92
	v_lshl_add_u32 v3, v3, 23, 0x37800000
	v_cndmask_b32_e32 v2, v2, v92, vcc_lo
	v_lshlrev_b32_e32 v2, 21, v2
	v_or3_b32 v2, v42, v3, v2
.LBB6_9398:                             ;   in Loop: Header=BB6_8809 Depth=2
	s_or_b32 exec_lo, exec_lo, s29
	v_max_f32_e32 v2, v2, v2
	v_max_f32_e32 v3, v91, v91
	s_mov_b32 s12, 0
	v_max_f32_e32 v91, v3, v2
.LBB6_9399:                             ;   in Loop: Header=BB6_8809 Depth=2
	s_and_b32 vcc_lo, exec_lo, s12
	s_cbranch_vccz .LBB6_9413
; %bb.9400:                             ;   in Loop: Header=BB6_8809 Depth=2
	v_cmp_gt_i16_sdwa s29, v89, v43 src0_sel:BYTE_0 src1_sel:DWORD
	s_mov_b32 s12, 0
	s_and_saveexec_b32 s40, s29
	s_xor_b32 s29, exec_lo, s40
	s_cbranch_execz .LBB6_10091
; %bb.9401:                             ;   in Loop: Header=BB6_8809 Depth=2
	v_cmp_eq_u16_sdwa s41, v89, v44 src0_sel:BYTE_0 src1_sel:DWORD
	s_mov_b32 s12, -1
	s_and_saveexec_b32 s40, s41
; %bb.9402:                             ;   in Loop: Header=BB6_8809 Depth=2
	s_xor_b32 s12, exec_lo, -1
; %bb.9403:                             ;   in Loop: Header=BB6_8809 Depth=2
	s_or_b32 exec_lo, exec_lo, s40
	s_and_b32 s12, s12, exec_lo
	s_or_saveexec_b32 s29, s29
	v_mov_b32_e32 v91, 0x7f800001
	s_xor_b32 exec_lo, exec_lo, s29
	s_cbranch_execnz .LBB6_10092
.LBB6_9404:                             ;   in Loop: Header=BB6_8809 Depth=2
	s_or_b32 exec_lo, exec_lo, s29
	s_and_saveexec_b32 s29, s12
	s_cbranch_execz .LBB6_9406
.LBB6_9405:                             ;   in Loop: Header=BB6_8809 Depth=2
	v_and_b32_e32 v2, 3, v89
	v_lshrrev_b16 v42, 2, v89
	v_ffbh_u32_e32 v3, v2
	v_and_b32_e32 v42, 31, v42
	v_min_u32_e32 v3, 32, v3
	v_cmp_eq_u32_e32 vcc_lo, 0, v42
	v_subrev_nc_u32_e32 v91, 29, v3
	v_sub_nc_u32_e32 v3, 30, v3
	v_lshlrev_b32_e32 v91, v91, v89
	v_lshlrev_b32_e32 v89, 24, v89
	v_cndmask_b32_e32 v3, v42, v3, vcc_lo
	v_and_b32_e32 v91, 3, v91
	v_and_b32_e32 v42, 0x80000000, v89
	v_lshl_add_u32 v3, v3, 23, 0x37800000
	v_cndmask_b32_e32 v2, v2, v91, vcc_lo
	v_lshlrev_b32_e32 v2, 21, v2
	v_or3_b32 v91, v42, v3, v2
.LBB6_9406:                             ;   in Loop: Header=BB6_8809 Depth=2
	s_or_b32 exec_lo, exec_lo, s29
	s_waitcnt vmcnt(15) lgkmcnt(15)
	v_cmp_gt_i16_sdwa s29, v88, v43 src0_sel:BYTE_0 src1_sel:DWORD
	s_mov_b32 s12, 0
	s_and_saveexec_b32 s40, s29
	s_xor_b32 s29, exec_lo, s40
	s_cbranch_execz .LBB6_10093
; %bb.9407:                             ;   in Loop: Header=BB6_8809 Depth=2
	v_cmp_eq_u16_sdwa s41, v88, v44 src0_sel:BYTE_0 src1_sel:DWORD
	s_mov_b32 s12, -1
	s_and_saveexec_b32 s40, s41
; %bb.9408:                             ;   in Loop: Header=BB6_8809 Depth=2
	s_xor_b32 s12, exec_lo, -1
; %bb.9409:                             ;   in Loop: Header=BB6_8809 Depth=2
	s_or_b32 exec_lo, exec_lo, s40
	s_and_b32 s12, s12, exec_lo
	s_or_saveexec_b32 s29, s29
	v_mov_b32_e32 v2, 0x7f800001
	s_xor_b32 exec_lo, exec_lo, s29
	s_cbranch_execnz .LBB6_10094
.LBB6_9410:                             ;   in Loop: Header=BB6_8809 Depth=2
	s_or_b32 exec_lo, exec_lo, s29
	s_and_saveexec_b32 s29, s12
	s_cbranch_execz .LBB6_9412
.LBB6_9411:                             ;   in Loop: Header=BB6_8809 Depth=2
	v_and_b32_e32 v2, 3, v88
	v_lshrrev_b16 v42, 2, v88
	v_ffbh_u32_e32 v3, v2
	v_and_b32_e32 v42, 31, v42
	v_min_u32_e32 v3, 32, v3
	v_cmp_eq_u32_e32 vcc_lo, 0, v42
	v_subrev_nc_u32_e32 v89, 29, v3
	v_sub_nc_u32_e32 v3, 30, v3
	v_lshlrev_b32_e32 v89, v89, v88
	v_lshlrev_b32_e32 v88, 24, v88
	v_cndmask_b32_e32 v3, v42, v3, vcc_lo
	v_and_b32_e32 v89, 3, v89
	v_and_b32_e32 v42, 0x80000000, v88
	v_lshl_add_u32 v3, v3, 23, 0x37800000
	v_cndmask_b32_e32 v2, v2, v89, vcc_lo
	v_lshlrev_b32_e32 v2, 21, v2
	v_or3_b32 v2, v42, v3, v2
.LBB6_9412:                             ;   in Loop: Header=BB6_8809 Depth=2
	s_or_b32 exec_lo, exec_lo, s29
	v_max_f32_e32 v2, v2, v2
	v_max_f32_e32 v3, v91, v91
	v_min_f32_e32 v91, v3, v2
.LBB6_9413:                             ;   in Loop: Header=BB6_8809 Depth=2
	v_and_b32_e32 v2, 0x7f800000, v91
	s_waitcnt vmcnt(15) lgkmcnt(15)
	v_mov_b32_e32 v88, 0x80
	s_mov_b32 s29, exec_lo
	v_cmpx_ne_u32_e32 0x7f800000, v2
	s_cbranch_execz .LBB6_9421
; %bb.9414:                             ;   in Loop: Header=BB6_8809 Depth=2
	v_mov_b32_e32 v88, 0
	s_mov_b32 s40, exec_lo
	v_cmpx_ne_u32_e32 0, v91
	s_cbranch_execz .LBB6_9420
; %bb.9415:                             ;   in Loop: Header=BB6_8809 Depth=2
	v_bfe_u32 v2, v91, 23, 8
	v_and_b32_e32 v3, 0x7fffff, v91
	v_sub_nc_u32_e32 v42, 0x70, v2
	v_cmp_gt_u32_e32 vcc_lo, 0x71, v2
	v_or_b32_e32 v88, 0x800000, v3
	v_cndmask_b32_e32 v42, 0, v42, vcc_lo
	v_cmp_eq_u32_e32 vcc_lo, 0, v2
	v_add_nc_u32_e32 v2, 0xffffff91, v2
	v_cndmask_b32_e64 v42, v42, 0x6f, vcc_lo
	v_cndmask_b32_e32 v3, v88, v3, vcc_lo
	v_cndmask_b32_e64 v2, v2, 0xffffff92, vcc_lo
	v_lshl_add_u32 v88, 0x200000, v42, -1
	v_lshrrev_b32_e32 v89, v42, v3
	v_lshlrev_b32_e64 v93, v42, 0x100000
	v_and_b32_e32 v3, v88, v3
	v_bfe_u32 v92, v89, 21, 1
	v_cmp_eq_u32_e64 s12, v3, v93
	v_add_nc_u32_e32 v88, -1, v92
	v_lshrrev_b32_e32 v92, 23, v89
	v_cndmask_b32_e64 v3, 0, v88, s12
	s_mov_b32 s12, exec_lo
	v_add_nc_u32_e32 v88, v3, v89
	v_add_nc_u32_e32 v3, v42, v2
                                        ; implicit-def: $vgpr42
	v_and_b32_e32 v2, 0x1fffff, v88
	v_xor_b32_e32 v88, 1, v92
	v_add_nc_u32_e32 v2, v2, v89
	v_cmpx_ne_u32_e64 v3, v88
	s_xor_b32 s12, exec_lo, s12
; %bb.9416:                             ;   in Loop: Header=BB6_8809 Depth=2
	v_cmp_lt_u32_e32 vcc_lo, 0xffffff, v2
	v_sub_nc_u32_e32 v3, v3, v88
	v_cndmask_b32_e64 v88, 0, 1, vcc_lo
	v_add_co_ci_u32_e64 v42, null, 0, v3, vcc_lo
	v_lshrrev_b32_e32 v2, v88, v2
; %bb.9417:                             ;   in Loop: Header=BB6_8809 Depth=2
	s_andn2_saveexec_b32 s12, s12
; %bb.9418:                             ;   in Loop: Header=BB6_8809 Depth=2
	v_bfe_u32 v42, v2, 23, 1
; %bb.9419:                             ;   in Loop: Header=BB6_8809 Depth=2
	s_or_b32 exec_lo, exec_lo, s12
	v_lshrrev_b32_e32 v2, 21, v2
	v_cmp_gt_i32_e32 vcc_lo, 32, v42
	v_min_i32_e32 v3, 31, v42
	v_and_b32_sdwa v88, v91, v44 dst_sel:DWORD dst_unused:UNUSED_PAD src0_sel:BYTE_3 src1_sel:DWORD
	v_cndmask_b32_e32 v2, 3, v2, vcc_lo
	v_lshlrev_b32_e32 v3, 2, v3
	v_and_b32_e32 v89, 3, v2
	v_or_b32_e32 v2, v42, v2
	v_or3_b32 v3, v3, v88, v89
	v_cmp_ne_u32_e32 vcc_lo, 0, v2
	v_cndmask_b32_e32 v88, 0, v3, vcc_lo
.LBB6_9420:                             ;   in Loop: Header=BB6_8809 Depth=2
	s_or_b32 exec_lo, exec_lo, s40
.LBB6_9421:                             ;   in Loop: Header=BB6_8809 Depth=2
	s_or_b32 exec_lo, exec_lo, s29
	v_cmp_gt_i16_sdwa s29, v78, v43 src0_sel:BYTE_0 src1_sel:DWORD
	s_andn2_b32 vcc_lo, exec_lo, s27
	s_mov_b32 s12, -1
                                        ; implicit-def: $vgpr89
	s_cbranch_vccnz .LBB6_9435
; %bb.9422:                             ;   in Loop: Header=BB6_8809 Depth=2
	s_mov_b32 s12, 0
	s_and_saveexec_b32 s40, s29
	s_xor_b32 s29, exec_lo, s40
	s_cbranch_execz .LBB6_10095
; %bb.9423:                             ;   in Loop: Header=BB6_8809 Depth=2
	v_cmp_eq_u16_sdwa s41, v78, v44 src0_sel:BYTE_0 src1_sel:DWORD
	s_mov_b32 s12, -1
	s_and_saveexec_b32 s40, s41
; %bb.9424:                             ;   in Loop: Header=BB6_8809 Depth=2
	s_xor_b32 s12, exec_lo, -1
; %bb.9425:                             ;   in Loop: Header=BB6_8809 Depth=2
	s_or_b32 exec_lo, exec_lo, s40
	s_and_b32 s12, s12, exec_lo
	s_or_saveexec_b32 s29, s29
	v_mov_b32_e32 v89, 0x7f800001
	s_xor_b32 exec_lo, exec_lo, s29
	s_cbranch_execnz .LBB6_10096
.LBB6_9426:                             ;   in Loop: Header=BB6_8809 Depth=2
	s_or_b32 exec_lo, exec_lo, s29
	s_and_saveexec_b32 s29, s12
	s_cbranch_execz .LBB6_9428
.LBB6_9427:                             ;   in Loop: Header=BB6_8809 Depth=2
	v_and_b32_e32 v2, 3, v78
	v_lshrrev_b16 v42, 2, v78
	v_lshlrev_b32_e32 v91, 24, v78
	v_ffbh_u32_e32 v3, v2
	v_and_b32_e32 v42, 31, v42
	v_min_u32_e32 v3, 32, v3
	v_cmp_eq_u32_e32 vcc_lo, 0, v42
	v_subrev_nc_u32_e32 v89, 29, v3
	v_sub_nc_u32_e32 v3, 30, v3
	v_lshlrev_b32_e32 v89, v89, v78
	v_cndmask_b32_e32 v3, v42, v3, vcc_lo
	v_and_b32_e32 v42, 0x80000000, v91
	v_and_b32_e32 v89, 3, v89
	v_lshl_add_u32 v3, v3, 23, 0x37800000
	v_cndmask_b32_e32 v2, v2, v89, vcc_lo
	v_lshlrev_b32_e32 v2, 21, v2
	v_or3_b32 v89, v42, v3, v2
.LBB6_9428:                             ;   in Loop: Header=BB6_8809 Depth=2
	s_or_b32 exec_lo, exec_lo, s29
	s_waitcnt vmcnt(14) lgkmcnt(14)
	v_cmp_gt_i16_sdwa s29, v77, v43 src0_sel:BYTE_0 src1_sel:DWORD
	s_mov_b32 s12, 0
	s_and_saveexec_b32 s40, s29
	s_xor_b32 s29, exec_lo, s40
	s_cbranch_execz .LBB6_10097
; %bb.9429:                             ;   in Loop: Header=BB6_8809 Depth=2
	v_cmp_eq_u16_sdwa s41, v77, v44 src0_sel:BYTE_0 src1_sel:DWORD
	s_mov_b32 s12, -1
	s_and_saveexec_b32 s40, s41
; %bb.9430:                             ;   in Loop: Header=BB6_8809 Depth=2
	s_xor_b32 s12, exec_lo, -1
; %bb.9431:                             ;   in Loop: Header=BB6_8809 Depth=2
	s_or_b32 exec_lo, exec_lo, s40
	s_and_b32 s12, s12, exec_lo
	s_or_saveexec_b32 s29, s29
	v_mov_b32_e32 v2, 0x7f800001
	s_xor_b32 exec_lo, exec_lo, s29
	s_cbranch_execnz .LBB6_10098
.LBB6_9432:                             ;   in Loop: Header=BB6_8809 Depth=2
	s_or_b32 exec_lo, exec_lo, s29
	s_and_saveexec_b32 s29, s12
	s_cbranch_execz .LBB6_9434
.LBB6_9433:                             ;   in Loop: Header=BB6_8809 Depth=2
	v_and_b32_e32 v2, 3, v77
	v_lshrrev_b16 v42, 2, v77
	v_lshlrev_b32_e32 v92, 24, v77
	v_ffbh_u32_e32 v3, v2
	v_and_b32_e32 v42, 31, v42
	v_min_u32_e32 v3, 32, v3
	v_cmp_eq_u32_e32 vcc_lo, 0, v42
	v_subrev_nc_u32_e32 v91, 29, v3
	v_sub_nc_u32_e32 v3, 30, v3
	v_lshlrev_b32_e32 v91, v91, v77
	v_cndmask_b32_e32 v3, v42, v3, vcc_lo
	v_and_b32_e32 v42, 0x80000000, v92
	v_and_b32_e32 v91, 3, v91
	v_lshl_add_u32 v3, v3, 23, 0x37800000
	v_cndmask_b32_e32 v2, v2, v91, vcc_lo
	v_lshlrev_b32_e32 v2, 21, v2
	v_or3_b32 v2, v42, v3, v2
.LBB6_9434:                             ;   in Loop: Header=BB6_8809 Depth=2
	s_or_b32 exec_lo, exec_lo, s29
	v_max_f32_e32 v2, v2, v2
	v_max_f32_e32 v3, v89, v89
	s_mov_b32 s12, 0
	v_max_f32_e32 v89, v3, v2
.LBB6_9435:                             ;   in Loop: Header=BB6_8809 Depth=2
	s_and_b32 vcc_lo, exec_lo, s12
	s_cbranch_vccz .LBB6_9449
; %bb.9436:                             ;   in Loop: Header=BB6_8809 Depth=2
	v_cmp_gt_i16_sdwa s29, v78, v43 src0_sel:BYTE_0 src1_sel:DWORD
	s_mov_b32 s12, 0
	s_and_saveexec_b32 s40, s29
	s_xor_b32 s29, exec_lo, s40
	s_cbranch_execz .LBB6_10099
; %bb.9437:                             ;   in Loop: Header=BB6_8809 Depth=2
	v_cmp_eq_u16_sdwa s41, v78, v44 src0_sel:BYTE_0 src1_sel:DWORD
	s_mov_b32 s12, -1
	s_and_saveexec_b32 s40, s41
; %bb.9438:                             ;   in Loop: Header=BB6_8809 Depth=2
	s_xor_b32 s12, exec_lo, -1
; %bb.9439:                             ;   in Loop: Header=BB6_8809 Depth=2
	s_or_b32 exec_lo, exec_lo, s40
	s_and_b32 s12, s12, exec_lo
	s_or_saveexec_b32 s29, s29
	v_mov_b32_e32 v89, 0x7f800001
	s_xor_b32 exec_lo, exec_lo, s29
	s_cbranch_execnz .LBB6_10100
.LBB6_9440:                             ;   in Loop: Header=BB6_8809 Depth=2
	s_or_b32 exec_lo, exec_lo, s29
	s_and_saveexec_b32 s29, s12
	s_cbranch_execz .LBB6_9442
.LBB6_9441:                             ;   in Loop: Header=BB6_8809 Depth=2
	v_and_b32_e32 v2, 3, v78
	v_lshrrev_b16 v42, 2, v78
	v_ffbh_u32_e32 v3, v2
	v_and_b32_e32 v42, 31, v42
	v_min_u32_e32 v3, 32, v3
	v_cmp_eq_u32_e32 vcc_lo, 0, v42
	v_subrev_nc_u32_e32 v89, 29, v3
	v_sub_nc_u32_e32 v3, 30, v3
	v_lshlrev_b32_e32 v89, v89, v78
	v_lshlrev_b32_e32 v78, 24, v78
	v_cndmask_b32_e32 v3, v42, v3, vcc_lo
	v_and_b32_e32 v89, 3, v89
	v_and_b32_e32 v42, 0x80000000, v78
	v_lshl_add_u32 v3, v3, 23, 0x37800000
	v_cndmask_b32_e32 v2, v2, v89, vcc_lo
	v_lshlrev_b32_e32 v2, 21, v2
	v_or3_b32 v89, v42, v3, v2
.LBB6_9442:                             ;   in Loop: Header=BB6_8809 Depth=2
	s_or_b32 exec_lo, exec_lo, s29
	s_waitcnt vmcnt(14) lgkmcnt(14)
	v_cmp_gt_i16_sdwa s29, v77, v43 src0_sel:BYTE_0 src1_sel:DWORD
	s_mov_b32 s12, 0
	s_and_saveexec_b32 s40, s29
	s_xor_b32 s29, exec_lo, s40
	s_cbranch_execz .LBB6_10101
; %bb.9443:                             ;   in Loop: Header=BB6_8809 Depth=2
	v_cmp_eq_u16_sdwa s41, v77, v44 src0_sel:BYTE_0 src1_sel:DWORD
	s_mov_b32 s12, -1
	s_and_saveexec_b32 s40, s41
; %bb.9444:                             ;   in Loop: Header=BB6_8809 Depth=2
	s_xor_b32 s12, exec_lo, -1
; %bb.9445:                             ;   in Loop: Header=BB6_8809 Depth=2
	s_or_b32 exec_lo, exec_lo, s40
	s_and_b32 s12, s12, exec_lo
	s_or_saveexec_b32 s29, s29
	v_mov_b32_e32 v2, 0x7f800001
	s_xor_b32 exec_lo, exec_lo, s29
	s_cbranch_execnz .LBB6_10102
.LBB6_9446:                             ;   in Loop: Header=BB6_8809 Depth=2
	s_or_b32 exec_lo, exec_lo, s29
	s_and_saveexec_b32 s29, s12
	s_cbranch_execz .LBB6_9448
.LBB6_9447:                             ;   in Loop: Header=BB6_8809 Depth=2
	v_and_b32_e32 v2, 3, v77
	v_lshrrev_b16 v42, 2, v77
	v_ffbh_u32_e32 v3, v2
	v_and_b32_e32 v42, 31, v42
	v_min_u32_e32 v3, 32, v3
	v_cmp_eq_u32_e32 vcc_lo, 0, v42
	v_subrev_nc_u32_e32 v78, 29, v3
	v_sub_nc_u32_e32 v3, 30, v3
	v_lshlrev_b32_e32 v78, v78, v77
	v_lshlrev_b32_e32 v77, 24, v77
	v_cndmask_b32_e32 v3, v42, v3, vcc_lo
	v_and_b32_e32 v78, 3, v78
	v_and_b32_e32 v42, 0x80000000, v77
	v_lshl_add_u32 v3, v3, 23, 0x37800000
	v_cndmask_b32_e32 v2, v2, v78, vcc_lo
	v_lshlrev_b32_e32 v2, 21, v2
	v_or3_b32 v2, v42, v3, v2
.LBB6_9448:                             ;   in Loop: Header=BB6_8809 Depth=2
	s_or_b32 exec_lo, exec_lo, s29
	v_max_f32_e32 v2, v2, v2
	v_max_f32_e32 v3, v89, v89
	v_min_f32_e32 v89, v3, v2
.LBB6_9449:                             ;   in Loop: Header=BB6_8809 Depth=2
	v_and_b32_e32 v2, 0x7f800000, v89
	s_waitcnt vmcnt(14) lgkmcnt(14)
	v_mov_b32_e32 v77, 0x80
	s_mov_b32 s29, exec_lo
	v_cmpx_ne_u32_e32 0x7f800000, v2
	s_cbranch_execz .LBB6_9457
; %bb.9450:                             ;   in Loop: Header=BB6_8809 Depth=2
	v_mov_b32_e32 v77, 0
	s_mov_b32 s40, exec_lo
	v_cmpx_ne_u32_e32 0, v89
	s_cbranch_execz .LBB6_9456
; %bb.9451:                             ;   in Loop: Header=BB6_8809 Depth=2
	v_bfe_u32 v2, v89, 23, 8
	v_and_b32_e32 v3, 0x7fffff, v89
	v_sub_nc_u32_e32 v42, 0x70, v2
	v_cmp_gt_u32_e32 vcc_lo, 0x71, v2
	v_or_b32_e32 v77, 0x800000, v3
	v_cndmask_b32_e32 v42, 0, v42, vcc_lo
	v_cmp_eq_u32_e32 vcc_lo, 0, v2
	v_add_nc_u32_e32 v2, 0xffffff91, v2
	v_cndmask_b32_e64 v42, v42, 0x6f, vcc_lo
	v_cndmask_b32_e32 v3, v77, v3, vcc_lo
	v_cndmask_b32_e64 v2, v2, 0xffffff92, vcc_lo
	v_lshl_add_u32 v77, 0x200000, v42, -1
	v_lshrrev_b32_e32 v78, v42, v3
	v_lshlrev_b32_e64 v92, v42, 0x100000
	v_and_b32_e32 v3, v77, v3
	v_bfe_u32 v91, v78, 21, 1
	v_cmp_eq_u32_e64 s12, v3, v92
	v_add_nc_u32_e32 v77, -1, v91
	v_lshrrev_b32_e32 v91, 23, v78
	v_cndmask_b32_e64 v3, 0, v77, s12
	s_mov_b32 s12, exec_lo
	v_add_nc_u32_e32 v77, v3, v78
	v_add_nc_u32_e32 v3, v42, v2
                                        ; implicit-def: $vgpr42
	v_and_b32_e32 v2, 0x1fffff, v77
	v_xor_b32_e32 v77, 1, v91
	v_add_nc_u32_e32 v2, v2, v78
	v_cmpx_ne_u32_e64 v3, v77
	s_xor_b32 s12, exec_lo, s12
; %bb.9452:                             ;   in Loop: Header=BB6_8809 Depth=2
	v_cmp_lt_u32_e32 vcc_lo, 0xffffff, v2
	v_sub_nc_u32_e32 v3, v3, v77
	v_cndmask_b32_e64 v77, 0, 1, vcc_lo
	v_add_co_ci_u32_e64 v42, null, 0, v3, vcc_lo
	v_lshrrev_b32_e32 v2, v77, v2
; %bb.9453:                             ;   in Loop: Header=BB6_8809 Depth=2
	s_andn2_saveexec_b32 s12, s12
; %bb.9454:                             ;   in Loop: Header=BB6_8809 Depth=2
	v_bfe_u32 v42, v2, 23, 1
; %bb.9455:                             ;   in Loop: Header=BB6_8809 Depth=2
	s_or_b32 exec_lo, exec_lo, s12
	v_lshrrev_b32_e32 v2, 21, v2
	v_cmp_gt_i32_e32 vcc_lo, 32, v42
	v_min_i32_e32 v3, 31, v42
	v_and_b32_sdwa v77, v89, v44 dst_sel:DWORD dst_unused:UNUSED_PAD src0_sel:BYTE_3 src1_sel:DWORD
	v_cndmask_b32_e32 v2, 3, v2, vcc_lo
	v_lshlrev_b32_e32 v3, 2, v3
	v_and_b32_e32 v78, 3, v2
	v_or_b32_e32 v2, v42, v2
	v_or3_b32 v3, v3, v77, v78
	v_cmp_ne_u32_e32 vcc_lo, 0, v2
	v_cndmask_b32_e32 v77, 0, v3, vcc_lo
.LBB6_9456:                             ;   in Loop: Header=BB6_8809 Depth=2
	s_or_b32 exec_lo, exec_lo, s40
.LBB6_9457:                             ;   in Loop: Header=BB6_8809 Depth=2
	s_or_b32 exec_lo, exec_lo, s29
	v_cmp_gt_i16_sdwa s29, v75, v43 src0_sel:BYTE_0 src1_sel:DWORD
	s_andn2_b32 vcc_lo, exec_lo, s27
	s_mov_b32 s12, -1
                                        ; implicit-def: $vgpr78
	s_cbranch_vccnz .LBB6_9471
; %bb.9458:                             ;   in Loop: Header=BB6_8809 Depth=2
	s_mov_b32 s12, 0
	s_and_saveexec_b32 s40, s29
	s_xor_b32 s29, exec_lo, s40
	s_cbranch_execz .LBB6_10103
; %bb.9459:                             ;   in Loop: Header=BB6_8809 Depth=2
	v_cmp_eq_u16_sdwa s41, v75, v44 src0_sel:BYTE_0 src1_sel:DWORD
	s_mov_b32 s12, -1
	s_and_saveexec_b32 s40, s41
; %bb.9460:                             ;   in Loop: Header=BB6_8809 Depth=2
	s_xor_b32 s12, exec_lo, -1
; %bb.9461:                             ;   in Loop: Header=BB6_8809 Depth=2
	s_or_b32 exec_lo, exec_lo, s40
	s_and_b32 s12, s12, exec_lo
	s_or_saveexec_b32 s29, s29
	v_mov_b32_e32 v78, 0x7f800001
	s_xor_b32 exec_lo, exec_lo, s29
	s_cbranch_execnz .LBB6_10104
.LBB6_9462:                             ;   in Loop: Header=BB6_8809 Depth=2
	s_or_b32 exec_lo, exec_lo, s29
	s_and_saveexec_b32 s29, s12
	s_cbranch_execz .LBB6_9464
.LBB6_9463:                             ;   in Loop: Header=BB6_8809 Depth=2
	v_and_b32_e32 v2, 3, v75
	v_lshrrev_b16 v42, 2, v75
	v_lshlrev_b32_e32 v89, 24, v75
	v_ffbh_u32_e32 v3, v2
	v_and_b32_e32 v42, 31, v42
	v_min_u32_e32 v3, 32, v3
	v_cmp_eq_u32_e32 vcc_lo, 0, v42
	v_subrev_nc_u32_e32 v78, 29, v3
	v_sub_nc_u32_e32 v3, 30, v3
	v_lshlrev_b32_e32 v78, v78, v75
	v_cndmask_b32_e32 v3, v42, v3, vcc_lo
	v_and_b32_e32 v42, 0x80000000, v89
	v_and_b32_e32 v78, 3, v78
	v_lshl_add_u32 v3, v3, 23, 0x37800000
	v_cndmask_b32_e32 v2, v2, v78, vcc_lo
	v_lshlrev_b32_e32 v2, 21, v2
	v_or3_b32 v78, v42, v3, v2
.LBB6_9464:                             ;   in Loop: Header=BB6_8809 Depth=2
	s_or_b32 exec_lo, exec_lo, s29
	s_waitcnt vmcnt(13) lgkmcnt(13)
	v_cmp_gt_i16_sdwa s29, v74, v43 src0_sel:BYTE_0 src1_sel:DWORD
	s_mov_b32 s12, 0
	s_and_saveexec_b32 s40, s29
	s_xor_b32 s29, exec_lo, s40
	s_cbranch_execz .LBB6_10105
; %bb.9465:                             ;   in Loop: Header=BB6_8809 Depth=2
	v_cmp_eq_u16_sdwa s41, v74, v44 src0_sel:BYTE_0 src1_sel:DWORD
	s_mov_b32 s12, -1
	s_and_saveexec_b32 s40, s41
; %bb.9466:                             ;   in Loop: Header=BB6_8809 Depth=2
	s_xor_b32 s12, exec_lo, -1
; %bb.9467:                             ;   in Loop: Header=BB6_8809 Depth=2
	s_or_b32 exec_lo, exec_lo, s40
	s_and_b32 s12, s12, exec_lo
	s_or_saveexec_b32 s29, s29
	v_mov_b32_e32 v2, 0x7f800001
	s_xor_b32 exec_lo, exec_lo, s29
	s_cbranch_execnz .LBB6_10106
.LBB6_9468:                             ;   in Loop: Header=BB6_8809 Depth=2
	s_or_b32 exec_lo, exec_lo, s29
	s_and_saveexec_b32 s29, s12
	s_cbranch_execz .LBB6_9470
.LBB6_9469:                             ;   in Loop: Header=BB6_8809 Depth=2
	v_and_b32_e32 v2, 3, v74
	v_lshrrev_b16 v42, 2, v74
	v_lshlrev_b32_e32 v91, 24, v74
	v_ffbh_u32_e32 v3, v2
	v_and_b32_e32 v42, 31, v42
	v_min_u32_e32 v3, 32, v3
	v_cmp_eq_u32_e32 vcc_lo, 0, v42
	v_subrev_nc_u32_e32 v89, 29, v3
	v_sub_nc_u32_e32 v3, 30, v3
	v_lshlrev_b32_e32 v89, v89, v74
	v_cndmask_b32_e32 v3, v42, v3, vcc_lo
	v_and_b32_e32 v42, 0x80000000, v91
	v_and_b32_e32 v89, 3, v89
	v_lshl_add_u32 v3, v3, 23, 0x37800000
	v_cndmask_b32_e32 v2, v2, v89, vcc_lo
	v_lshlrev_b32_e32 v2, 21, v2
	v_or3_b32 v2, v42, v3, v2
.LBB6_9470:                             ;   in Loop: Header=BB6_8809 Depth=2
	s_or_b32 exec_lo, exec_lo, s29
	v_max_f32_e32 v2, v2, v2
	v_max_f32_e32 v3, v78, v78
	s_mov_b32 s12, 0
	v_max_f32_e32 v78, v3, v2
.LBB6_9471:                             ;   in Loop: Header=BB6_8809 Depth=2
	s_and_b32 vcc_lo, exec_lo, s12
	s_cbranch_vccz .LBB6_9485
; %bb.9472:                             ;   in Loop: Header=BB6_8809 Depth=2
	v_cmp_gt_i16_sdwa s29, v75, v43 src0_sel:BYTE_0 src1_sel:DWORD
	s_mov_b32 s12, 0
	s_and_saveexec_b32 s40, s29
	s_xor_b32 s29, exec_lo, s40
	s_cbranch_execz .LBB6_10107
; %bb.9473:                             ;   in Loop: Header=BB6_8809 Depth=2
	v_cmp_eq_u16_sdwa s41, v75, v44 src0_sel:BYTE_0 src1_sel:DWORD
	s_mov_b32 s12, -1
	s_and_saveexec_b32 s40, s41
; %bb.9474:                             ;   in Loop: Header=BB6_8809 Depth=2
	s_xor_b32 s12, exec_lo, -1
; %bb.9475:                             ;   in Loop: Header=BB6_8809 Depth=2
	s_or_b32 exec_lo, exec_lo, s40
	s_and_b32 s12, s12, exec_lo
	s_or_saveexec_b32 s29, s29
	v_mov_b32_e32 v78, 0x7f800001
	s_xor_b32 exec_lo, exec_lo, s29
	s_cbranch_execnz .LBB6_10108
.LBB6_9476:                             ;   in Loop: Header=BB6_8809 Depth=2
	s_or_b32 exec_lo, exec_lo, s29
	s_and_saveexec_b32 s29, s12
	s_cbranch_execz .LBB6_9478
.LBB6_9477:                             ;   in Loop: Header=BB6_8809 Depth=2
	v_and_b32_e32 v2, 3, v75
	v_lshrrev_b16 v42, 2, v75
	v_ffbh_u32_e32 v3, v2
	v_and_b32_e32 v42, 31, v42
	v_min_u32_e32 v3, 32, v3
	v_cmp_eq_u32_e32 vcc_lo, 0, v42
	v_subrev_nc_u32_e32 v78, 29, v3
	v_sub_nc_u32_e32 v3, 30, v3
	v_lshlrev_b32_e32 v78, v78, v75
	v_lshlrev_b32_e32 v75, 24, v75
	v_cndmask_b32_e32 v3, v42, v3, vcc_lo
	v_and_b32_e32 v78, 3, v78
	v_and_b32_e32 v42, 0x80000000, v75
	v_lshl_add_u32 v3, v3, 23, 0x37800000
	v_cndmask_b32_e32 v2, v2, v78, vcc_lo
	v_lshlrev_b32_e32 v2, 21, v2
	v_or3_b32 v78, v42, v3, v2
.LBB6_9478:                             ;   in Loop: Header=BB6_8809 Depth=2
	s_or_b32 exec_lo, exec_lo, s29
	s_waitcnt vmcnt(13) lgkmcnt(13)
	v_cmp_gt_i16_sdwa s29, v74, v43 src0_sel:BYTE_0 src1_sel:DWORD
	s_mov_b32 s12, 0
	s_and_saveexec_b32 s40, s29
	s_xor_b32 s29, exec_lo, s40
	s_cbranch_execz .LBB6_10109
; %bb.9479:                             ;   in Loop: Header=BB6_8809 Depth=2
	v_cmp_eq_u16_sdwa s41, v74, v44 src0_sel:BYTE_0 src1_sel:DWORD
	s_mov_b32 s12, -1
	s_and_saveexec_b32 s40, s41
; %bb.9480:                             ;   in Loop: Header=BB6_8809 Depth=2
	s_xor_b32 s12, exec_lo, -1
; %bb.9481:                             ;   in Loop: Header=BB6_8809 Depth=2
	s_or_b32 exec_lo, exec_lo, s40
	s_and_b32 s12, s12, exec_lo
	s_or_saveexec_b32 s29, s29
	v_mov_b32_e32 v2, 0x7f800001
	s_xor_b32 exec_lo, exec_lo, s29
	s_cbranch_execnz .LBB6_10110
.LBB6_9482:                             ;   in Loop: Header=BB6_8809 Depth=2
	s_or_b32 exec_lo, exec_lo, s29
	s_and_saveexec_b32 s29, s12
	s_cbranch_execz .LBB6_9484
.LBB6_9483:                             ;   in Loop: Header=BB6_8809 Depth=2
	v_and_b32_e32 v2, 3, v74
	v_lshrrev_b16 v42, 2, v74
	v_ffbh_u32_e32 v3, v2
	v_and_b32_e32 v42, 31, v42
	v_min_u32_e32 v3, 32, v3
	v_cmp_eq_u32_e32 vcc_lo, 0, v42
	v_subrev_nc_u32_e32 v75, 29, v3
	v_sub_nc_u32_e32 v3, 30, v3
	v_lshlrev_b32_e32 v75, v75, v74
	v_lshlrev_b32_e32 v74, 24, v74
	v_cndmask_b32_e32 v3, v42, v3, vcc_lo
	v_and_b32_e32 v75, 3, v75
	v_and_b32_e32 v42, 0x80000000, v74
	v_lshl_add_u32 v3, v3, 23, 0x37800000
	v_cndmask_b32_e32 v2, v2, v75, vcc_lo
	v_lshlrev_b32_e32 v2, 21, v2
	v_or3_b32 v2, v42, v3, v2
.LBB6_9484:                             ;   in Loop: Header=BB6_8809 Depth=2
	s_or_b32 exec_lo, exec_lo, s29
	v_max_f32_e32 v2, v2, v2
	v_max_f32_e32 v3, v78, v78
	v_min_f32_e32 v78, v3, v2
.LBB6_9485:                             ;   in Loop: Header=BB6_8809 Depth=2
	v_and_b32_e32 v2, 0x7f800000, v78
	s_waitcnt vmcnt(13) lgkmcnt(13)
	v_mov_b32_e32 v74, 0x80
	s_mov_b32 s29, exec_lo
	v_cmpx_ne_u32_e32 0x7f800000, v2
	s_cbranch_execz .LBB6_9493
; %bb.9486:                             ;   in Loop: Header=BB6_8809 Depth=2
	v_mov_b32_e32 v74, 0
	s_mov_b32 s40, exec_lo
	v_cmpx_ne_u32_e32 0, v78
	s_cbranch_execz .LBB6_9492
; %bb.9487:                             ;   in Loop: Header=BB6_8809 Depth=2
	v_bfe_u32 v2, v78, 23, 8
	v_and_b32_e32 v3, 0x7fffff, v78
	v_sub_nc_u32_e32 v42, 0x70, v2
	v_cmp_gt_u32_e32 vcc_lo, 0x71, v2
	v_or_b32_e32 v74, 0x800000, v3
	v_cndmask_b32_e32 v42, 0, v42, vcc_lo
	v_cmp_eq_u32_e32 vcc_lo, 0, v2
	v_add_nc_u32_e32 v2, 0xffffff91, v2
	v_cndmask_b32_e64 v42, v42, 0x6f, vcc_lo
	v_cndmask_b32_e32 v3, v74, v3, vcc_lo
	v_cndmask_b32_e64 v2, v2, 0xffffff92, vcc_lo
	v_lshl_add_u32 v74, 0x200000, v42, -1
	v_lshrrev_b32_e32 v75, v42, v3
	v_lshlrev_b32_e64 v91, v42, 0x100000
	v_and_b32_e32 v3, v74, v3
	v_bfe_u32 v89, v75, 21, 1
	v_cmp_eq_u32_e64 s12, v3, v91
	v_add_nc_u32_e32 v74, -1, v89
	v_lshrrev_b32_e32 v89, 23, v75
	v_cndmask_b32_e64 v3, 0, v74, s12
	s_mov_b32 s12, exec_lo
	v_add_nc_u32_e32 v74, v3, v75
	v_add_nc_u32_e32 v3, v42, v2
                                        ; implicit-def: $vgpr42
	v_and_b32_e32 v2, 0x1fffff, v74
	v_xor_b32_e32 v74, 1, v89
	v_add_nc_u32_e32 v2, v2, v75
	v_cmpx_ne_u32_e64 v3, v74
	s_xor_b32 s12, exec_lo, s12
; %bb.9488:                             ;   in Loop: Header=BB6_8809 Depth=2
	v_cmp_lt_u32_e32 vcc_lo, 0xffffff, v2
	v_sub_nc_u32_e32 v3, v3, v74
	v_cndmask_b32_e64 v74, 0, 1, vcc_lo
	v_add_co_ci_u32_e64 v42, null, 0, v3, vcc_lo
	v_lshrrev_b32_e32 v2, v74, v2
; %bb.9489:                             ;   in Loop: Header=BB6_8809 Depth=2
	s_andn2_saveexec_b32 s12, s12
; %bb.9490:                             ;   in Loop: Header=BB6_8809 Depth=2
	v_bfe_u32 v42, v2, 23, 1
; %bb.9491:                             ;   in Loop: Header=BB6_8809 Depth=2
	s_or_b32 exec_lo, exec_lo, s12
	v_lshrrev_b32_e32 v2, 21, v2
	v_cmp_gt_i32_e32 vcc_lo, 32, v42
	v_min_i32_e32 v3, 31, v42
	v_and_b32_sdwa v74, v78, v44 dst_sel:DWORD dst_unused:UNUSED_PAD src0_sel:BYTE_3 src1_sel:DWORD
	v_cndmask_b32_e32 v2, 3, v2, vcc_lo
	v_lshlrev_b32_e32 v3, 2, v3
	v_and_b32_e32 v75, 3, v2
	v_or_b32_e32 v2, v42, v2
	v_or3_b32 v3, v3, v74, v75
	v_cmp_ne_u32_e32 vcc_lo, 0, v2
	v_cndmask_b32_e32 v74, 0, v3, vcc_lo
.LBB6_9492:                             ;   in Loop: Header=BB6_8809 Depth=2
	s_or_b32 exec_lo, exec_lo, s40
.LBB6_9493:                             ;   in Loop: Header=BB6_8809 Depth=2
	s_or_b32 exec_lo, exec_lo, s29
	v_cmp_gt_i16_sdwa s29, v72, v43 src0_sel:BYTE_0 src1_sel:DWORD
	s_andn2_b32 vcc_lo, exec_lo, s27
	s_mov_b32 s12, -1
                                        ; implicit-def: $vgpr75
	s_cbranch_vccnz .LBB6_9507
; %bb.9494:                             ;   in Loop: Header=BB6_8809 Depth=2
	s_mov_b32 s12, 0
	s_and_saveexec_b32 s40, s29
	s_xor_b32 s29, exec_lo, s40
	s_cbranch_execz .LBB6_10111
; %bb.9495:                             ;   in Loop: Header=BB6_8809 Depth=2
	v_cmp_eq_u16_sdwa s41, v72, v44 src0_sel:BYTE_0 src1_sel:DWORD
	s_mov_b32 s12, -1
	s_and_saveexec_b32 s40, s41
; %bb.9496:                             ;   in Loop: Header=BB6_8809 Depth=2
	s_xor_b32 s12, exec_lo, -1
; %bb.9497:                             ;   in Loop: Header=BB6_8809 Depth=2
	s_or_b32 exec_lo, exec_lo, s40
	s_and_b32 s12, s12, exec_lo
	s_or_saveexec_b32 s29, s29
	v_mov_b32_e32 v75, 0x7f800001
	s_xor_b32 exec_lo, exec_lo, s29
	s_cbranch_execnz .LBB6_10112
.LBB6_9498:                             ;   in Loop: Header=BB6_8809 Depth=2
	s_or_b32 exec_lo, exec_lo, s29
	s_and_saveexec_b32 s29, s12
	s_cbranch_execz .LBB6_9500
.LBB6_9499:                             ;   in Loop: Header=BB6_8809 Depth=2
	v_and_b32_e32 v2, 3, v72
	v_lshrrev_b16 v42, 2, v72
	v_lshlrev_b32_e32 v78, 24, v72
	v_ffbh_u32_e32 v3, v2
	v_and_b32_e32 v42, 31, v42
	v_min_u32_e32 v3, 32, v3
	v_cmp_eq_u32_e32 vcc_lo, 0, v42
	v_subrev_nc_u32_e32 v75, 29, v3
	v_sub_nc_u32_e32 v3, 30, v3
	v_lshlrev_b32_e32 v75, v75, v72
	v_cndmask_b32_e32 v3, v42, v3, vcc_lo
	v_and_b32_e32 v42, 0x80000000, v78
	v_and_b32_e32 v75, 3, v75
	v_lshl_add_u32 v3, v3, 23, 0x37800000
	v_cndmask_b32_e32 v2, v2, v75, vcc_lo
	v_lshlrev_b32_e32 v2, 21, v2
	v_or3_b32 v75, v42, v3, v2
.LBB6_9500:                             ;   in Loop: Header=BB6_8809 Depth=2
	s_or_b32 exec_lo, exec_lo, s29
	s_waitcnt vmcnt(12) lgkmcnt(12)
	v_cmp_gt_i16_sdwa s29, v63, v43 src0_sel:BYTE_0 src1_sel:DWORD
	s_mov_b32 s12, 0
	s_and_saveexec_b32 s40, s29
	s_xor_b32 s29, exec_lo, s40
	s_cbranch_execz .LBB6_10113
; %bb.9501:                             ;   in Loop: Header=BB6_8809 Depth=2
	v_cmp_eq_u16_sdwa s41, v63, v44 src0_sel:BYTE_0 src1_sel:DWORD
	s_mov_b32 s12, -1
	s_and_saveexec_b32 s40, s41
; %bb.9502:                             ;   in Loop: Header=BB6_8809 Depth=2
	s_xor_b32 s12, exec_lo, -1
; %bb.9503:                             ;   in Loop: Header=BB6_8809 Depth=2
	s_or_b32 exec_lo, exec_lo, s40
	s_and_b32 s12, s12, exec_lo
	s_or_saveexec_b32 s29, s29
	v_mov_b32_e32 v2, 0x7f800001
	s_xor_b32 exec_lo, exec_lo, s29
	s_cbranch_execnz .LBB6_10114
.LBB6_9504:                             ;   in Loop: Header=BB6_8809 Depth=2
	s_or_b32 exec_lo, exec_lo, s29
	s_and_saveexec_b32 s29, s12
	s_cbranch_execz .LBB6_9506
.LBB6_9505:                             ;   in Loop: Header=BB6_8809 Depth=2
	v_and_b32_e32 v2, 3, v63
	v_lshrrev_b16 v42, 2, v63
	v_lshlrev_b32_e32 v89, 24, v63
	v_ffbh_u32_e32 v3, v2
	v_and_b32_e32 v42, 31, v42
	v_min_u32_e32 v3, 32, v3
	v_cmp_eq_u32_e32 vcc_lo, 0, v42
	v_subrev_nc_u32_e32 v78, 29, v3
	v_sub_nc_u32_e32 v3, 30, v3
	v_lshlrev_b32_e32 v78, v78, v63
	v_cndmask_b32_e32 v3, v42, v3, vcc_lo
	v_and_b32_e32 v42, 0x80000000, v89
	v_and_b32_e32 v78, 3, v78
	v_lshl_add_u32 v3, v3, 23, 0x37800000
	v_cndmask_b32_e32 v2, v2, v78, vcc_lo
	v_lshlrev_b32_e32 v2, 21, v2
	v_or3_b32 v2, v42, v3, v2
.LBB6_9506:                             ;   in Loop: Header=BB6_8809 Depth=2
	s_or_b32 exec_lo, exec_lo, s29
	v_max_f32_e32 v2, v2, v2
	v_max_f32_e32 v3, v75, v75
	s_mov_b32 s12, 0
	v_max_f32_e32 v75, v3, v2
.LBB6_9507:                             ;   in Loop: Header=BB6_8809 Depth=2
	s_and_b32 vcc_lo, exec_lo, s12
	s_cbranch_vccz .LBB6_9521
; %bb.9508:                             ;   in Loop: Header=BB6_8809 Depth=2
	v_cmp_gt_i16_sdwa s29, v72, v43 src0_sel:BYTE_0 src1_sel:DWORD
	s_mov_b32 s12, 0
	s_and_saveexec_b32 s40, s29
	s_xor_b32 s29, exec_lo, s40
	s_cbranch_execz .LBB6_10115
; %bb.9509:                             ;   in Loop: Header=BB6_8809 Depth=2
	v_cmp_eq_u16_sdwa s41, v72, v44 src0_sel:BYTE_0 src1_sel:DWORD
	s_mov_b32 s12, -1
	s_and_saveexec_b32 s40, s41
; %bb.9510:                             ;   in Loop: Header=BB6_8809 Depth=2
	s_xor_b32 s12, exec_lo, -1
; %bb.9511:                             ;   in Loop: Header=BB6_8809 Depth=2
	s_or_b32 exec_lo, exec_lo, s40
	s_and_b32 s12, s12, exec_lo
	s_or_saveexec_b32 s29, s29
	v_mov_b32_e32 v75, 0x7f800001
	s_xor_b32 exec_lo, exec_lo, s29
	s_cbranch_execnz .LBB6_10116
.LBB6_9512:                             ;   in Loop: Header=BB6_8809 Depth=2
	s_or_b32 exec_lo, exec_lo, s29
	s_and_saveexec_b32 s29, s12
	s_cbranch_execz .LBB6_9514
.LBB6_9513:                             ;   in Loop: Header=BB6_8809 Depth=2
	v_and_b32_e32 v2, 3, v72
	v_lshrrev_b16 v42, 2, v72
	v_ffbh_u32_e32 v3, v2
	v_and_b32_e32 v42, 31, v42
	v_min_u32_e32 v3, 32, v3
	v_cmp_eq_u32_e32 vcc_lo, 0, v42
	v_subrev_nc_u32_e32 v75, 29, v3
	v_sub_nc_u32_e32 v3, 30, v3
	v_lshlrev_b32_e32 v75, v75, v72
	v_lshlrev_b32_e32 v72, 24, v72
	v_cndmask_b32_e32 v3, v42, v3, vcc_lo
	v_and_b32_e32 v75, 3, v75
	v_and_b32_e32 v42, 0x80000000, v72
	v_lshl_add_u32 v3, v3, 23, 0x37800000
	v_cndmask_b32_e32 v2, v2, v75, vcc_lo
	v_lshlrev_b32_e32 v2, 21, v2
	v_or3_b32 v75, v42, v3, v2
.LBB6_9514:                             ;   in Loop: Header=BB6_8809 Depth=2
	s_or_b32 exec_lo, exec_lo, s29
	s_waitcnt vmcnt(12) lgkmcnt(12)
	v_cmp_gt_i16_sdwa s29, v63, v43 src0_sel:BYTE_0 src1_sel:DWORD
	s_mov_b32 s12, 0
	s_and_saveexec_b32 s40, s29
	s_xor_b32 s29, exec_lo, s40
	s_cbranch_execz .LBB6_10117
; %bb.9515:                             ;   in Loop: Header=BB6_8809 Depth=2
	v_cmp_eq_u16_sdwa s41, v63, v44 src0_sel:BYTE_0 src1_sel:DWORD
	s_mov_b32 s12, -1
	s_and_saveexec_b32 s40, s41
; %bb.9516:                             ;   in Loop: Header=BB6_8809 Depth=2
	s_xor_b32 s12, exec_lo, -1
; %bb.9517:                             ;   in Loop: Header=BB6_8809 Depth=2
	s_or_b32 exec_lo, exec_lo, s40
	s_and_b32 s12, s12, exec_lo
	s_or_saveexec_b32 s29, s29
	v_mov_b32_e32 v2, 0x7f800001
	s_xor_b32 exec_lo, exec_lo, s29
	s_cbranch_execnz .LBB6_10118
.LBB6_9518:                             ;   in Loop: Header=BB6_8809 Depth=2
	s_or_b32 exec_lo, exec_lo, s29
	s_and_saveexec_b32 s29, s12
	s_cbranch_execz .LBB6_9520
.LBB6_9519:                             ;   in Loop: Header=BB6_8809 Depth=2
	v_and_b32_e32 v2, 3, v63
	v_lshrrev_b16 v42, 2, v63
	v_ffbh_u32_e32 v3, v2
	v_and_b32_e32 v42, 31, v42
	v_min_u32_e32 v3, 32, v3
	v_cmp_eq_u32_e32 vcc_lo, 0, v42
	v_subrev_nc_u32_e32 v72, 29, v3
	v_sub_nc_u32_e32 v3, 30, v3
	v_lshlrev_b32_e32 v72, v72, v63
	v_lshlrev_b32_e32 v63, 24, v63
	v_cndmask_b32_e32 v3, v42, v3, vcc_lo
	v_and_b32_e32 v72, 3, v72
	v_and_b32_e32 v42, 0x80000000, v63
	v_lshl_add_u32 v3, v3, 23, 0x37800000
	v_cndmask_b32_e32 v2, v2, v72, vcc_lo
	v_lshlrev_b32_e32 v2, 21, v2
	v_or3_b32 v2, v42, v3, v2
.LBB6_9520:                             ;   in Loop: Header=BB6_8809 Depth=2
	s_or_b32 exec_lo, exec_lo, s29
	v_max_f32_e32 v2, v2, v2
	v_max_f32_e32 v3, v75, v75
	v_min_f32_e32 v75, v3, v2
.LBB6_9521:                             ;   in Loop: Header=BB6_8809 Depth=2
	v_and_b32_e32 v2, 0x7f800000, v75
	s_waitcnt vmcnt(12) lgkmcnt(12)
	v_mov_b32_e32 v63, 0x80
	s_mov_b32 s29, exec_lo
	v_cmpx_ne_u32_e32 0x7f800000, v2
	s_cbranch_execz .LBB6_9529
; %bb.9522:                             ;   in Loop: Header=BB6_8809 Depth=2
	v_mov_b32_e32 v63, 0
	s_mov_b32 s40, exec_lo
	v_cmpx_ne_u32_e32 0, v75
	s_cbranch_execz .LBB6_9528
; %bb.9523:                             ;   in Loop: Header=BB6_8809 Depth=2
	v_bfe_u32 v2, v75, 23, 8
	v_and_b32_e32 v3, 0x7fffff, v75
	v_sub_nc_u32_e32 v42, 0x70, v2
	v_cmp_gt_u32_e32 vcc_lo, 0x71, v2
	v_or_b32_e32 v63, 0x800000, v3
	v_cndmask_b32_e32 v42, 0, v42, vcc_lo
	v_cmp_eq_u32_e32 vcc_lo, 0, v2
	v_add_nc_u32_e32 v2, 0xffffff91, v2
	v_cndmask_b32_e64 v42, v42, 0x6f, vcc_lo
	v_cndmask_b32_e32 v3, v63, v3, vcc_lo
	v_cndmask_b32_e64 v2, v2, 0xffffff92, vcc_lo
	v_lshl_add_u32 v63, 0x200000, v42, -1
	v_lshrrev_b32_e32 v72, v42, v3
	v_lshlrev_b32_e64 v89, v42, 0x100000
	v_and_b32_e32 v3, v63, v3
	v_bfe_u32 v78, v72, 21, 1
	v_cmp_eq_u32_e64 s12, v3, v89
	v_add_nc_u32_e32 v63, -1, v78
	v_lshrrev_b32_e32 v78, 23, v72
	v_cndmask_b32_e64 v3, 0, v63, s12
	s_mov_b32 s12, exec_lo
	v_add_nc_u32_e32 v63, v3, v72
	v_add_nc_u32_e32 v3, v42, v2
                                        ; implicit-def: $vgpr42
	v_and_b32_e32 v2, 0x1fffff, v63
	v_xor_b32_e32 v63, 1, v78
	v_add_nc_u32_e32 v2, v2, v72
	v_cmpx_ne_u32_e64 v3, v63
	s_xor_b32 s12, exec_lo, s12
; %bb.9524:                             ;   in Loop: Header=BB6_8809 Depth=2
	v_cmp_lt_u32_e32 vcc_lo, 0xffffff, v2
	v_sub_nc_u32_e32 v3, v3, v63
	v_cndmask_b32_e64 v63, 0, 1, vcc_lo
	v_add_co_ci_u32_e64 v42, null, 0, v3, vcc_lo
	v_lshrrev_b32_e32 v2, v63, v2
; %bb.9525:                             ;   in Loop: Header=BB6_8809 Depth=2
	s_andn2_saveexec_b32 s12, s12
; %bb.9526:                             ;   in Loop: Header=BB6_8809 Depth=2
	v_bfe_u32 v42, v2, 23, 1
; %bb.9527:                             ;   in Loop: Header=BB6_8809 Depth=2
	s_or_b32 exec_lo, exec_lo, s12
	v_lshrrev_b32_e32 v2, 21, v2
	v_cmp_gt_i32_e32 vcc_lo, 32, v42
	v_min_i32_e32 v3, 31, v42
	v_and_b32_sdwa v63, v75, v44 dst_sel:DWORD dst_unused:UNUSED_PAD src0_sel:BYTE_3 src1_sel:DWORD
	v_cndmask_b32_e32 v2, 3, v2, vcc_lo
	v_lshlrev_b32_e32 v3, 2, v3
	v_and_b32_e32 v72, 3, v2
	v_or_b32_e32 v2, v42, v2
	v_or3_b32 v3, v3, v63, v72
	v_cmp_ne_u32_e32 vcc_lo, 0, v2
	v_cndmask_b32_e32 v63, 0, v3, vcc_lo
.LBB6_9528:                             ;   in Loop: Header=BB6_8809 Depth=2
	s_or_b32 exec_lo, exec_lo, s40
.LBB6_9529:                             ;   in Loop: Header=BB6_8809 Depth=2
	s_or_b32 exec_lo, exec_lo, s29
	v_cmp_gt_i16_sdwa s29, v61, v43 src0_sel:BYTE_0 src1_sel:DWORD
	s_andn2_b32 vcc_lo, exec_lo, s27
	s_mov_b32 s12, -1
                                        ; implicit-def: $vgpr72
	s_cbranch_vccnz .LBB6_9543
; %bb.9530:                             ;   in Loop: Header=BB6_8809 Depth=2
	s_mov_b32 s12, 0
	s_and_saveexec_b32 s40, s29
	s_xor_b32 s29, exec_lo, s40
	s_cbranch_execz .LBB6_10119
; %bb.9531:                             ;   in Loop: Header=BB6_8809 Depth=2
	v_cmp_eq_u16_sdwa s41, v61, v44 src0_sel:BYTE_0 src1_sel:DWORD
	s_mov_b32 s12, -1
	s_and_saveexec_b32 s40, s41
; %bb.9532:                             ;   in Loop: Header=BB6_8809 Depth=2
	s_xor_b32 s12, exec_lo, -1
; %bb.9533:                             ;   in Loop: Header=BB6_8809 Depth=2
	s_or_b32 exec_lo, exec_lo, s40
	s_and_b32 s12, s12, exec_lo
	s_or_saveexec_b32 s29, s29
	v_mov_b32_e32 v72, 0x7f800001
	s_xor_b32 exec_lo, exec_lo, s29
	s_cbranch_execnz .LBB6_10120
.LBB6_9534:                             ;   in Loop: Header=BB6_8809 Depth=2
	s_or_b32 exec_lo, exec_lo, s29
	s_and_saveexec_b32 s29, s12
	s_cbranch_execz .LBB6_9536
.LBB6_9535:                             ;   in Loop: Header=BB6_8809 Depth=2
	v_and_b32_e32 v2, 3, v61
	v_lshrrev_b16 v42, 2, v61
	v_lshlrev_b32_e32 v75, 24, v61
	v_ffbh_u32_e32 v3, v2
	v_and_b32_e32 v42, 31, v42
	v_min_u32_e32 v3, 32, v3
	v_cmp_eq_u32_e32 vcc_lo, 0, v42
	v_subrev_nc_u32_e32 v72, 29, v3
	v_sub_nc_u32_e32 v3, 30, v3
	v_lshlrev_b32_e32 v72, v72, v61
	v_cndmask_b32_e32 v3, v42, v3, vcc_lo
	v_and_b32_e32 v42, 0x80000000, v75
	v_and_b32_e32 v72, 3, v72
	v_lshl_add_u32 v3, v3, 23, 0x37800000
	v_cndmask_b32_e32 v2, v2, v72, vcc_lo
	v_lshlrev_b32_e32 v2, 21, v2
	v_or3_b32 v72, v42, v3, v2
.LBB6_9536:                             ;   in Loop: Header=BB6_8809 Depth=2
	s_or_b32 exec_lo, exec_lo, s29
	s_waitcnt vmcnt(11) lgkmcnt(11)
	v_cmp_gt_i16_sdwa s29, v60, v43 src0_sel:BYTE_0 src1_sel:DWORD
	s_mov_b32 s12, 0
	s_and_saveexec_b32 s40, s29
	s_xor_b32 s29, exec_lo, s40
	s_cbranch_execz .LBB6_10121
; %bb.9537:                             ;   in Loop: Header=BB6_8809 Depth=2
	v_cmp_eq_u16_sdwa s41, v60, v44 src0_sel:BYTE_0 src1_sel:DWORD
	s_mov_b32 s12, -1
	s_and_saveexec_b32 s40, s41
; %bb.9538:                             ;   in Loop: Header=BB6_8809 Depth=2
	s_xor_b32 s12, exec_lo, -1
; %bb.9539:                             ;   in Loop: Header=BB6_8809 Depth=2
	s_or_b32 exec_lo, exec_lo, s40
	s_and_b32 s12, s12, exec_lo
	s_or_saveexec_b32 s29, s29
	v_mov_b32_e32 v2, 0x7f800001
	s_xor_b32 exec_lo, exec_lo, s29
	s_cbranch_execnz .LBB6_10122
.LBB6_9540:                             ;   in Loop: Header=BB6_8809 Depth=2
	s_or_b32 exec_lo, exec_lo, s29
	s_and_saveexec_b32 s29, s12
	s_cbranch_execz .LBB6_9542
.LBB6_9541:                             ;   in Loop: Header=BB6_8809 Depth=2
	v_and_b32_e32 v2, 3, v60
	v_lshrrev_b16 v42, 2, v60
	v_lshlrev_b32_e32 v78, 24, v60
	v_ffbh_u32_e32 v3, v2
	v_and_b32_e32 v42, 31, v42
	v_min_u32_e32 v3, 32, v3
	v_cmp_eq_u32_e32 vcc_lo, 0, v42
	v_subrev_nc_u32_e32 v75, 29, v3
	v_sub_nc_u32_e32 v3, 30, v3
	v_lshlrev_b32_e32 v75, v75, v60
	v_cndmask_b32_e32 v3, v42, v3, vcc_lo
	v_and_b32_e32 v42, 0x80000000, v78
	v_and_b32_e32 v75, 3, v75
	v_lshl_add_u32 v3, v3, 23, 0x37800000
	v_cndmask_b32_e32 v2, v2, v75, vcc_lo
	v_lshlrev_b32_e32 v2, 21, v2
	v_or3_b32 v2, v42, v3, v2
.LBB6_9542:                             ;   in Loop: Header=BB6_8809 Depth=2
	s_or_b32 exec_lo, exec_lo, s29
	v_max_f32_e32 v2, v2, v2
	v_max_f32_e32 v3, v72, v72
	s_mov_b32 s12, 0
	v_max_f32_e32 v72, v3, v2
.LBB6_9543:                             ;   in Loop: Header=BB6_8809 Depth=2
	s_and_b32 vcc_lo, exec_lo, s12
	s_cbranch_vccz .LBB6_9557
; %bb.9544:                             ;   in Loop: Header=BB6_8809 Depth=2
	v_cmp_gt_i16_sdwa s29, v61, v43 src0_sel:BYTE_0 src1_sel:DWORD
	s_mov_b32 s12, 0
	s_and_saveexec_b32 s40, s29
	s_xor_b32 s29, exec_lo, s40
	s_cbranch_execz .LBB6_10123
; %bb.9545:                             ;   in Loop: Header=BB6_8809 Depth=2
	v_cmp_eq_u16_sdwa s41, v61, v44 src0_sel:BYTE_0 src1_sel:DWORD
	s_mov_b32 s12, -1
	s_and_saveexec_b32 s40, s41
; %bb.9546:                             ;   in Loop: Header=BB6_8809 Depth=2
	s_xor_b32 s12, exec_lo, -1
; %bb.9547:                             ;   in Loop: Header=BB6_8809 Depth=2
	s_or_b32 exec_lo, exec_lo, s40
	s_and_b32 s12, s12, exec_lo
	s_or_saveexec_b32 s29, s29
	v_mov_b32_e32 v72, 0x7f800001
	s_xor_b32 exec_lo, exec_lo, s29
	s_cbranch_execnz .LBB6_10124
.LBB6_9548:                             ;   in Loop: Header=BB6_8809 Depth=2
	s_or_b32 exec_lo, exec_lo, s29
	s_and_saveexec_b32 s29, s12
	s_cbranch_execz .LBB6_9550
.LBB6_9549:                             ;   in Loop: Header=BB6_8809 Depth=2
	v_and_b32_e32 v2, 3, v61
	v_lshrrev_b16 v42, 2, v61
	v_ffbh_u32_e32 v3, v2
	v_and_b32_e32 v42, 31, v42
	v_min_u32_e32 v3, 32, v3
	v_cmp_eq_u32_e32 vcc_lo, 0, v42
	v_subrev_nc_u32_e32 v72, 29, v3
	v_sub_nc_u32_e32 v3, 30, v3
	v_lshlrev_b32_e32 v72, v72, v61
	v_lshlrev_b32_e32 v61, 24, v61
	v_cndmask_b32_e32 v3, v42, v3, vcc_lo
	v_and_b32_e32 v72, 3, v72
	v_and_b32_e32 v42, 0x80000000, v61
	v_lshl_add_u32 v3, v3, 23, 0x37800000
	v_cndmask_b32_e32 v2, v2, v72, vcc_lo
	v_lshlrev_b32_e32 v2, 21, v2
	v_or3_b32 v72, v42, v3, v2
.LBB6_9550:                             ;   in Loop: Header=BB6_8809 Depth=2
	s_or_b32 exec_lo, exec_lo, s29
	s_waitcnt vmcnt(11) lgkmcnt(11)
	v_cmp_gt_i16_sdwa s29, v60, v43 src0_sel:BYTE_0 src1_sel:DWORD
	s_mov_b32 s12, 0
	s_and_saveexec_b32 s40, s29
	s_xor_b32 s29, exec_lo, s40
	s_cbranch_execz .LBB6_10125
; %bb.9551:                             ;   in Loop: Header=BB6_8809 Depth=2
	v_cmp_eq_u16_sdwa s41, v60, v44 src0_sel:BYTE_0 src1_sel:DWORD
	s_mov_b32 s12, -1
	s_and_saveexec_b32 s40, s41
; %bb.9552:                             ;   in Loop: Header=BB6_8809 Depth=2
	s_xor_b32 s12, exec_lo, -1
; %bb.9553:                             ;   in Loop: Header=BB6_8809 Depth=2
	s_or_b32 exec_lo, exec_lo, s40
	s_and_b32 s12, s12, exec_lo
	s_or_saveexec_b32 s29, s29
	v_mov_b32_e32 v2, 0x7f800001
	s_xor_b32 exec_lo, exec_lo, s29
	s_cbranch_execnz .LBB6_10126
.LBB6_9554:                             ;   in Loop: Header=BB6_8809 Depth=2
	s_or_b32 exec_lo, exec_lo, s29
	s_and_saveexec_b32 s29, s12
	s_cbranch_execz .LBB6_9556
.LBB6_9555:                             ;   in Loop: Header=BB6_8809 Depth=2
	v_and_b32_e32 v2, 3, v60
	v_lshrrev_b16 v42, 2, v60
	v_ffbh_u32_e32 v3, v2
	v_and_b32_e32 v42, 31, v42
	v_min_u32_e32 v3, 32, v3
	v_cmp_eq_u32_e32 vcc_lo, 0, v42
	v_subrev_nc_u32_e32 v61, 29, v3
	v_sub_nc_u32_e32 v3, 30, v3
	v_lshlrev_b32_e32 v61, v61, v60
	v_lshlrev_b32_e32 v60, 24, v60
	v_cndmask_b32_e32 v3, v42, v3, vcc_lo
	v_and_b32_e32 v61, 3, v61
	v_and_b32_e32 v42, 0x80000000, v60
	v_lshl_add_u32 v3, v3, 23, 0x37800000
	v_cndmask_b32_e32 v2, v2, v61, vcc_lo
	v_lshlrev_b32_e32 v2, 21, v2
	v_or3_b32 v2, v42, v3, v2
.LBB6_9556:                             ;   in Loop: Header=BB6_8809 Depth=2
	s_or_b32 exec_lo, exec_lo, s29
	v_max_f32_e32 v2, v2, v2
	v_max_f32_e32 v3, v72, v72
	v_min_f32_e32 v72, v3, v2
.LBB6_9557:                             ;   in Loop: Header=BB6_8809 Depth=2
	v_and_b32_e32 v2, 0x7f800000, v72
	s_waitcnt vmcnt(11) lgkmcnt(11)
	v_mov_b32_e32 v60, 0x80
	s_mov_b32 s29, exec_lo
	v_cmpx_ne_u32_e32 0x7f800000, v2
	s_cbranch_execz .LBB6_9565
; %bb.9558:                             ;   in Loop: Header=BB6_8809 Depth=2
	v_mov_b32_e32 v60, 0
	s_mov_b32 s40, exec_lo
	v_cmpx_ne_u32_e32 0, v72
	s_cbranch_execz .LBB6_9564
; %bb.9559:                             ;   in Loop: Header=BB6_8809 Depth=2
	v_bfe_u32 v2, v72, 23, 8
	v_and_b32_e32 v3, 0x7fffff, v72
	v_sub_nc_u32_e32 v42, 0x70, v2
	v_cmp_gt_u32_e32 vcc_lo, 0x71, v2
	v_or_b32_e32 v60, 0x800000, v3
	v_cndmask_b32_e32 v42, 0, v42, vcc_lo
	v_cmp_eq_u32_e32 vcc_lo, 0, v2
	v_add_nc_u32_e32 v2, 0xffffff91, v2
	v_cndmask_b32_e64 v42, v42, 0x6f, vcc_lo
	v_cndmask_b32_e32 v3, v60, v3, vcc_lo
	v_cndmask_b32_e64 v2, v2, 0xffffff92, vcc_lo
	v_lshl_add_u32 v60, 0x200000, v42, -1
	v_lshrrev_b32_e32 v61, v42, v3
	v_lshlrev_b32_e64 v78, v42, 0x100000
	v_and_b32_e32 v3, v60, v3
	v_bfe_u32 v75, v61, 21, 1
	v_cmp_eq_u32_e64 s12, v3, v78
	v_add_nc_u32_e32 v60, -1, v75
	v_lshrrev_b32_e32 v75, 23, v61
	v_cndmask_b32_e64 v3, 0, v60, s12
	s_mov_b32 s12, exec_lo
	v_add_nc_u32_e32 v60, v3, v61
	v_add_nc_u32_e32 v3, v42, v2
                                        ; implicit-def: $vgpr42
	v_and_b32_e32 v2, 0x1fffff, v60
	v_xor_b32_e32 v60, 1, v75
	v_add_nc_u32_e32 v2, v2, v61
	v_cmpx_ne_u32_e64 v3, v60
	s_xor_b32 s12, exec_lo, s12
; %bb.9560:                             ;   in Loop: Header=BB6_8809 Depth=2
	v_cmp_lt_u32_e32 vcc_lo, 0xffffff, v2
	v_sub_nc_u32_e32 v3, v3, v60
	v_cndmask_b32_e64 v60, 0, 1, vcc_lo
	v_add_co_ci_u32_e64 v42, null, 0, v3, vcc_lo
	v_lshrrev_b32_e32 v2, v60, v2
; %bb.9561:                             ;   in Loop: Header=BB6_8809 Depth=2
	s_andn2_saveexec_b32 s12, s12
; %bb.9562:                             ;   in Loop: Header=BB6_8809 Depth=2
	v_bfe_u32 v42, v2, 23, 1
; %bb.9563:                             ;   in Loop: Header=BB6_8809 Depth=2
	s_or_b32 exec_lo, exec_lo, s12
	v_lshrrev_b32_e32 v2, 21, v2
	v_cmp_gt_i32_e32 vcc_lo, 32, v42
	v_min_i32_e32 v3, 31, v42
	v_and_b32_sdwa v60, v72, v44 dst_sel:DWORD dst_unused:UNUSED_PAD src0_sel:BYTE_3 src1_sel:DWORD
	v_cndmask_b32_e32 v2, 3, v2, vcc_lo
	v_lshlrev_b32_e32 v3, 2, v3
	v_and_b32_e32 v61, 3, v2
	v_or_b32_e32 v2, v42, v2
	v_or3_b32 v3, v3, v60, v61
	v_cmp_ne_u32_e32 vcc_lo, 0, v2
	v_cndmask_b32_e32 v60, 0, v3, vcc_lo
.LBB6_9564:                             ;   in Loop: Header=BB6_8809 Depth=2
	s_or_b32 exec_lo, exec_lo, s40
.LBB6_9565:                             ;   in Loop: Header=BB6_8809 Depth=2
	s_or_b32 exec_lo, exec_lo, s29
	v_cmp_gt_i16_sdwa s29, v58, v43 src0_sel:BYTE_0 src1_sel:DWORD
	s_andn2_b32 vcc_lo, exec_lo, s27
	s_mov_b32 s12, -1
                                        ; implicit-def: $vgpr61
	s_cbranch_vccnz .LBB6_9579
; %bb.9566:                             ;   in Loop: Header=BB6_8809 Depth=2
	s_mov_b32 s12, 0
	s_and_saveexec_b32 s40, s29
	s_xor_b32 s29, exec_lo, s40
	s_cbranch_execz .LBB6_10127
; %bb.9567:                             ;   in Loop: Header=BB6_8809 Depth=2
	v_cmp_eq_u16_sdwa s41, v58, v44 src0_sel:BYTE_0 src1_sel:DWORD
	s_mov_b32 s12, -1
	s_and_saveexec_b32 s40, s41
; %bb.9568:                             ;   in Loop: Header=BB6_8809 Depth=2
	s_xor_b32 s12, exec_lo, -1
; %bb.9569:                             ;   in Loop: Header=BB6_8809 Depth=2
	s_or_b32 exec_lo, exec_lo, s40
	s_and_b32 s12, s12, exec_lo
	s_or_saveexec_b32 s29, s29
	v_mov_b32_e32 v61, 0x7f800001
	s_xor_b32 exec_lo, exec_lo, s29
	s_cbranch_execnz .LBB6_10128
.LBB6_9570:                             ;   in Loop: Header=BB6_8809 Depth=2
	s_or_b32 exec_lo, exec_lo, s29
	s_and_saveexec_b32 s29, s12
	s_cbranch_execz .LBB6_9572
.LBB6_9571:                             ;   in Loop: Header=BB6_8809 Depth=2
	v_and_b32_e32 v2, 3, v58
	v_lshrrev_b16 v42, 2, v58
	v_lshlrev_b32_e32 v72, 24, v58
	v_ffbh_u32_e32 v3, v2
	v_and_b32_e32 v42, 31, v42
	v_min_u32_e32 v3, 32, v3
	v_cmp_eq_u32_e32 vcc_lo, 0, v42
	v_subrev_nc_u32_e32 v61, 29, v3
	v_sub_nc_u32_e32 v3, 30, v3
	v_lshlrev_b32_e32 v61, v61, v58
	v_cndmask_b32_e32 v3, v42, v3, vcc_lo
	v_and_b32_e32 v42, 0x80000000, v72
	v_and_b32_e32 v61, 3, v61
	v_lshl_add_u32 v3, v3, 23, 0x37800000
	v_cndmask_b32_e32 v2, v2, v61, vcc_lo
	v_lshlrev_b32_e32 v2, 21, v2
	v_or3_b32 v61, v42, v3, v2
.LBB6_9572:                             ;   in Loop: Header=BB6_8809 Depth=2
	s_or_b32 exec_lo, exec_lo, s29
	s_waitcnt vmcnt(10) lgkmcnt(10)
	v_cmp_gt_i16_sdwa s29, v103, v43 src0_sel:BYTE_0 src1_sel:DWORD
	s_mov_b32 s12, 0
	s_and_saveexec_b32 s40, s29
	s_xor_b32 s29, exec_lo, s40
	s_cbranch_execz .LBB6_10129
; %bb.9573:                             ;   in Loop: Header=BB6_8809 Depth=2
	v_cmp_eq_u16_sdwa s41, v103, v44 src0_sel:BYTE_0 src1_sel:DWORD
	s_mov_b32 s12, -1
	s_and_saveexec_b32 s40, s41
; %bb.9574:                             ;   in Loop: Header=BB6_8809 Depth=2
	s_xor_b32 s12, exec_lo, -1
; %bb.9575:                             ;   in Loop: Header=BB6_8809 Depth=2
	s_or_b32 exec_lo, exec_lo, s40
	s_and_b32 s12, s12, exec_lo
	s_or_saveexec_b32 s29, s29
	v_mov_b32_e32 v2, 0x7f800001
	s_xor_b32 exec_lo, exec_lo, s29
	s_cbranch_execnz .LBB6_10130
.LBB6_9576:                             ;   in Loop: Header=BB6_8809 Depth=2
	s_or_b32 exec_lo, exec_lo, s29
	s_and_saveexec_b32 s29, s12
	s_cbranch_execz .LBB6_9578
.LBB6_9577:                             ;   in Loop: Header=BB6_8809 Depth=2
	v_and_b32_e32 v2, 3, v103
	v_lshrrev_b16 v42, 2, v103
	v_lshlrev_b32_e32 v75, 24, v103
	v_ffbh_u32_e32 v3, v2
	v_and_b32_e32 v42, 31, v42
	v_min_u32_e32 v3, 32, v3
	v_cmp_eq_u32_e32 vcc_lo, 0, v42
	v_subrev_nc_u32_e32 v72, 29, v3
	v_sub_nc_u32_e32 v3, 30, v3
	v_lshlrev_b32_e32 v72, v72, v103
	v_cndmask_b32_e32 v3, v42, v3, vcc_lo
	v_and_b32_e32 v42, 0x80000000, v75
	v_and_b32_e32 v72, 3, v72
	v_lshl_add_u32 v3, v3, 23, 0x37800000
	v_cndmask_b32_e32 v2, v2, v72, vcc_lo
	v_lshlrev_b32_e32 v2, 21, v2
	v_or3_b32 v2, v42, v3, v2
.LBB6_9578:                             ;   in Loop: Header=BB6_8809 Depth=2
	s_or_b32 exec_lo, exec_lo, s29
	v_max_f32_e32 v2, v2, v2
	v_max_f32_e32 v3, v61, v61
	s_mov_b32 s12, 0
	v_max_f32_e32 v61, v3, v2
.LBB6_9579:                             ;   in Loop: Header=BB6_8809 Depth=2
	s_and_b32 vcc_lo, exec_lo, s12
	s_cbranch_vccz .LBB6_9593
; %bb.9580:                             ;   in Loop: Header=BB6_8809 Depth=2
	v_cmp_gt_i16_sdwa s29, v58, v43 src0_sel:BYTE_0 src1_sel:DWORD
	s_mov_b32 s12, 0
	s_and_saveexec_b32 s40, s29
	s_xor_b32 s29, exec_lo, s40
	s_cbranch_execz .LBB6_10131
; %bb.9581:                             ;   in Loop: Header=BB6_8809 Depth=2
	v_cmp_eq_u16_sdwa s41, v58, v44 src0_sel:BYTE_0 src1_sel:DWORD
	s_mov_b32 s12, -1
	s_and_saveexec_b32 s40, s41
; %bb.9582:                             ;   in Loop: Header=BB6_8809 Depth=2
	s_xor_b32 s12, exec_lo, -1
; %bb.9583:                             ;   in Loop: Header=BB6_8809 Depth=2
	s_or_b32 exec_lo, exec_lo, s40
	s_and_b32 s12, s12, exec_lo
	s_or_saveexec_b32 s29, s29
	v_mov_b32_e32 v61, 0x7f800001
	s_xor_b32 exec_lo, exec_lo, s29
	s_cbranch_execnz .LBB6_10132
.LBB6_9584:                             ;   in Loop: Header=BB6_8809 Depth=2
	s_or_b32 exec_lo, exec_lo, s29
	s_and_saveexec_b32 s29, s12
	s_cbranch_execz .LBB6_9586
.LBB6_9585:                             ;   in Loop: Header=BB6_8809 Depth=2
	v_and_b32_e32 v2, 3, v58
	v_lshrrev_b16 v42, 2, v58
	v_ffbh_u32_e32 v3, v2
	v_and_b32_e32 v42, 31, v42
	v_min_u32_e32 v3, 32, v3
	v_cmp_eq_u32_e32 vcc_lo, 0, v42
	v_subrev_nc_u32_e32 v61, 29, v3
	v_sub_nc_u32_e32 v3, 30, v3
	v_lshlrev_b32_e32 v61, v61, v58
	v_lshlrev_b32_e32 v58, 24, v58
	v_cndmask_b32_e32 v3, v42, v3, vcc_lo
	v_and_b32_e32 v61, 3, v61
	v_and_b32_e32 v42, 0x80000000, v58
	v_lshl_add_u32 v3, v3, 23, 0x37800000
	v_cndmask_b32_e32 v2, v2, v61, vcc_lo
	v_lshlrev_b32_e32 v2, 21, v2
	v_or3_b32 v61, v42, v3, v2
.LBB6_9586:                             ;   in Loop: Header=BB6_8809 Depth=2
	s_or_b32 exec_lo, exec_lo, s29
	s_waitcnt vmcnt(10) lgkmcnt(10)
	v_cmp_gt_i16_sdwa s29, v103, v43 src0_sel:BYTE_0 src1_sel:DWORD
	s_mov_b32 s12, 0
	s_and_saveexec_b32 s40, s29
	s_xor_b32 s29, exec_lo, s40
	s_cbranch_execz .LBB6_10133
; %bb.9587:                             ;   in Loop: Header=BB6_8809 Depth=2
	v_cmp_eq_u16_sdwa s41, v103, v44 src0_sel:BYTE_0 src1_sel:DWORD
	s_mov_b32 s12, -1
	s_and_saveexec_b32 s40, s41
; %bb.9588:                             ;   in Loop: Header=BB6_8809 Depth=2
	s_xor_b32 s12, exec_lo, -1
; %bb.9589:                             ;   in Loop: Header=BB6_8809 Depth=2
	s_or_b32 exec_lo, exec_lo, s40
	s_and_b32 s12, s12, exec_lo
	s_or_saveexec_b32 s29, s29
	v_mov_b32_e32 v2, 0x7f800001
	s_xor_b32 exec_lo, exec_lo, s29
	s_cbranch_execnz .LBB6_10134
.LBB6_9590:                             ;   in Loop: Header=BB6_8809 Depth=2
	s_or_b32 exec_lo, exec_lo, s29
	s_and_saveexec_b32 s29, s12
	s_cbranch_execz .LBB6_9592
.LBB6_9591:                             ;   in Loop: Header=BB6_8809 Depth=2
	v_and_b32_e32 v2, 3, v103
	v_lshrrev_b16 v42, 2, v103
	v_ffbh_u32_e32 v3, v2
	v_and_b32_e32 v42, 31, v42
	v_min_u32_e32 v3, 32, v3
	v_cmp_eq_u32_e32 vcc_lo, 0, v42
	v_subrev_nc_u32_e32 v58, 29, v3
	v_sub_nc_u32_e32 v3, 30, v3
	v_lshlrev_b32_e32 v58, v58, v103
	v_lshlrev_b32_e32 v103, 24, v103
	v_cndmask_b32_e32 v3, v42, v3, vcc_lo
	v_and_b32_e32 v58, 3, v58
	v_and_b32_e32 v103, 0x80000000, v103
	v_lshl_add_u32 v3, v3, 23, 0x37800000
	v_cndmask_b32_e32 v2, v2, v58, vcc_lo
	v_lshlrev_b32_e32 v2, 21, v2
	v_or3_b32 v2, v103, v3, v2
.LBB6_9592:                             ;   in Loop: Header=BB6_8809 Depth=2
	s_or_b32 exec_lo, exec_lo, s29
	v_max_f32_e32 v2, v2, v2
	v_max_f32_e32 v3, v61, v61
	v_min_f32_e32 v61, v3, v2
.LBB6_9593:                             ;   in Loop: Header=BB6_8809 Depth=2
	v_and_b32_e32 v2, 0x7f800000, v61
	s_waitcnt vmcnt(10) lgkmcnt(10)
	v_mov_b32_e32 v103, 0x80
	s_mov_b32 s29, exec_lo
	v_cmpx_ne_u32_e32 0x7f800000, v2
	s_cbranch_execz .LBB6_9601
; %bb.9594:                             ;   in Loop: Header=BB6_8809 Depth=2
	v_mov_b32_e32 v103, 0
	s_mov_b32 s40, exec_lo
	v_cmpx_ne_u32_e32 0, v61
	s_cbranch_execz .LBB6_9600
; %bb.9595:                             ;   in Loop: Header=BB6_8809 Depth=2
	v_bfe_u32 v2, v61, 23, 8
	v_and_b32_e32 v3, 0x7fffff, v61
	v_sub_nc_u32_e32 v103, 0x70, v2
	v_cmp_gt_u32_e32 vcc_lo, 0x71, v2
	v_or_b32_e32 v42, 0x800000, v3
	v_cndmask_b32_e32 v103, 0, v103, vcc_lo
	v_cmp_eq_u32_e32 vcc_lo, 0, v2
	v_add_nc_u32_e32 v2, 0xffffff91, v2
	v_cndmask_b32_e64 v103, v103, 0x6f, vcc_lo
	v_cndmask_b32_e32 v3, v42, v3, vcc_lo
	v_cndmask_b32_e64 v2, v2, 0xffffff92, vcc_lo
	v_lshl_add_u32 v42, 0x200000, v103, -1
	v_lshrrev_b32_e32 v58, v103, v3
	v_lshlrev_b32_e64 v75, v103, 0x100000
	v_and_b32_e32 v3, v42, v3
	v_bfe_u32 v72, v58, 21, 1
	v_cmp_eq_u32_e64 s12, v3, v75
	v_add_nc_u32_e32 v42, -1, v72
	v_lshrrev_b32_e32 v72, 23, v58
	v_cndmask_b32_e64 v3, 0, v42, s12
	s_mov_b32 s12, exec_lo
	v_add_nc_u32_e32 v42, v3, v58
	v_add_nc_u32_e32 v3, v103, v2
                                        ; implicit-def: $vgpr103
	v_and_b32_e32 v2, 0x1fffff, v42
	v_xor_b32_e32 v42, 1, v72
	v_add_nc_u32_e32 v2, v2, v58
	v_cmpx_ne_u32_e64 v3, v42
	s_xor_b32 s12, exec_lo, s12
; %bb.9596:                             ;   in Loop: Header=BB6_8809 Depth=2
	v_cmp_lt_u32_e32 vcc_lo, 0xffffff, v2
	v_sub_nc_u32_e32 v3, v3, v42
	v_cndmask_b32_e64 v42, 0, 1, vcc_lo
	v_add_co_ci_u32_e64 v103, null, 0, v3, vcc_lo
	v_lshrrev_b32_e32 v2, v42, v2
; %bb.9597:                             ;   in Loop: Header=BB6_8809 Depth=2
	s_andn2_saveexec_b32 s12, s12
; %bb.9598:                             ;   in Loop: Header=BB6_8809 Depth=2
	v_bfe_u32 v103, v2, 23, 1
; %bb.9599:                             ;   in Loop: Header=BB6_8809 Depth=2
	s_or_b32 exec_lo, exec_lo, s12
	v_lshrrev_b32_e32 v2, 21, v2
	v_cmp_gt_i32_e32 vcc_lo, 32, v103
	v_min_i32_e32 v3, 31, v103
	v_and_b32_sdwa v42, v61, v44 dst_sel:DWORD dst_unused:UNUSED_PAD src0_sel:BYTE_3 src1_sel:DWORD
	v_cndmask_b32_e32 v2, 3, v2, vcc_lo
	v_lshlrev_b32_e32 v3, 2, v3
	v_and_b32_e32 v58, 3, v2
	v_or_b32_e32 v2, v103, v2
	v_or3_b32 v3, v3, v42, v58
	v_cmp_ne_u32_e32 vcc_lo, 0, v2
	v_cndmask_b32_e32 v103, 0, v3, vcc_lo
.LBB6_9600:                             ;   in Loop: Header=BB6_8809 Depth=2
	s_or_b32 exec_lo, exec_lo, s40
.LBB6_9601:                             ;   in Loop: Header=BB6_8809 Depth=2
	s_or_b32 exec_lo, exec_lo, s29
	v_cmp_gt_i16_sdwa s29, v101, v43 src0_sel:BYTE_0 src1_sel:DWORD
	s_andn2_b32 vcc_lo, exec_lo, s27
	s_mov_b32 s12, -1
                                        ; implicit-def: $vgpr58
	s_cbranch_vccnz .LBB6_9615
; %bb.9602:                             ;   in Loop: Header=BB6_8809 Depth=2
	s_mov_b32 s12, 0
	s_and_saveexec_b32 s40, s29
	s_xor_b32 s29, exec_lo, s40
	s_cbranch_execz .LBB6_10135
; %bb.9603:                             ;   in Loop: Header=BB6_8809 Depth=2
	v_cmp_eq_u16_sdwa s41, v101, v44 src0_sel:BYTE_0 src1_sel:DWORD
	s_mov_b32 s12, -1
	s_and_saveexec_b32 s40, s41
; %bb.9604:                             ;   in Loop: Header=BB6_8809 Depth=2
	s_xor_b32 s12, exec_lo, -1
; %bb.9605:                             ;   in Loop: Header=BB6_8809 Depth=2
	s_or_b32 exec_lo, exec_lo, s40
	s_and_b32 s12, s12, exec_lo
	s_or_saveexec_b32 s29, s29
	v_mov_b32_e32 v58, 0x7f800001
	s_xor_b32 exec_lo, exec_lo, s29
	s_cbranch_execnz .LBB6_10136
.LBB6_9606:                             ;   in Loop: Header=BB6_8809 Depth=2
	s_or_b32 exec_lo, exec_lo, s29
	s_and_saveexec_b32 s29, s12
	s_cbranch_execz .LBB6_9608
.LBB6_9607:                             ;   in Loop: Header=BB6_8809 Depth=2
	v_and_b32_e32 v2, 3, v101
	v_lshrrev_b16 v42, 2, v101
	v_lshlrev_b32_e32 v61, 24, v101
	v_ffbh_u32_e32 v3, v2
	v_and_b32_e32 v42, 31, v42
	v_min_u32_e32 v3, 32, v3
	v_cmp_eq_u32_e32 vcc_lo, 0, v42
	v_subrev_nc_u32_e32 v58, 29, v3
	v_sub_nc_u32_e32 v3, 30, v3
	v_lshlrev_b32_e32 v58, v58, v101
	v_cndmask_b32_e32 v3, v42, v3, vcc_lo
	v_and_b32_e32 v42, 0x80000000, v61
	v_and_b32_e32 v58, 3, v58
	v_lshl_add_u32 v3, v3, 23, 0x37800000
	v_cndmask_b32_e32 v2, v2, v58, vcc_lo
	v_lshlrev_b32_e32 v2, 21, v2
	v_or3_b32 v58, v42, v3, v2
.LBB6_9608:                             ;   in Loop: Header=BB6_8809 Depth=2
	s_or_b32 exec_lo, exec_lo, s29
	s_waitcnt vmcnt(9) lgkmcnt(9)
	v_cmp_gt_i16_sdwa s29, v100, v43 src0_sel:BYTE_0 src1_sel:DWORD
	s_mov_b32 s12, 0
	s_and_saveexec_b32 s40, s29
	s_xor_b32 s29, exec_lo, s40
	s_cbranch_execz .LBB6_10137
; %bb.9609:                             ;   in Loop: Header=BB6_8809 Depth=2
	v_cmp_eq_u16_sdwa s41, v100, v44 src0_sel:BYTE_0 src1_sel:DWORD
	s_mov_b32 s12, -1
	s_and_saveexec_b32 s40, s41
; %bb.9610:                             ;   in Loop: Header=BB6_8809 Depth=2
	s_xor_b32 s12, exec_lo, -1
; %bb.9611:                             ;   in Loop: Header=BB6_8809 Depth=2
	s_or_b32 exec_lo, exec_lo, s40
	s_and_b32 s12, s12, exec_lo
	s_or_saveexec_b32 s29, s29
	v_mov_b32_e32 v2, 0x7f800001
	s_xor_b32 exec_lo, exec_lo, s29
	s_cbranch_execnz .LBB6_10138
.LBB6_9612:                             ;   in Loop: Header=BB6_8809 Depth=2
	s_or_b32 exec_lo, exec_lo, s29
	s_and_saveexec_b32 s29, s12
	s_cbranch_execz .LBB6_9614
.LBB6_9613:                             ;   in Loop: Header=BB6_8809 Depth=2
	v_and_b32_e32 v2, 3, v100
	v_lshrrev_b16 v42, 2, v100
	v_lshlrev_b32_e32 v72, 24, v100
	v_ffbh_u32_e32 v3, v2
	v_and_b32_e32 v42, 31, v42
	v_min_u32_e32 v3, 32, v3
	v_cmp_eq_u32_e32 vcc_lo, 0, v42
	v_subrev_nc_u32_e32 v61, 29, v3
	v_sub_nc_u32_e32 v3, 30, v3
	v_lshlrev_b32_e32 v61, v61, v100
	v_cndmask_b32_e32 v3, v42, v3, vcc_lo
	v_and_b32_e32 v42, 0x80000000, v72
	v_and_b32_e32 v61, 3, v61
	v_lshl_add_u32 v3, v3, 23, 0x37800000
	v_cndmask_b32_e32 v2, v2, v61, vcc_lo
	v_lshlrev_b32_e32 v2, 21, v2
	v_or3_b32 v2, v42, v3, v2
.LBB6_9614:                             ;   in Loop: Header=BB6_8809 Depth=2
	s_or_b32 exec_lo, exec_lo, s29
	v_max_f32_e32 v2, v2, v2
	v_max_f32_e32 v3, v58, v58
	s_mov_b32 s12, 0
	v_max_f32_e32 v58, v3, v2
.LBB6_9615:                             ;   in Loop: Header=BB6_8809 Depth=2
	s_and_b32 vcc_lo, exec_lo, s12
	s_cbranch_vccz .LBB6_9629
; %bb.9616:                             ;   in Loop: Header=BB6_8809 Depth=2
	v_cmp_gt_i16_sdwa s29, v101, v43 src0_sel:BYTE_0 src1_sel:DWORD
	s_mov_b32 s12, 0
	s_and_saveexec_b32 s40, s29
	s_xor_b32 s29, exec_lo, s40
	s_cbranch_execz .LBB6_10139
; %bb.9617:                             ;   in Loop: Header=BB6_8809 Depth=2
	v_cmp_eq_u16_sdwa s41, v101, v44 src0_sel:BYTE_0 src1_sel:DWORD
	s_mov_b32 s12, -1
	s_and_saveexec_b32 s40, s41
; %bb.9618:                             ;   in Loop: Header=BB6_8809 Depth=2
	s_xor_b32 s12, exec_lo, -1
; %bb.9619:                             ;   in Loop: Header=BB6_8809 Depth=2
	s_or_b32 exec_lo, exec_lo, s40
	s_and_b32 s12, s12, exec_lo
	s_or_saveexec_b32 s29, s29
	v_mov_b32_e32 v58, 0x7f800001
	s_xor_b32 exec_lo, exec_lo, s29
	s_cbranch_execnz .LBB6_10140
.LBB6_9620:                             ;   in Loop: Header=BB6_8809 Depth=2
	s_or_b32 exec_lo, exec_lo, s29
	s_and_saveexec_b32 s29, s12
	s_cbranch_execz .LBB6_9622
.LBB6_9621:                             ;   in Loop: Header=BB6_8809 Depth=2
	v_and_b32_e32 v2, 3, v101
	v_lshrrev_b16 v42, 2, v101
	v_ffbh_u32_e32 v3, v2
	v_and_b32_e32 v42, 31, v42
	v_min_u32_e32 v3, 32, v3
	v_cmp_eq_u32_e32 vcc_lo, 0, v42
	v_subrev_nc_u32_e32 v58, 29, v3
	v_sub_nc_u32_e32 v3, 30, v3
	v_lshlrev_b32_e32 v58, v58, v101
	v_lshlrev_b32_e32 v101, 24, v101
	v_cndmask_b32_e32 v3, v42, v3, vcc_lo
	v_and_b32_e32 v58, 3, v58
	v_and_b32_e32 v101, 0x80000000, v101
	v_lshl_add_u32 v3, v3, 23, 0x37800000
	v_cndmask_b32_e32 v2, v2, v58, vcc_lo
	v_lshlrev_b32_e32 v2, 21, v2
	v_or3_b32 v58, v101, v3, v2
.LBB6_9622:                             ;   in Loop: Header=BB6_8809 Depth=2
	s_or_b32 exec_lo, exec_lo, s29
	s_waitcnt vmcnt(9) lgkmcnt(9)
	v_cmp_gt_i16_sdwa s29, v100, v43 src0_sel:BYTE_0 src1_sel:DWORD
	s_mov_b32 s12, 0
	s_and_saveexec_b32 s40, s29
	s_xor_b32 s29, exec_lo, s40
	s_cbranch_execz .LBB6_10141
; %bb.9623:                             ;   in Loop: Header=BB6_8809 Depth=2
	v_cmp_eq_u16_sdwa s41, v100, v44 src0_sel:BYTE_0 src1_sel:DWORD
	s_mov_b32 s12, -1
	s_and_saveexec_b32 s40, s41
; %bb.9624:                             ;   in Loop: Header=BB6_8809 Depth=2
	s_xor_b32 s12, exec_lo, -1
; %bb.9625:                             ;   in Loop: Header=BB6_8809 Depth=2
	s_or_b32 exec_lo, exec_lo, s40
	s_and_b32 s12, s12, exec_lo
	s_or_saveexec_b32 s29, s29
	v_mov_b32_e32 v2, 0x7f800001
	s_xor_b32 exec_lo, exec_lo, s29
	s_cbranch_execnz .LBB6_10142
.LBB6_9626:                             ;   in Loop: Header=BB6_8809 Depth=2
	s_or_b32 exec_lo, exec_lo, s29
	s_and_saveexec_b32 s29, s12
	s_cbranch_execz .LBB6_9628
.LBB6_9627:                             ;   in Loop: Header=BB6_8809 Depth=2
	v_and_b32_e32 v2, 3, v100
	v_lshrrev_b16 v101, 2, v100
	v_ffbh_u32_e32 v3, v2
	v_and_b32_e32 v101, 31, v101
	v_min_u32_e32 v3, 32, v3
	v_cmp_eq_u32_e32 vcc_lo, 0, v101
	v_subrev_nc_u32_e32 v42, 29, v3
	v_sub_nc_u32_e32 v3, 30, v3
	v_lshlrev_b32_e32 v42, v42, v100
	v_lshlrev_b32_e32 v100, 24, v100
	v_cndmask_b32_e32 v3, v101, v3, vcc_lo
	v_and_b32_e32 v42, 3, v42
	v_and_b32_e32 v100, 0x80000000, v100
	v_lshl_add_u32 v3, v3, 23, 0x37800000
	v_cndmask_b32_e32 v2, v2, v42, vcc_lo
	v_lshlrev_b32_e32 v2, 21, v2
	v_or3_b32 v2, v100, v3, v2
.LBB6_9628:                             ;   in Loop: Header=BB6_8809 Depth=2
	s_or_b32 exec_lo, exec_lo, s29
	v_max_f32_e32 v2, v2, v2
	v_max_f32_e32 v3, v58, v58
	v_min_f32_e32 v58, v3, v2
.LBB6_9629:                             ;   in Loop: Header=BB6_8809 Depth=2
	v_and_b32_e32 v2, 0x7f800000, v58
	s_waitcnt vmcnt(9) lgkmcnt(9)
	v_mov_b32_e32 v100, 0x80
	s_mov_b32 s29, exec_lo
	v_cmpx_ne_u32_e32 0x7f800000, v2
	s_cbranch_execz .LBB6_9637
; %bb.9630:                             ;   in Loop: Header=BB6_8809 Depth=2
	v_mov_b32_e32 v100, 0
	s_mov_b32 s40, exec_lo
	v_cmpx_ne_u32_e32 0, v58
	s_cbranch_execz .LBB6_9636
; %bb.9631:                             ;   in Loop: Header=BB6_8809 Depth=2
	v_bfe_u32 v2, v58, 23, 8
	v_and_b32_e32 v3, 0x7fffff, v58
	v_sub_nc_u32_e32 v100, 0x70, v2
	v_cmp_gt_u32_e32 vcc_lo, 0x71, v2
	v_or_b32_e32 v101, 0x800000, v3
	v_cndmask_b32_e32 v100, 0, v100, vcc_lo
	v_cmp_eq_u32_e32 vcc_lo, 0, v2
	v_add_nc_u32_e32 v2, 0xffffff91, v2
	v_cndmask_b32_e64 v100, v100, 0x6f, vcc_lo
	v_cndmask_b32_e32 v3, v101, v3, vcc_lo
	v_cndmask_b32_e64 v2, v2, 0xffffff92, vcc_lo
	v_lshl_add_u32 v101, 0x200000, v100, -1
	v_lshrrev_b32_e32 v42, v100, v3
	v_lshlrev_b32_e64 v72, v100, 0x100000
	v_and_b32_e32 v3, v101, v3
	v_bfe_u32 v61, v42, 21, 1
	v_cmp_eq_u32_e64 s12, v3, v72
	v_add_nc_u32_e32 v101, -1, v61
	v_lshrrev_b32_e32 v61, 23, v42
	v_cndmask_b32_e64 v3, 0, v101, s12
	s_mov_b32 s12, exec_lo
	v_add_nc_u32_e32 v101, v3, v42
	v_add_nc_u32_e32 v3, v100, v2
                                        ; implicit-def: $vgpr100
	v_and_b32_e32 v2, 0x1fffff, v101
	v_xor_b32_e32 v101, 1, v61
	v_add_nc_u32_e32 v2, v2, v42
	v_cmpx_ne_u32_e64 v3, v101
	s_xor_b32 s12, exec_lo, s12
; %bb.9632:                             ;   in Loop: Header=BB6_8809 Depth=2
	v_cmp_lt_u32_e32 vcc_lo, 0xffffff, v2
	v_sub_nc_u32_e32 v3, v3, v101
	v_cndmask_b32_e64 v101, 0, 1, vcc_lo
	v_add_co_ci_u32_e64 v100, null, 0, v3, vcc_lo
	v_lshrrev_b32_e32 v2, v101, v2
; %bb.9633:                             ;   in Loop: Header=BB6_8809 Depth=2
	s_andn2_saveexec_b32 s12, s12
; %bb.9634:                             ;   in Loop: Header=BB6_8809 Depth=2
	v_bfe_u32 v100, v2, 23, 1
; %bb.9635:                             ;   in Loop: Header=BB6_8809 Depth=2
	s_or_b32 exec_lo, exec_lo, s12
	v_lshrrev_b32_e32 v2, 21, v2
	v_cmp_gt_i32_e32 vcc_lo, 32, v100
	v_min_i32_e32 v3, 31, v100
	v_and_b32_sdwa v101, v58, v44 dst_sel:DWORD dst_unused:UNUSED_PAD src0_sel:BYTE_3 src1_sel:DWORD
	v_cndmask_b32_e32 v2, 3, v2, vcc_lo
	v_lshlrev_b32_e32 v3, 2, v3
	v_and_b32_e32 v42, 3, v2
	v_or_b32_e32 v2, v100, v2
	v_or3_b32 v3, v3, v101, v42
	v_cmp_ne_u32_e32 vcc_lo, 0, v2
	v_cndmask_b32_e32 v100, 0, v3, vcc_lo
.LBB6_9636:                             ;   in Loop: Header=BB6_8809 Depth=2
	s_or_b32 exec_lo, exec_lo, s40
.LBB6_9637:                             ;   in Loop: Header=BB6_8809 Depth=2
	s_or_b32 exec_lo, exec_lo, s29
	v_cmp_gt_i16_sdwa s29, v98, v43 src0_sel:BYTE_0 src1_sel:DWORD
	s_andn2_b32 vcc_lo, exec_lo, s27
	s_mov_b32 s12, -1
                                        ; implicit-def: $vgpr101
	s_cbranch_vccnz .LBB6_9651
; %bb.9638:                             ;   in Loop: Header=BB6_8809 Depth=2
	s_mov_b32 s12, 0
	s_and_saveexec_b32 s40, s29
	s_xor_b32 s29, exec_lo, s40
	s_cbranch_execz .LBB6_10143
; %bb.9639:                             ;   in Loop: Header=BB6_8809 Depth=2
	v_cmp_eq_u16_sdwa s41, v98, v44 src0_sel:BYTE_0 src1_sel:DWORD
	s_mov_b32 s12, -1
	s_and_saveexec_b32 s40, s41
; %bb.9640:                             ;   in Loop: Header=BB6_8809 Depth=2
	s_xor_b32 s12, exec_lo, -1
; %bb.9641:                             ;   in Loop: Header=BB6_8809 Depth=2
	s_or_b32 exec_lo, exec_lo, s40
	s_and_b32 s12, s12, exec_lo
	s_or_saveexec_b32 s29, s29
	v_mov_b32_e32 v101, 0x7f800001
	s_xor_b32 exec_lo, exec_lo, s29
	s_cbranch_execnz .LBB6_10144
.LBB6_9642:                             ;   in Loop: Header=BB6_8809 Depth=2
	s_or_b32 exec_lo, exec_lo, s29
	s_and_saveexec_b32 s29, s12
	s_cbranch_execz .LBB6_9644
.LBB6_9643:                             ;   in Loop: Header=BB6_8809 Depth=2
	v_and_b32_e32 v2, 3, v98
	v_lshrrev_b16 v101, 2, v98
	v_lshlrev_b32_e32 v58, 24, v98
	v_ffbh_u32_e32 v3, v2
	v_and_b32_e32 v101, 31, v101
	v_min_u32_e32 v3, 32, v3
	v_cmp_eq_u32_e32 vcc_lo, 0, v101
	v_subrev_nc_u32_e32 v42, 29, v3
	v_sub_nc_u32_e32 v3, 30, v3
	v_lshlrev_b32_e32 v42, v42, v98
	v_cndmask_b32_e32 v3, v101, v3, vcc_lo
	v_and_b32_e32 v101, 0x80000000, v58
	v_and_b32_e32 v42, 3, v42
	v_lshl_add_u32 v3, v3, 23, 0x37800000
	v_cndmask_b32_e32 v2, v2, v42, vcc_lo
	v_lshlrev_b32_e32 v2, 21, v2
	v_or3_b32 v101, v101, v3, v2
.LBB6_9644:                             ;   in Loop: Header=BB6_8809 Depth=2
	s_or_b32 exec_lo, exec_lo, s29
	s_waitcnt vmcnt(8) lgkmcnt(8)
	v_cmp_gt_i16_sdwa s29, v97, v43 src0_sel:BYTE_0 src1_sel:DWORD
	s_mov_b32 s12, 0
	s_and_saveexec_b32 s40, s29
	s_xor_b32 s29, exec_lo, s40
	s_cbranch_execz .LBB6_10145
; %bb.9645:                             ;   in Loop: Header=BB6_8809 Depth=2
	v_cmp_eq_u16_sdwa s41, v97, v44 src0_sel:BYTE_0 src1_sel:DWORD
	s_mov_b32 s12, -1
	s_and_saveexec_b32 s40, s41
; %bb.9646:                             ;   in Loop: Header=BB6_8809 Depth=2
	s_xor_b32 s12, exec_lo, -1
; %bb.9647:                             ;   in Loop: Header=BB6_8809 Depth=2
	s_or_b32 exec_lo, exec_lo, s40
	s_and_b32 s12, s12, exec_lo
	s_or_saveexec_b32 s29, s29
	v_mov_b32_e32 v2, 0x7f800001
	s_xor_b32 exec_lo, exec_lo, s29
	s_cbranch_execnz .LBB6_10146
.LBB6_9648:                             ;   in Loop: Header=BB6_8809 Depth=2
	s_or_b32 exec_lo, exec_lo, s29
	s_and_saveexec_b32 s29, s12
	s_cbranch_execz .LBB6_9650
.LBB6_9649:                             ;   in Loop: Header=BB6_8809 Depth=2
	v_and_b32_e32 v2, 3, v97
	v_lshrrev_b16 v42, 2, v97
	v_lshlrev_b32_e32 v61, 24, v97
	v_ffbh_u32_e32 v3, v2
	v_and_b32_e32 v42, 31, v42
	v_min_u32_e32 v3, 32, v3
	v_cmp_eq_u32_e32 vcc_lo, 0, v42
	v_subrev_nc_u32_e32 v58, 29, v3
	v_sub_nc_u32_e32 v3, 30, v3
	v_lshlrev_b32_e32 v58, v58, v97
	v_cndmask_b32_e32 v3, v42, v3, vcc_lo
	v_and_b32_e32 v42, 0x80000000, v61
	v_and_b32_e32 v58, 3, v58
	v_lshl_add_u32 v3, v3, 23, 0x37800000
	v_cndmask_b32_e32 v2, v2, v58, vcc_lo
	v_lshlrev_b32_e32 v2, 21, v2
	v_or3_b32 v2, v42, v3, v2
.LBB6_9650:                             ;   in Loop: Header=BB6_8809 Depth=2
	s_or_b32 exec_lo, exec_lo, s29
	v_max_f32_e32 v2, v2, v2
	v_max_f32_e32 v3, v101, v101
	s_mov_b32 s12, 0
	v_max_f32_e32 v101, v3, v2
.LBB6_9651:                             ;   in Loop: Header=BB6_8809 Depth=2
	s_and_b32 vcc_lo, exec_lo, s12
	s_cbranch_vccz .LBB6_9665
; %bb.9652:                             ;   in Loop: Header=BB6_8809 Depth=2
	v_cmp_gt_i16_sdwa s29, v98, v43 src0_sel:BYTE_0 src1_sel:DWORD
	s_mov_b32 s12, 0
	s_and_saveexec_b32 s40, s29
	s_xor_b32 s29, exec_lo, s40
	s_cbranch_execz .LBB6_10147
; %bb.9653:                             ;   in Loop: Header=BB6_8809 Depth=2
	v_cmp_eq_u16_sdwa s41, v98, v44 src0_sel:BYTE_0 src1_sel:DWORD
	s_mov_b32 s12, -1
	s_and_saveexec_b32 s40, s41
; %bb.9654:                             ;   in Loop: Header=BB6_8809 Depth=2
	s_xor_b32 s12, exec_lo, -1
; %bb.9655:                             ;   in Loop: Header=BB6_8809 Depth=2
	s_or_b32 exec_lo, exec_lo, s40
	s_and_b32 s12, s12, exec_lo
	s_or_saveexec_b32 s29, s29
	v_mov_b32_e32 v101, 0x7f800001
	s_xor_b32 exec_lo, exec_lo, s29
	s_cbranch_execnz .LBB6_10148
.LBB6_9656:                             ;   in Loop: Header=BB6_8809 Depth=2
	s_or_b32 exec_lo, exec_lo, s29
	s_and_saveexec_b32 s29, s12
	s_cbranch_execz .LBB6_9658
.LBB6_9657:                             ;   in Loop: Header=BB6_8809 Depth=2
	v_and_b32_e32 v2, 3, v98
	v_lshrrev_b16 v101, 2, v98
	v_ffbh_u32_e32 v3, v2
	v_and_b32_e32 v101, 31, v101
	v_min_u32_e32 v3, 32, v3
	v_cmp_eq_u32_e32 vcc_lo, 0, v101
	v_subrev_nc_u32_e32 v42, 29, v3
	v_sub_nc_u32_e32 v3, 30, v3
	v_lshlrev_b32_e32 v42, v42, v98
	v_lshlrev_b32_e32 v98, 24, v98
	v_cndmask_b32_e32 v3, v101, v3, vcc_lo
	v_and_b32_e32 v42, 3, v42
	v_and_b32_e32 v98, 0x80000000, v98
	v_lshl_add_u32 v3, v3, 23, 0x37800000
	v_cndmask_b32_e32 v2, v2, v42, vcc_lo
	v_lshlrev_b32_e32 v2, 21, v2
	v_or3_b32 v101, v98, v3, v2
.LBB6_9658:                             ;   in Loop: Header=BB6_8809 Depth=2
	s_or_b32 exec_lo, exec_lo, s29
	s_waitcnt vmcnt(8) lgkmcnt(8)
	v_cmp_gt_i16_sdwa s29, v97, v43 src0_sel:BYTE_0 src1_sel:DWORD
	s_mov_b32 s12, 0
	s_and_saveexec_b32 s40, s29
	s_xor_b32 s29, exec_lo, s40
	s_cbranch_execz .LBB6_10149
; %bb.9659:                             ;   in Loop: Header=BB6_8809 Depth=2
	v_cmp_eq_u16_sdwa s41, v97, v44 src0_sel:BYTE_0 src1_sel:DWORD
	s_mov_b32 s12, -1
	s_and_saveexec_b32 s40, s41
; %bb.9660:                             ;   in Loop: Header=BB6_8809 Depth=2
	s_xor_b32 s12, exec_lo, -1
; %bb.9661:                             ;   in Loop: Header=BB6_8809 Depth=2
	s_or_b32 exec_lo, exec_lo, s40
	s_and_b32 s12, s12, exec_lo
	s_or_saveexec_b32 s29, s29
	v_mov_b32_e32 v2, 0x7f800001
	s_xor_b32 exec_lo, exec_lo, s29
	s_cbranch_execnz .LBB6_10150
.LBB6_9662:                             ;   in Loop: Header=BB6_8809 Depth=2
	s_or_b32 exec_lo, exec_lo, s29
	s_and_saveexec_b32 s29, s12
	s_cbranch_execz .LBB6_9664
.LBB6_9663:                             ;   in Loop: Header=BB6_8809 Depth=2
	v_and_b32_e32 v2, 3, v97
	v_lshrrev_b16 v98, 2, v97
	v_ffbh_u32_e32 v3, v2
	v_and_b32_e32 v98, 31, v98
	v_min_u32_e32 v3, 32, v3
	v_cmp_eq_u32_e32 vcc_lo, 0, v98
	v_subrev_nc_u32_e32 v42, 29, v3
	v_sub_nc_u32_e32 v3, 30, v3
	v_lshlrev_b32_e32 v42, v42, v97
	v_lshlrev_b32_e32 v97, 24, v97
	v_cndmask_b32_e32 v3, v98, v3, vcc_lo
	v_and_b32_e32 v42, 3, v42
	v_and_b32_e32 v97, 0x80000000, v97
	v_lshl_add_u32 v3, v3, 23, 0x37800000
	v_cndmask_b32_e32 v2, v2, v42, vcc_lo
	v_lshlrev_b32_e32 v2, 21, v2
	v_or3_b32 v2, v97, v3, v2
.LBB6_9664:                             ;   in Loop: Header=BB6_8809 Depth=2
	s_or_b32 exec_lo, exec_lo, s29
	v_max_f32_e32 v2, v2, v2
	v_max_f32_e32 v3, v101, v101
	v_min_f32_e32 v101, v3, v2
.LBB6_9665:                             ;   in Loop: Header=BB6_8809 Depth=2
	v_and_b32_e32 v2, 0x7f800000, v101
	s_waitcnt vmcnt(8) lgkmcnt(8)
	v_mov_b32_e32 v97, 0x80
	s_mov_b32 s29, exec_lo
	v_cmpx_ne_u32_e32 0x7f800000, v2
	s_cbranch_execz .LBB6_9673
; %bb.9666:                             ;   in Loop: Header=BB6_8809 Depth=2
	v_mov_b32_e32 v97, 0
	s_mov_b32 s40, exec_lo
	v_cmpx_ne_u32_e32 0, v101
	s_cbranch_execz .LBB6_9672
; %bb.9667:                             ;   in Loop: Header=BB6_8809 Depth=2
	v_bfe_u32 v2, v101, 23, 8
	v_and_b32_e32 v3, 0x7fffff, v101
	v_sub_nc_u32_e32 v97, 0x70, v2
	v_cmp_gt_u32_e32 vcc_lo, 0x71, v2
	v_or_b32_e32 v98, 0x800000, v3
	v_cndmask_b32_e32 v97, 0, v97, vcc_lo
	v_cmp_eq_u32_e32 vcc_lo, 0, v2
	v_add_nc_u32_e32 v2, 0xffffff91, v2
	v_cndmask_b32_e64 v97, v97, 0x6f, vcc_lo
	v_cndmask_b32_e32 v3, v98, v3, vcc_lo
	v_cndmask_b32_e64 v2, v2, 0xffffff92, vcc_lo
	v_lshl_add_u32 v98, 0x200000, v97, -1
	v_lshrrev_b32_e32 v42, v97, v3
	v_lshlrev_b32_e64 v61, v97, 0x100000
	v_and_b32_e32 v3, v98, v3
	v_bfe_u32 v58, v42, 21, 1
	v_cmp_eq_u32_e64 s12, v3, v61
	v_add_nc_u32_e32 v98, -1, v58
	v_lshrrev_b32_e32 v58, 23, v42
	v_cndmask_b32_e64 v3, 0, v98, s12
	s_mov_b32 s12, exec_lo
	v_add_nc_u32_e32 v98, v3, v42
	v_add_nc_u32_e32 v3, v97, v2
                                        ; implicit-def: $vgpr97
	v_and_b32_e32 v2, 0x1fffff, v98
	v_xor_b32_e32 v98, 1, v58
	v_add_nc_u32_e32 v2, v2, v42
	v_cmpx_ne_u32_e64 v3, v98
	s_xor_b32 s12, exec_lo, s12
; %bb.9668:                             ;   in Loop: Header=BB6_8809 Depth=2
	v_cmp_lt_u32_e32 vcc_lo, 0xffffff, v2
	v_sub_nc_u32_e32 v3, v3, v98
	v_cndmask_b32_e64 v98, 0, 1, vcc_lo
	v_add_co_ci_u32_e64 v97, null, 0, v3, vcc_lo
	v_lshrrev_b32_e32 v2, v98, v2
; %bb.9669:                             ;   in Loop: Header=BB6_8809 Depth=2
	s_andn2_saveexec_b32 s12, s12
; %bb.9670:                             ;   in Loop: Header=BB6_8809 Depth=2
	v_bfe_u32 v97, v2, 23, 1
; %bb.9671:                             ;   in Loop: Header=BB6_8809 Depth=2
	s_or_b32 exec_lo, exec_lo, s12
	v_lshrrev_b32_e32 v2, 21, v2
	v_cmp_gt_i32_e32 vcc_lo, 32, v97
	v_min_i32_e32 v3, 31, v97
	v_and_b32_sdwa v98, v101, v44 dst_sel:DWORD dst_unused:UNUSED_PAD src0_sel:BYTE_3 src1_sel:DWORD
	v_cndmask_b32_e32 v2, 3, v2, vcc_lo
	v_lshlrev_b32_e32 v3, 2, v3
	v_and_b32_e32 v101, 3, v2
	v_or_b32_e32 v2, v97, v2
	v_or3_b32 v3, v3, v98, v101
	v_cmp_ne_u32_e32 vcc_lo, 0, v2
	v_cndmask_b32_e32 v97, 0, v3, vcc_lo
.LBB6_9672:                             ;   in Loop: Header=BB6_8809 Depth=2
	s_or_b32 exec_lo, exec_lo, s40
.LBB6_9673:                             ;   in Loop: Header=BB6_8809 Depth=2
	s_or_b32 exec_lo, exec_lo, s29
	v_cmp_gt_i16_sdwa s29, v86, v43 src0_sel:BYTE_0 src1_sel:DWORD
	s_andn2_b32 vcc_lo, exec_lo, s27
	s_mov_b32 s12, -1
                                        ; implicit-def: $vgpr98
	s_cbranch_vccnz .LBB6_9687
; %bb.9674:                             ;   in Loop: Header=BB6_8809 Depth=2
	s_mov_b32 s12, 0
	s_and_saveexec_b32 s40, s29
	s_xor_b32 s29, exec_lo, s40
	s_cbranch_execz .LBB6_10151
; %bb.9675:                             ;   in Loop: Header=BB6_8809 Depth=2
	v_cmp_eq_u16_sdwa s41, v86, v44 src0_sel:BYTE_0 src1_sel:DWORD
	s_mov_b32 s12, -1
	s_and_saveexec_b32 s40, s41
; %bb.9676:                             ;   in Loop: Header=BB6_8809 Depth=2
	s_xor_b32 s12, exec_lo, -1
; %bb.9677:                             ;   in Loop: Header=BB6_8809 Depth=2
	s_or_b32 exec_lo, exec_lo, s40
	s_and_b32 s12, s12, exec_lo
	s_or_saveexec_b32 s29, s29
	v_mov_b32_e32 v98, 0x7f800001
	s_xor_b32 exec_lo, exec_lo, s29
	s_cbranch_execnz .LBB6_10152
.LBB6_9678:                             ;   in Loop: Header=BB6_8809 Depth=2
	s_or_b32 exec_lo, exec_lo, s29
	s_and_saveexec_b32 s29, s12
	s_cbranch_execz .LBB6_9680
.LBB6_9679:                             ;   in Loop: Header=BB6_8809 Depth=2
	v_and_b32_e32 v2, 3, v86
	v_lshrrev_b16 v98, 2, v86
	v_lshlrev_b32_e32 v42, 24, v86
	v_ffbh_u32_e32 v3, v2
	v_and_b32_e32 v98, 31, v98
	v_min_u32_e32 v3, 32, v3
	v_cmp_eq_u32_e32 vcc_lo, 0, v98
	v_subrev_nc_u32_e32 v101, 29, v3
	v_sub_nc_u32_e32 v3, 30, v3
	v_lshlrev_b32_e32 v101, v101, v86
	v_cndmask_b32_e32 v3, v98, v3, vcc_lo
	v_and_b32_e32 v98, 0x80000000, v42
	v_and_b32_e32 v101, 3, v101
	v_lshl_add_u32 v3, v3, 23, 0x37800000
	v_cndmask_b32_e32 v2, v2, v101, vcc_lo
	v_lshlrev_b32_e32 v2, 21, v2
	v_or3_b32 v98, v98, v3, v2
.LBB6_9680:                             ;   in Loop: Header=BB6_8809 Depth=2
	s_or_b32 exec_lo, exec_lo, s29
	s_waitcnt vmcnt(7) lgkmcnt(7)
	v_cmp_gt_i16_sdwa s29, v85, v43 src0_sel:BYTE_0 src1_sel:DWORD
	s_mov_b32 s12, 0
	s_and_saveexec_b32 s40, s29
	s_xor_b32 s29, exec_lo, s40
	s_cbranch_execz .LBB6_10153
; %bb.9681:                             ;   in Loop: Header=BB6_8809 Depth=2
	v_cmp_eq_u16_sdwa s41, v85, v44 src0_sel:BYTE_0 src1_sel:DWORD
	s_mov_b32 s12, -1
	s_and_saveexec_b32 s40, s41
; %bb.9682:                             ;   in Loop: Header=BB6_8809 Depth=2
	s_xor_b32 s12, exec_lo, -1
; %bb.9683:                             ;   in Loop: Header=BB6_8809 Depth=2
	s_or_b32 exec_lo, exec_lo, s40
	s_and_b32 s12, s12, exec_lo
	s_or_saveexec_b32 s29, s29
	v_mov_b32_e32 v2, 0x7f800001
	s_xor_b32 exec_lo, exec_lo, s29
	s_cbranch_execnz .LBB6_10154
.LBB6_9684:                             ;   in Loop: Header=BB6_8809 Depth=2
	s_or_b32 exec_lo, exec_lo, s29
	s_and_saveexec_b32 s29, s12
	s_cbranch_execz .LBB6_9686
.LBB6_9685:                             ;   in Loop: Header=BB6_8809 Depth=2
	v_and_b32_e32 v2, 3, v85
	v_lshrrev_b16 v101, 2, v85
	v_lshlrev_b32_e32 v58, 24, v85
	v_ffbh_u32_e32 v3, v2
	v_and_b32_e32 v101, 31, v101
	v_min_u32_e32 v3, 32, v3
	v_cmp_eq_u32_e32 vcc_lo, 0, v101
	v_subrev_nc_u32_e32 v42, 29, v3
	v_sub_nc_u32_e32 v3, 30, v3
	v_lshlrev_b32_e32 v42, v42, v85
	v_cndmask_b32_e32 v3, v101, v3, vcc_lo
	v_and_b32_e32 v101, 0x80000000, v58
	v_and_b32_e32 v42, 3, v42
	v_lshl_add_u32 v3, v3, 23, 0x37800000
	v_cndmask_b32_e32 v2, v2, v42, vcc_lo
	v_lshlrev_b32_e32 v2, 21, v2
	v_or3_b32 v2, v101, v3, v2
.LBB6_9686:                             ;   in Loop: Header=BB6_8809 Depth=2
	s_or_b32 exec_lo, exec_lo, s29
	v_max_f32_e32 v2, v2, v2
	v_max_f32_e32 v3, v98, v98
	s_mov_b32 s12, 0
	v_max_f32_e32 v98, v3, v2
.LBB6_9687:                             ;   in Loop: Header=BB6_8809 Depth=2
	s_and_b32 vcc_lo, exec_lo, s12
	s_cbranch_vccz .LBB6_9701
; %bb.9688:                             ;   in Loop: Header=BB6_8809 Depth=2
	v_cmp_gt_i16_sdwa s29, v86, v43 src0_sel:BYTE_0 src1_sel:DWORD
	s_mov_b32 s12, 0
	s_and_saveexec_b32 s40, s29
	s_xor_b32 s29, exec_lo, s40
	s_cbranch_execz .LBB6_10155
; %bb.9689:                             ;   in Loop: Header=BB6_8809 Depth=2
	v_cmp_eq_u16_sdwa s41, v86, v44 src0_sel:BYTE_0 src1_sel:DWORD
	s_mov_b32 s12, -1
	s_and_saveexec_b32 s40, s41
; %bb.9690:                             ;   in Loop: Header=BB6_8809 Depth=2
	s_xor_b32 s12, exec_lo, -1
; %bb.9691:                             ;   in Loop: Header=BB6_8809 Depth=2
	s_or_b32 exec_lo, exec_lo, s40
	s_and_b32 s12, s12, exec_lo
	s_or_saveexec_b32 s29, s29
	v_mov_b32_e32 v98, 0x7f800001
	s_xor_b32 exec_lo, exec_lo, s29
	s_cbranch_execnz .LBB6_10156
.LBB6_9692:                             ;   in Loop: Header=BB6_8809 Depth=2
	s_or_b32 exec_lo, exec_lo, s29
	s_and_saveexec_b32 s29, s12
	s_cbranch_execz .LBB6_9694
.LBB6_9693:                             ;   in Loop: Header=BB6_8809 Depth=2
	v_and_b32_e32 v2, 3, v86
	v_lshrrev_b16 v98, 2, v86
	v_ffbh_u32_e32 v3, v2
	v_and_b32_e32 v98, 31, v98
	v_min_u32_e32 v3, 32, v3
	v_cmp_eq_u32_e32 vcc_lo, 0, v98
	v_subrev_nc_u32_e32 v101, 29, v3
	v_sub_nc_u32_e32 v3, 30, v3
	v_lshlrev_b32_e32 v101, v101, v86
	v_lshlrev_b32_e32 v86, 24, v86
	v_cndmask_b32_e32 v3, v98, v3, vcc_lo
	v_and_b32_e32 v101, 3, v101
	v_and_b32_e32 v86, 0x80000000, v86
	v_lshl_add_u32 v3, v3, 23, 0x37800000
	v_cndmask_b32_e32 v2, v2, v101, vcc_lo
	v_lshlrev_b32_e32 v2, 21, v2
	v_or3_b32 v98, v86, v3, v2
.LBB6_9694:                             ;   in Loop: Header=BB6_8809 Depth=2
	s_or_b32 exec_lo, exec_lo, s29
	s_waitcnt vmcnt(7) lgkmcnt(7)
	v_cmp_gt_i16_sdwa s29, v85, v43 src0_sel:BYTE_0 src1_sel:DWORD
	s_mov_b32 s12, 0
	s_and_saveexec_b32 s40, s29
	s_xor_b32 s29, exec_lo, s40
	s_cbranch_execz .LBB6_10157
; %bb.9695:                             ;   in Loop: Header=BB6_8809 Depth=2
	v_cmp_eq_u16_sdwa s41, v85, v44 src0_sel:BYTE_0 src1_sel:DWORD
	s_mov_b32 s12, -1
	s_and_saveexec_b32 s40, s41
; %bb.9696:                             ;   in Loop: Header=BB6_8809 Depth=2
	s_xor_b32 s12, exec_lo, -1
; %bb.9697:                             ;   in Loop: Header=BB6_8809 Depth=2
	s_or_b32 exec_lo, exec_lo, s40
	s_and_b32 s12, s12, exec_lo
	s_or_saveexec_b32 s29, s29
	v_mov_b32_e32 v2, 0x7f800001
	s_xor_b32 exec_lo, exec_lo, s29
	s_cbranch_execnz .LBB6_10158
.LBB6_9698:                             ;   in Loop: Header=BB6_8809 Depth=2
	s_or_b32 exec_lo, exec_lo, s29
	s_and_saveexec_b32 s29, s12
	s_cbranch_execz .LBB6_9700
.LBB6_9699:                             ;   in Loop: Header=BB6_8809 Depth=2
	v_and_b32_e32 v2, 3, v85
	v_lshrrev_b16 v86, 2, v85
	v_ffbh_u32_e32 v3, v2
	v_and_b32_e32 v86, 31, v86
	v_min_u32_e32 v3, 32, v3
	v_cmp_eq_u32_e32 vcc_lo, 0, v86
	v_subrev_nc_u32_e32 v101, 29, v3
	v_sub_nc_u32_e32 v3, 30, v3
	v_lshlrev_b32_e32 v101, v101, v85
	v_lshlrev_b32_e32 v85, 24, v85
	v_cndmask_b32_e32 v3, v86, v3, vcc_lo
	v_and_b32_e32 v101, 3, v101
	v_and_b32_e32 v85, 0x80000000, v85
	v_lshl_add_u32 v3, v3, 23, 0x37800000
	v_cndmask_b32_e32 v2, v2, v101, vcc_lo
	v_lshlrev_b32_e32 v2, 21, v2
	v_or3_b32 v2, v85, v3, v2
.LBB6_9700:                             ;   in Loop: Header=BB6_8809 Depth=2
	s_or_b32 exec_lo, exec_lo, s29
	v_max_f32_e32 v2, v2, v2
	v_max_f32_e32 v3, v98, v98
	v_min_f32_e32 v98, v3, v2
.LBB6_9701:                             ;   in Loop: Header=BB6_8809 Depth=2
	v_and_b32_e32 v2, 0x7f800000, v98
	s_waitcnt vmcnt(7) lgkmcnt(7)
	v_mov_b32_e32 v85, 0x80
	s_mov_b32 s29, exec_lo
	v_cmpx_ne_u32_e32 0x7f800000, v2
	s_cbranch_execz .LBB6_9709
; %bb.9702:                             ;   in Loop: Header=BB6_8809 Depth=2
	v_mov_b32_e32 v85, 0
	s_mov_b32 s40, exec_lo
	v_cmpx_ne_u32_e32 0, v98
	s_cbranch_execz .LBB6_9708
; %bb.9703:                             ;   in Loop: Header=BB6_8809 Depth=2
	v_bfe_u32 v2, v98, 23, 8
	v_and_b32_e32 v3, 0x7fffff, v98
	v_sub_nc_u32_e32 v85, 0x70, v2
	v_cmp_gt_u32_e32 vcc_lo, 0x71, v2
	v_or_b32_e32 v86, 0x800000, v3
	v_cndmask_b32_e32 v85, 0, v85, vcc_lo
	v_cmp_eq_u32_e32 vcc_lo, 0, v2
	v_add_nc_u32_e32 v2, 0xffffff91, v2
	v_cndmask_b32_e64 v85, v85, 0x6f, vcc_lo
	v_cndmask_b32_e32 v3, v86, v3, vcc_lo
	v_cndmask_b32_e64 v2, v2, 0xffffff92, vcc_lo
	v_lshl_add_u32 v86, 0x200000, v85, -1
	v_lshrrev_b32_e32 v101, v85, v3
	v_lshlrev_b32_e64 v58, v85, 0x100000
	v_and_b32_e32 v3, v86, v3
	v_bfe_u32 v42, v101, 21, 1
	v_cmp_eq_u32_e64 s12, v3, v58
	v_add_nc_u32_e32 v86, -1, v42
	v_lshrrev_b32_e32 v42, 23, v101
	v_cndmask_b32_e64 v3, 0, v86, s12
	s_mov_b32 s12, exec_lo
	v_add_nc_u32_e32 v86, v3, v101
	v_add_nc_u32_e32 v3, v85, v2
                                        ; implicit-def: $vgpr85
	v_and_b32_e32 v2, 0x1fffff, v86
	v_xor_b32_e32 v86, 1, v42
	v_add_nc_u32_e32 v2, v2, v101
	v_cmpx_ne_u32_e64 v3, v86
	s_xor_b32 s12, exec_lo, s12
; %bb.9704:                             ;   in Loop: Header=BB6_8809 Depth=2
	v_cmp_lt_u32_e32 vcc_lo, 0xffffff, v2
	v_sub_nc_u32_e32 v3, v3, v86
	v_cndmask_b32_e64 v86, 0, 1, vcc_lo
	v_add_co_ci_u32_e64 v85, null, 0, v3, vcc_lo
	v_lshrrev_b32_e32 v2, v86, v2
; %bb.9705:                             ;   in Loop: Header=BB6_8809 Depth=2
	s_andn2_saveexec_b32 s12, s12
; %bb.9706:                             ;   in Loop: Header=BB6_8809 Depth=2
	v_bfe_u32 v85, v2, 23, 1
; %bb.9707:                             ;   in Loop: Header=BB6_8809 Depth=2
	s_or_b32 exec_lo, exec_lo, s12
	v_lshrrev_b32_e32 v2, 21, v2
	v_cmp_gt_i32_e32 vcc_lo, 32, v85
	v_min_i32_e32 v3, 31, v85
	v_and_b32_sdwa v86, v98, v44 dst_sel:DWORD dst_unused:UNUSED_PAD src0_sel:BYTE_3 src1_sel:DWORD
	v_cndmask_b32_e32 v2, 3, v2, vcc_lo
	v_lshlrev_b32_e32 v3, 2, v3
	v_and_b32_e32 v98, 3, v2
	v_or_b32_e32 v2, v85, v2
	v_or3_b32 v3, v3, v86, v98
	v_cmp_ne_u32_e32 vcc_lo, 0, v2
	v_cndmask_b32_e32 v85, 0, v3, vcc_lo
.LBB6_9708:                             ;   in Loop: Header=BB6_8809 Depth=2
	s_or_b32 exec_lo, exec_lo, s40
.LBB6_9709:                             ;   in Loop: Header=BB6_8809 Depth=2
	s_or_b32 exec_lo, exec_lo, s29
	v_cmp_gt_i16_sdwa s29, v50, v43 src0_sel:BYTE_0 src1_sel:DWORD
	s_andn2_b32 vcc_lo, exec_lo, s27
	s_mov_b32 s12, -1
                                        ; implicit-def: $vgpr86
	s_cbranch_vccnz .LBB6_9723
; %bb.9710:                             ;   in Loop: Header=BB6_8809 Depth=2
	s_mov_b32 s12, 0
	s_and_saveexec_b32 s40, s29
	s_xor_b32 s29, exec_lo, s40
	s_cbranch_execz .LBB6_10159
; %bb.9711:                             ;   in Loop: Header=BB6_8809 Depth=2
	v_cmp_eq_u16_sdwa s41, v50, v44 src0_sel:BYTE_0 src1_sel:DWORD
	s_mov_b32 s12, -1
	s_and_saveexec_b32 s40, s41
; %bb.9712:                             ;   in Loop: Header=BB6_8809 Depth=2
	s_xor_b32 s12, exec_lo, -1
; %bb.9713:                             ;   in Loop: Header=BB6_8809 Depth=2
	s_or_b32 exec_lo, exec_lo, s40
	s_and_b32 s12, s12, exec_lo
	s_or_saveexec_b32 s29, s29
	v_mov_b32_e32 v86, 0x7f800001
	s_xor_b32 exec_lo, exec_lo, s29
	s_cbranch_execnz .LBB6_10160
.LBB6_9714:                             ;   in Loop: Header=BB6_8809 Depth=2
	s_or_b32 exec_lo, exec_lo, s29
	s_and_saveexec_b32 s29, s12
	s_cbranch_execz .LBB6_9716
.LBB6_9715:                             ;   in Loop: Header=BB6_8809 Depth=2
	v_and_b32_e32 v2, 3, v50
	v_lshrrev_b16 v86, 2, v50
	v_lshlrev_b32_e32 v101, 24, v50
	v_ffbh_u32_e32 v3, v2
	v_and_b32_e32 v86, 31, v86
	v_min_u32_e32 v3, 32, v3
	v_cmp_eq_u32_e32 vcc_lo, 0, v86
	v_subrev_nc_u32_e32 v98, 29, v3
	v_sub_nc_u32_e32 v3, 30, v3
	v_lshlrev_b32_e32 v98, v98, v50
	v_cndmask_b32_e32 v3, v86, v3, vcc_lo
	v_and_b32_e32 v86, 0x80000000, v101
	v_and_b32_e32 v98, 3, v98
	v_lshl_add_u32 v3, v3, 23, 0x37800000
	v_cndmask_b32_e32 v2, v2, v98, vcc_lo
	v_lshlrev_b32_e32 v2, 21, v2
	v_or3_b32 v86, v86, v3, v2
.LBB6_9716:                             ;   in Loop: Header=BB6_8809 Depth=2
	s_or_b32 exec_lo, exec_lo, s29
	s_waitcnt vmcnt(6) lgkmcnt(6)
	v_cmp_gt_i16_sdwa s29, v48, v43 src0_sel:BYTE_0 src1_sel:DWORD
	s_mov_b32 s12, 0
	s_and_saveexec_b32 s40, s29
	s_xor_b32 s29, exec_lo, s40
	s_cbranch_execz .LBB6_10161
; %bb.9717:                             ;   in Loop: Header=BB6_8809 Depth=2
	v_cmp_eq_u16_sdwa s41, v48, v44 src0_sel:BYTE_0 src1_sel:DWORD
	s_mov_b32 s12, -1
	s_and_saveexec_b32 s40, s41
; %bb.9718:                             ;   in Loop: Header=BB6_8809 Depth=2
	s_xor_b32 s12, exec_lo, -1
; %bb.9719:                             ;   in Loop: Header=BB6_8809 Depth=2
	s_or_b32 exec_lo, exec_lo, s40
	s_and_b32 s12, s12, exec_lo
	s_or_saveexec_b32 s29, s29
	v_mov_b32_e32 v2, 0x7f800001
	s_xor_b32 exec_lo, exec_lo, s29
	s_cbranch_execnz .LBB6_10162
.LBB6_9720:                             ;   in Loop: Header=BB6_8809 Depth=2
	s_or_b32 exec_lo, exec_lo, s29
	s_and_saveexec_b32 s29, s12
	s_cbranch_execz .LBB6_9722
.LBB6_9721:                             ;   in Loop: Header=BB6_8809 Depth=2
	v_and_b32_e32 v2, 3, v48
	v_lshrrev_b16 v98, 2, v48
	v_lshlrev_b32_e32 v42, 24, v48
	v_ffbh_u32_e32 v3, v2
	v_and_b32_e32 v98, 31, v98
	v_min_u32_e32 v3, 32, v3
	v_cmp_eq_u32_e32 vcc_lo, 0, v98
	v_subrev_nc_u32_e32 v101, 29, v3
	v_sub_nc_u32_e32 v3, 30, v3
	v_lshlrev_b32_e32 v101, v101, v48
	v_cndmask_b32_e32 v3, v98, v3, vcc_lo
	v_and_b32_e32 v98, 0x80000000, v42
	v_and_b32_e32 v101, 3, v101
	v_lshl_add_u32 v3, v3, 23, 0x37800000
	v_cndmask_b32_e32 v2, v2, v101, vcc_lo
	v_lshlrev_b32_e32 v2, 21, v2
	v_or3_b32 v2, v98, v3, v2
.LBB6_9722:                             ;   in Loop: Header=BB6_8809 Depth=2
	s_or_b32 exec_lo, exec_lo, s29
	v_max_f32_e32 v2, v2, v2
	v_max_f32_e32 v3, v86, v86
	s_mov_b32 s12, 0
	v_max_f32_e32 v86, v3, v2
.LBB6_9723:                             ;   in Loop: Header=BB6_8809 Depth=2
	s_and_b32 vcc_lo, exec_lo, s12
	s_cbranch_vccz .LBB6_9737
; %bb.9724:                             ;   in Loop: Header=BB6_8809 Depth=2
	v_cmp_gt_i16_sdwa s29, v50, v43 src0_sel:BYTE_0 src1_sel:DWORD
	s_mov_b32 s12, 0
	s_and_saveexec_b32 s40, s29
	s_xor_b32 s29, exec_lo, s40
	s_cbranch_execz .LBB6_10163
; %bb.9725:                             ;   in Loop: Header=BB6_8809 Depth=2
	v_cmp_eq_u16_sdwa s41, v50, v44 src0_sel:BYTE_0 src1_sel:DWORD
	s_mov_b32 s12, -1
	s_and_saveexec_b32 s40, s41
; %bb.9726:                             ;   in Loop: Header=BB6_8809 Depth=2
	s_xor_b32 s12, exec_lo, -1
; %bb.9727:                             ;   in Loop: Header=BB6_8809 Depth=2
	s_or_b32 exec_lo, exec_lo, s40
	s_and_b32 s12, s12, exec_lo
	s_or_saveexec_b32 s29, s29
	v_mov_b32_e32 v86, 0x7f800001
	s_xor_b32 exec_lo, exec_lo, s29
	s_cbranch_execnz .LBB6_10164
.LBB6_9728:                             ;   in Loop: Header=BB6_8809 Depth=2
	s_or_b32 exec_lo, exec_lo, s29
	s_and_saveexec_b32 s29, s12
	s_cbranch_execz .LBB6_9730
.LBB6_9729:                             ;   in Loop: Header=BB6_8809 Depth=2
	v_and_b32_e32 v2, 3, v50
	v_lshrrev_b16 v86, 2, v50
	v_ffbh_u32_e32 v3, v2
	v_and_b32_e32 v86, 31, v86
	v_min_u32_e32 v3, 32, v3
	v_cmp_eq_u32_e32 vcc_lo, 0, v86
	v_subrev_nc_u32_e32 v98, 29, v3
	v_sub_nc_u32_e32 v3, 30, v3
	v_lshlrev_b32_e32 v98, v98, v50
	v_lshlrev_b32_e32 v50, 24, v50
	v_cndmask_b32_e32 v3, v86, v3, vcc_lo
	v_and_b32_e32 v98, 3, v98
	v_and_b32_e32 v50, 0x80000000, v50
	v_lshl_add_u32 v3, v3, 23, 0x37800000
	v_cndmask_b32_e32 v2, v2, v98, vcc_lo
	v_lshlrev_b32_e32 v2, 21, v2
	v_or3_b32 v86, v50, v3, v2
.LBB6_9730:                             ;   in Loop: Header=BB6_8809 Depth=2
	s_or_b32 exec_lo, exec_lo, s29
	s_waitcnt vmcnt(6) lgkmcnt(6)
	v_cmp_gt_i16_sdwa s29, v48, v43 src0_sel:BYTE_0 src1_sel:DWORD
	s_mov_b32 s12, 0
	s_and_saveexec_b32 s40, s29
	s_xor_b32 s29, exec_lo, s40
	s_cbranch_execz .LBB6_10165
; %bb.9731:                             ;   in Loop: Header=BB6_8809 Depth=2
	v_cmp_eq_u16_sdwa s41, v48, v44 src0_sel:BYTE_0 src1_sel:DWORD
	s_mov_b32 s12, -1
	s_and_saveexec_b32 s40, s41
; %bb.9732:                             ;   in Loop: Header=BB6_8809 Depth=2
	s_xor_b32 s12, exec_lo, -1
; %bb.9733:                             ;   in Loop: Header=BB6_8809 Depth=2
	s_or_b32 exec_lo, exec_lo, s40
	s_and_b32 s12, s12, exec_lo
	s_or_saveexec_b32 s29, s29
	v_mov_b32_e32 v2, 0x7f800001
	s_xor_b32 exec_lo, exec_lo, s29
	s_cbranch_execnz .LBB6_10166
.LBB6_9734:                             ;   in Loop: Header=BB6_8809 Depth=2
	s_or_b32 exec_lo, exec_lo, s29
	s_and_saveexec_b32 s29, s12
	s_cbranch_execz .LBB6_9736
.LBB6_9735:                             ;   in Loop: Header=BB6_8809 Depth=2
	v_and_b32_e32 v2, 3, v48
	v_lshrrev_b16 v50, 2, v48
	v_ffbh_u32_e32 v3, v2
	v_and_b32_e32 v50, 31, v50
	v_min_u32_e32 v3, 32, v3
	v_cmp_eq_u32_e32 vcc_lo, 0, v50
	v_subrev_nc_u32_e32 v98, 29, v3
	v_sub_nc_u32_e32 v3, 30, v3
	v_lshlrev_b32_e32 v98, v98, v48
	v_lshlrev_b32_e32 v48, 24, v48
	v_cndmask_b32_e32 v3, v50, v3, vcc_lo
	v_and_b32_e32 v98, 3, v98
	v_and_b32_e32 v48, 0x80000000, v48
	v_lshl_add_u32 v3, v3, 23, 0x37800000
	v_cndmask_b32_e32 v2, v2, v98, vcc_lo
	v_lshlrev_b32_e32 v2, 21, v2
	v_or3_b32 v2, v48, v3, v2
.LBB6_9736:                             ;   in Loop: Header=BB6_8809 Depth=2
	s_or_b32 exec_lo, exec_lo, s29
	v_max_f32_e32 v2, v2, v2
	v_max_f32_e32 v3, v86, v86
	v_min_f32_e32 v86, v3, v2
.LBB6_9737:                             ;   in Loop: Header=BB6_8809 Depth=2
	v_and_b32_e32 v2, 0x7f800000, v86
	s_waitcnt vmcnt(6) lgkmcnt(6)
	v_mov_b32_e32 v48, 0x80
	s_mov_b32 s29, exec_lo
	v_cmpx_ne_u32_e32 0x7f800000, v2
	s_cbranch_execz .LBB6_9745
; %bb.9738:                             ;   in Loop: Header=BB6_8809 Depth=2
	v_mov_b32_e32 v48, 0
	s_mov_b32 s40, exec_lo
	v_cmpx_ne_u32_e32 0, v86
	s_cbranch_execz .LBB6_9744
; %bb.9739:                             ;   in Loop: Header=BB6_8809 Depth=2
	v_bfe_u32 v2, v86, 23, 8
	v_and_b32_e32 v3, 0x7fffff, v86
	v_sub_nc_u32_e32 v48, 0x70, v2
	v_cmp_gt_u32_e32 vcc_lo, 0x71, v2
	v_or_b32_e32 v50, 0x800000, v3
	v_cndmask_b32_e32 v48, 0, v48, vcc_lo
	v_cmp_eq_u32_e32 vcc_lo, 0, v2
	v_add_nc_u32_e32 v2, 0xffffff91, v2
	v_cndmask_b32_e64 v48, v48, 0x6f, vcc_lo
	v_cndmask_b32_e32 v3, v50, v3, vcc_lo
	v_cndmask_b32_e64 v2, v2, 0xffffff92, vcc_lo
	v_lshl_add_u32 v50, 0x200000, v48, -1
	v_lshrrev_b32_e32 v98, v48, v3
	v_lshlrev_b32_e64 v42, v48, 0x100000
	v_and_b32_e32 v3, v50, v3
	v_bfe_u32 v101, v98, 21, 1
	v_cmp_eq_u32_e64 s12, v3, v42
	v_add_nc_u32_e32 v50, -1, v101
	v_lshrrev_b32_e32 v101, 23, v98
	v_cndmask_b32_e64 v3, 0, v50, s12
	s_mov_b32 s12, exec_lo
	v_add_nc_u32_e32 v50, v3, v98
	v_add_nc_u32_e32 v3, v48, v2
                                        ; implicit-def: $vgpr48
	v_and_b32_e32 v2, 0x1fffff, v50
	v_xor_b32_e32 v50, 1, v101
	v_add_nc_u32_e32 v2, v2, v98
	v_cmpx_ne_u32_e64 v3, v50
	s_xor_b32 s12, exec_lo, s12
; %bb.9740:                             ;   in Loop: Header=BB6_8809 Depth=2
	v_cmp_lt_u32_e32 vcc_lo, 0xffffff, v2
	v_sub_nc_u32_e32 v3, v3, v50
	v_cndmask_b32_e64 v50, 0, 1, vcc_lo
	v_add_co_ci_u32_e64 v48, null, 0, v3, vcc_lo
	v_lshrrev_b32_e32 v2, v50, v2
; %bb.9741:                             ;   in Loop: Header=BB6_8809 Depth=2
	s_andn2_saveexec_b32 s12, s12
; %bb.9742:                             ;   in Loop: Header=BB6_8809 Depth=2
	v_bfe_u32 v48, v2, 23, 1
; %bb.9743:                             ;   in Loop: Header=BB6_8809 Depth=2
	s_or_b32 exec_lo, exec_lo, s12
	v_lshrrev_b32_e32 v2, 21, v2
	v_cmp_gt_i32_e32 vcc_lo, 32, v48
	v_min_i32_e32 v3, 31, v48
	v_and_b32_sdwa v50, v86, v44 dst_sel:DWORD dst_unused:UNUSED_PAD src0_sel:BYTE_3 src1_sel:DWORD
	v_cndmask_b32_e32 v2, 3, v2, vcc_lo
	v_lshlrev_b32_e32 v3, 2, v3
	v_and_b32_e32 v86, 3, v2
	v_or_b32_e32 v2, v48, v2
	v_or3_b32 v3, v3, v50, v86
	v_cmp_ne_u32_e32 vcc_lo, 0, v2
	v_cndmask_b32_e32 v48, 0, v3, vcc_lo
.LBB6_9744:                             ;   in Loop: Header=BB6_8809 Depth=2
	s_or_b32 exec_lo, exec_lo, s40
.LBB6_9745:                             ;   in Loop: Header=BB6_8809 Depth=2
	s_or_b32 exec_lo, exec_lo, s29
	v_cmp_gt_i16_sdwa s29, v39, v43 src0_sel:BYTE_0 src1_sel:DWORD
	s_andn2_b32 vcc_lo, exec_lo, s27
	s_mov_b32 s12, -1
                                        ; implicit-def: $vgpr50
	s_cbranch_vccnz .LBB6_9759
; %bb.9746:                             ;   in Loop: Header=BB6_8809 Depth=2
	s_mov_b32 s12, 0
	s_and_saveexec_b32 s40, s29
	s_xor_b32 s29, exec_lo, s40
	s_cbranch_execz .LBB6_10167
; %bb.9747:                             ;   in Loop: Header=BB6_8809 Depth=2
	v_cmp_eq_u16_sdwa s41, v39, v44 src0_sel:BYTE_0 src1_sel:DWORD
	s_mov_b32 s12, -1
	s_and_saveexec_b32 s40, s41
; %bb.9748:                             ;   in Loop: Header=BB6_8809 Depth=2
	s_xor_b32 s12, exec_lo, -1
; %bb.9749:                             ;   in Loop: Header=BB6_8809 Depth=2
	s_or_b32 exec_lo, exec_lo, s40
	s_and_b32 s12, s12, exec_lo
	s_or_saveexec_b32 s29, s29
	v_mov_b32_e32 v50, 0x7f800001
	s_xor_b32 exec_lo, exec_lo, s29
	s_cbranch_execnz .LBB6_10168
.LBB6_9750:                             ;   in Loop: Header=BB6_8809 Depth=2
	s_or_b32 exec_lo, exec_lo, s29
	s_and_saveexec_b32 s29, s12
	s_cbranch_execz .LBB6_9752
.LBB6_9751:                             ;   in Loop: Header=BB6_8809 Depth=2
	v_and_b32_e32 v2, 3, v39
	v_lshrrev_b16 v50, 2, v39
	v_lshlrev_b32_e32 v98, 24, v39
	v_ffbh_u32_e32 v3, v2
	v_and_b32_e32 v50, 31, v50
	v_min_u32_e32 v3, 32, v3
	v_cmp_eq_u32_e32 vcc_lo, 0, v50
	v_subrev_nc_u32_e32 v86, 29, v3
	v_sub_nc_u32_e32 v3, 30, v3
	v_lshlrev_b32_e32 v86, v86, v39
	v_cndmask_b32_e32 v3, v50, v3, vcc_lo
	v_and_b32_e32 v50, 0x80000000, v98
	v_and_b32_e32 v86, 3, v86
	v_lshl_add_u32 v3, v3, 23, 0x37800000
	v_cndmask_b32_e32 v2, v2, v86, vcc_lo
	v_lshlrev_b32_e32 v2, 21, v2
	v_or3_b32 v50, v50, v3, v2
.LBB6_9752:                             ;   in Loop: Header=BB6_8809 Depth=2
	s_or_b32 exec_lo, exec_lo, s29
	s_waitcnt vmcnt(5) lgkmcnt(5)
	v_cmp_gt_i16_sdwa s29, v37, v43 src0_sel:BYTE_0 src1_sel:DWORD
	s_mov_b32 s12, 0
	s_and_saveexec_b32 s40, s29
	s_xor_b32 s29, exec_lo, s40
	s_cbranch_execz .LBB6_10169
; %bb.9753:                             ;   in Loop: Header=BB6_8809 Depth=2
	v_cmp_eq_u16_sdwa s41, v37, v44 src0_sel:BYTE_0 src1_sel:DWORD
	s_mov_b32 s12, -1
	s_and_saveexec_b32 s40, s41
; %bb.9754:                             ;   in Loop: Header=BB6_8809 Depth=2
	s_xor_b32 s12, exec_lo, -1
; %bb.9755:                             ;   in Loop: Header=BB6_8809 Depth=2
	s_or_b32 exec_lo, exec_lo, s40
	s_and_b32 s12, s12, exec_lo
	s_or_saveexec_b32 s29, s29
	v_mov_b32_e32 v2, 0x7f800001
	s_xor_b32 exec_lo, exec_lo, s29
	s_cbranch_execnz .LBB6_10170
.LBB6_9756:                             ;   in Loop: Header=BB6_8809 Depth=2
	s_or_b32 exec_lo, exec_lo, s29
	s_and_saveexec_b32 s29, s12
	s_cbranch_execz .LBB6_9758
.LBB6_9757:                             ;   in Loop: Header=BB6_8809 Depth=2
	v_and_b32_e32 v2, 3, v37
	v_lshrrev_b16 v86, 2, v37
	v_lshlrev_b32_e32 v101, 24, v37
	v_ffbh_u32_e32 v3, v2
	v_and_b32_e32 v86, 31, v86
	v_min_u32_e32 v3, 32, v3
	v_cmp_eq_u32_e32 vcc_lo, 0, v86
	v_subrev_nc_u32_e32 v98, 29, v3
	v_sub_nc_u32_e32 v3, 30, v3
	v_lshlrev_b32_e32 v98, v98, v37
	v_cndmask_b32_e32 v3, v86, v3, vcc_lo
	v_and_b32_e32 v86, 0x80000000, v101
	v_and_b32_e32 v98, 3, v98
	v_lshl_add_u32 v3, v3, 23, 0x37800000
	v_cndmask_b32_e32 v2, v2, v98, vcc_lo
	v_lshlrev_b32_e32 v2, 21, v2
	v_or3_b32 v2, v86, v3, v2
.LBB6_9758:                             ;   in Loop: Header=BB6_8809 Depth=2
	s_or_b32 exec_lo, exec_lo, s29
	v_max_f32_e32 v2, v2, v2
	v_max_f32_e32 v3, v50, v50
	s_mov_b32 s12, 0
	v_max_f32_e32 v50, v3, v2
.LBB6_9759:                             ;   in Loop: Header=BB6_8809 Depth=2
	s_and_b32 vcc_lo, exec_lo, s12
	s_cbranch_vccz .LBB6_9773
; %bb.9760:                             ;   in Loop: Header=BB6_8809 Depth=2
	v_cmp_gt_i16_sdwa s29, v39, v43 src0_sel:BYTE_0 src1_sel:DWORD
	s_mov_b32 s12, 0
	s_and_saveexec_b32 s40, s29
	s_xor_b32 s29, exec_lo, s40
	s_cbranch_execz .LBB6_10171
; %bb.9761:                             ;   in Loop: Header=BB6_8809 Depth=2
	v_cmp_eq_u16_sdwa s41, v39, v44 src0_sel:BYTE_0 src1_sel:DWORD
	s_mov_b32 s12, -1
	s_and_saveexec_b32 s40, s41
; %bb.9762:                             ;   in Loop: Header=BB6_8809 Depth=2
	s_xor_b32 s12, exec_lo, -1
; %bb.9763:                             ;   in Loop: Header=BB6_8809 Depth=2
	s_or_b32 exec_lo, exec_lo, s40
	s_and_b32 s12, s12, exec_lo
	s_or_saveexec_b32 s29, s29
	v_mov_b32_e32 v50, 0x7f800001
	s_xor_b32 exec_lo, exec_lo, s29
	s_cbranch_execnz .LBB6_10172
.LBB6_9764:                             ;   in Loop: Header=BB6_8809 Depth=2
	s_or_b32 exec_lo, exec_lo, s29
	s_and_saveexec_b32 s29, s12
	s_cbranch_execz .LBB6_9766
.LBB6_9765:                             ;   in Loop: Header=BB6_8809 Depth=2
	v_and_b32_e32 v2, 3, v39
	v_lshrrev_b16 v50, 2, v39
	v_ffbh_u32_e32 v3, v2
	v_and_b32_e32 v50, 31, v50
	v_min_u32_e32 v3, 32, v3
	v_cmp_eq_u32_e32 vcc_lo, 0, v50
	v_subrev_nc_u32_e32 v86, 29, v3
	v_sub_nc_u32_e32 v3, 30, v3
	v_lshlrev_b32_e32 v86, v86, v39
	v_lshlrev_b32_e32 v39, 24, v39
	v_cndmask_b32_e32 v3, v50, v3, vcc_lo
	v_and_b32_e32 v86, 3, v86
	v_and_b32_e32 v39, 0x80000000, v39
	v_lshl_add_u32 v3, v3, 23, 0x37800000
	v_cndmask_b32_e32 v2, v2, v86, vcc_lo
	v_lshlrev_b32_e32 v2, 21, v2
	v_or3_b32 v50, v39, v3, v2
.LBB6_9766:                             ;   in Loop: Header=BB6_8809 Depth=2
	s_or_b32 exec_lo, exec_lo, s29
	s_waitcnt vmcnt(5) lgkmcnt(5)
	v_cmp_gt_i16_sdwa s29, v37, v43 src0_sel:BYTE_0 src1_sel:DWORD
	s_mov_b32 s12, 0
	s_and_saveexec_b32 s40, s29
	s_xor_b32 s29, exec_lo, s40
	s_cbranch_execz .LBB6_10173
; %bb.9767:                             ;   in Loop: Header=BB6_8809 Depth=2
	v_cmp_eq_u16_sdwa s41, v37, v44 src0_sel:BYTE_0 src1_sel:DWORD
	s_mov_b32 s12, -1
	s_and_saveexec_b32 s40, s41
; %bb.9768:                             ;   in Loop: Header=BB6_8809 Depth=2
	s_xor_b32 s12, exec_lo, -1
; %bb.9769:                             ;   in Loop: Header=BB6_8809 Depth=2
	s_or_b32 exec_lo, exec_lo, s40
	s_and_b32 s12, s12, exec_lo
	s_or_saveexec_b32 s29, s29
	v_mov_b32_e32 v2, 0x7f800001
	s_xor_b32 exec_lo, exec_lo, s29
	s_cbranch_execnz .LBB6_10174
.LBB6_9770:                             ;   in Loop: Header=BB6_8809 Depth=2
	s_or_b32 exec_lo, exec_lo, s29
	s_and_saveexec_b32 s29, s12
	s_cbranch_execz .LBB6_9772
.LBB6_9771:                             ;   in Loop: Header=BB6_8809 Depth=2
	v_and_b32_e32 v2, 3, v37
	v_lshrrev_b16 v39, 2, v37
	v_ffbh_u32_e32 v3, v2
	v_and_b32_e32 v39, 31, v39
	v_min_u32_e32 v3, 32, v3
	v_cmp_eq_u32_e32 vcc_lo, 0, v39
	v_subrev_nc_u32_e32 v86, 29, v3
	v_sub_nc_u32_e32 v3, 30, v3
	v_lshlrev_b32_e32 v86, v86, v37
	v_lshlrev_b32_e32 v37, 24, v37
	v_cndmask_b32_e32 v3, v39, v3, vcc_lo
	v_and_b32_e32 v86, 3, v86
	v_and_b32_e32 v37, 0x80000000, v37
	v_lshl_add_u32 v3, v3, 23, 0x37800000
	v_cndmask_b32_e32 v2, v2, v86, vcc_lo
	v_lshlrev_b32_e32 v2, 21, v2
	v_or3_b32 v2, v37, v3, v2
.LBB6_9772:                             ;   in Loop: Header=BB6_8809 Depth=2
	s_or_b32 exec_lo, exec_lo, s29
	v_max_f32_e32 v2, v2, v2
	v_max_f32_e32 v3, v50, v50
	v_min_f32_e32 v50, v3, v2
.LBB6_9773:                             ;   in Loop: Header=BB6_8809 Depth=2
	v_and_b32_e32 v2, 0x7f800000, v50
	s_waitcnt vmcnt(5) lgkmcnt(5)
	v_mov_b32_e32 v37, 0x80
	s_mov_b32 s29, exec_lo
	v_cmpx_ne_u32_e32 0x7f800000, v2
	s_cbranch_execz .LBB6_9781
; %bb.9774:                             ;   in Loop: Header=BB6_8809 Depth=2
	v_mov_b32_e32 v37, 0
	s_mov_b32 s40, exec_lo
	v_cmpx_ne_u32_e32 0, v50
	s_cbranch_execz .LBB6_9780
; %bb.9775:                             ;   in Loop: Header=BB6_8809 Depth=2
	v_bfe_u32 v2, v50, 23, 8
	v_and_b32_e32 v3, 0x7fffff, v50
	v_sub_nc_u32_e32 v37, 0x70, v2
	v_cmp_gt_u32_e32 vcc_lo, 0x71, v2
	v_or_b32_e32 v39, 0x800000, v3
	v_cndmask_b32_e32 v37, 0, v37, vcc_lo
	v_cmp_eq_u32_e32 vcc_lo, 0, v2
	v_add_nc_u32_e32 v2, 0xffffff91, v2
	v_cndmask_b32_e64 v37, v37, 0x6f, vcc_lo
	v_cndmask_b32_e32 v3, v39, v3, vcc_lo
	v_cndmask_b32_e64 v2, v2, 0xffffff92, vcc_lo
	v_lshl_add_u32 v39, 0x200000, v37, -1
	v_lshrrev_b32_e32 v86, v37, v3
	v_lshlrev_b32_e64 v101, v37, 0x100000
	v_and_b32_e32 v3, v39, v3
	v_bfe_u32 v98, v86, 21, 1
	v_cmp_eq_u32_e64 s12, v3, v101
	v_add_nc_u32_e32 v39, -1, v98
	v_lshrrev_b32_e32 v98, 23, v86
	v_cndmask_b32_e64 v3, 0, v39, s12
	s_mov_b32 s12, exec_lo
	v_add_nc_u32_e32 v39, v3, v86
	v_add_nc_u32_e32 v3, v37, v2
                                        ; implicit-def: $vgpr37
	v_and_b32_e32 v2, 0x1fffff, v39
	v_xor_b32_e32 v39, 1, v98
	v_add_nc_u32_e32 v2, v2, v86
	v_cmpx_ne_u32_e64 v3, v39
	s_xor_b32 s12, exec_lo, s12
; %bb.9776:                             ;   in Loop: Header=BB6_8809 Depth=2
	v_cmp_lt_u32_e32 vcc_lo, 0xffffff, v2
	v_sub_nc_u32_e32 v3, v3, v39
	v_cndmask_b32_e64 v39, 0, 1, vcc_lo
	v_add_co_ci_u32_e64 v37, null, 0, v3, vcc_lo
	v_lshrrev_b32_e32 v2, v39, v2
; %bb.9777:                             ;   in Loop: Header=BB6_8809 Depth=2
	s_andn2_saveexec_b32 s12, s12
; %bb.9778:                             ;   in Loop: Header=BB6_8809 Depth=2
	v_bfe_u32 v37, v2, 23, 1
; %bb.9779:                             ;   in Loop: Header=BB6_8809 Depth=2
	s_or_b32 exec_lo, exec_lo, s12
	v_lshrrev_b32_e32 v2, 21, v2
	v_cmp_gt_i32_e32 vcc_lo, 32, v37
	v_min_i32_e32 v3, 31, v37
	v_and_b32_sdwa v39, v50, v44 dst_sel:DWORD dst_unused:UNUSED_PAD src0_sel:BYTE_3 src1_sel:DWORD
	v_cndmask_b32_e32 v2, 3, v2, vcc_lo
	v_lshlrev_b32_e32 v3, 2, v3
	v_and_b32_e32 v50, 3, v2
	v_or_b32_e32 v2, v37, v2
	v_or3_b32 v3, v3, v39, v50
	v_cmp_ne_u32_e32 vcc_lo, 0, v2
	v_cndmask_b32_e32 v37, 0, v3, vcc_lo
.LBB6_9780:                             ;   in Loop: Header=BB6_8809 Depth=2
	s_or_b32 exec_lo, exec_lo, s40
.LBB6_9781:                             ;   in Loop: Header=BB6_8809 Depth=2
	s_or_b32 exec_lo, exec_lo, s29
	v_cmp_gt_i16_sdwa s29, v36, v43 src0_sel:BYTE_0 src1_sel:DWORD
	s_andn2_b32 vcc_lo, exec_lo, s27
	s_mov_b32 s12, -1
                                        ; implicit-def: $vgpr39
	s_cbranch_vccnz .LBB6_9795
; %bb.9782:                             ;   in Loop: Header=BB6_8809 Depth=2
	s_mov_b32 s12, 0
	s_and_saveexec_b32 s40, s29
	s_xor_b32 s29, exec_lo, s40
	s_cbranch_execz .LBB6_10175
; %bb.9783:                             ;   in Loop: Header=BB6_8809 Depth=2
	v_cmp_eq_u16_sdwa s41, v36, v44 src0_sel:BYTE_0 src1_sel:DWORD
	s_mov_b32 s12, -1
	s_and_saveexec_b32 s40, s41
; %bb.9784:                             ;   in Loop: Header=BB6_8809 Depth=2
	s_xor_b32 s12, exec_lo, -1
; %bb.9785:                             ;   in Loop: Header=BB6_8809 Depth=2
	s_or_b32 exec_lo, exec_lo, s40
	s_and_b32 s12, s12, exec_lo
	s_or_saveexec_b32 s29, s29
	v_mov_b32_e32 v39, 0x7f800001
	s_xor_b32 exec_lo, exec_lo, s29
	s_cbranch_execnz .LBB6_10176
.LBB6_9786:                             ;   in Loop: Header=BB6_8809 Depth=2
	s_or_b32 exec_lo, exec_lo, s29
	s_and_saveexec_b32 s29, s12
	s_cbranch_execz .LBB6_9788
.LBB6_9787:                             ;   in Loop: Header=BB6_8809 Depth=2
	v_and_b32_e32 v2, 3, v36
	v_lshrrev_b16 v39, 2, v36
	v_lshlrev_b32_e32 v86, 24, v36
	v_ffbh_u32_e32 v3, v2
	v_and_b32_e32 v39, 31, v39
	v_min_u32_e32 v3, 32, v3
	v_cmp_eq_u32_e32 vcc_lo, 0, v39
	v_subrev_nc_u32_e32 v50, 29, v3
	v_sub_nc_u32_e32 v3, 30, v3
	v_lshlrev_b32_e32 v50, v50, v36
	v_cndmask_b32_e32 v3, v39, v3, vcc_lo
	v_and_b32_e32 v39, 0x80000000, v86
	v_and_b32_e32 v50, 3, v50
	v_lshl_add_u32 v3, v3, 23, 0x37800000
	v_cndmask_b32_e32 v2, v2, v50, vcc_lo
	v_lshlrev_b32_e32 v2, 21, v2
	v_or3_b32 v39, v39, v3, v2
.LBB6_9788:                             ;   in Loop: Header=BB6_8809 Depth=2
	s_or_b32 exec_lo, exec_lo, s29
	s_waitcnt vmcnt(4) lgkmcnt(4)
	v_cmp_gt_i16_sdwa s29, v34, v43 src0_sel:BYTE_0 src1_sel:DWORD
	s_mov_b32 s12, 0
	s_and_saveexec_b32 s40, s29
	s_xor_b32 s29, exec_lo, s40
	s_cbranch_execz .LBB6_10177
; %bb.9789:                             ;   in Loop: Header=BB6_8809 Depth=2
	v_cmp_eq_u16_sdwa s41, v34, v44 src0_sel:BYTE_0 src1_sel:DWORD
	s_mov_b32 s12, -1
	s_and_saveexec_b32 s40, s41
; %bb.9790:                             ;   in Loop: Header=BB6_8809 Depth=2
	s_xor_b32 s12, exec_lo, -1
; %bb.9791:                             ;   in Loop: Header=BB6_8809 Depth=2
	s_or_b32 exec_lo, exec_lo, s40
	s_and_b32 s12, s12, exec_lo
	s_or_saveexec_b32 s29, s29
	v_mov_b32_e32 v2, 0x7f800001
	s_xor_b32 exec_lo, exec_lo, s29
	s_cbranch_execnz .LBB6_10178
.LBB6_9792:                             ;   in Loop: Header=BB6_8809 Depth=2
	s_or_b32 exec_lo, exec_lo, s29
	s_and_saveexec_b32 s29, s12
	s_cbranch_execz .LBB6_9794
.LBB6_9793:                             ;   in Loop: Header=BB6_8809 Depth=2
	v_and_b32_e32 v2, 3, v34
	v_lshrrev_b16 v50, 2, v34
	v_lshlrev_b32_e32 v98, 24, v34
	v_ffbh_u32_e32 v3, v2
	v_and_b32_e32 v50, 31, v50
	v_min_u32_e32 v3, 32, v3
	v_cmp_eq_u32_e32 vcc_lo, 0, v50
	v_subrev_nc_u32_e32 v86, 29, v3
	v_sub_nc_u32_e32 v3, 30, v3
	v_lshlrev_b32_e32 v86, v86, v34
	v_cndmask_b32_e32 v3, v50, v3, vcc_lo
	v_and_b32_e32 v50, 0x80000000, v98
	v_and_b32_e32 v86, 3, v86
	v_lshl_add_u32 v3, v3, 23, 0x37800000
	v_cndmask_b32_e32 v2, v2, v86, vcc_lo
	v_lshlrev_b32_e32 v2, 21, v2
	v_or3_b32 v2, v50, v3, v2
.LBB6_9794:                             ;   in Loop: Header=BB6_8809 Depth=2
	s_or_b32 exec_lo, exec_lo, s29
	v_max_f32_e32 v2, v2, v2
	v_max_f32_e32 v3, v39, v39
	s_mov_b32 s12, 0
	v_max_f32_e32 v39, v3, v2
.LBB6_9795:                             ;   in Loop: Header=BB6_8809 Depth=2
	s_and_b32 vcc_lo, exec_lo, s12
	s_cbranch_vccz .LBB6_9809
; %bb.9796:                             ;   in Loop: Header=BB6_8809 Depth=2
	v_cmp_gt_i16_sdwa s29, v36, v43 src0_sel:BYTE_0 src1_sel:DWORD
	s_mov_b32 s12, 0
	s_and_saveexec_b32 s40, s29
	s_xor_b32 s29, exec_lo, s40
	s_cbranch_execz .LBB6_10179
; %bb.9797:                             ;   in Loop: Header=BB6_8809 Depth=2
	v_cmp_eq_u16_sdwa s41, v36, v44 src0_sel:BYTE_0 src1_sel:DWORD
	s_mov_b32 s12, -1
	s_and_saveexec_b32 s40, s41
; %bb.9798:                             ;   in Loop: Header=BB6_8809 Depth=2
	s_xor_b32 s12, exec_lo, -1
; %bb.9799:                             ;   in Loop: Header=BB6_8809 Depth=2
	s_or_b32 exec_lo, exec_lo, s40
	s_and_b32 s12, s12, exec_lo
	s_or_saveexec_b32 s29, s29
	v_mov_b32_e32 v39, 0x7f800001
	s_xor_b32 exec_lo, exec_lo, s29
	s_cbranch_execnz .LBB6_10180
.LBB6_9800:                             ;   in Loop: Header=BB6_8809 Depth=2
	s_or_b32 exec_lo, exec_lo, s29
	s_and_saveexec_b32 s29, s12
	s_cbranch_execz .LBB6_9802
.LBB6_9801:                             ;   in Loop: Header=BB6_8809 Depth=2
	v_and_b32_e32 v2, 3, v36
	v_lshrrev_b16 v39, 2, v36
	v_ffbh_u32_e32 v3, v2
	v_and_b32_e32 v39, 31, v39
	v_min_u32_e32 v3, 32, v3
	v_cmp_eq_u32_e32 vcc_lo, 0, v39
	v_subrev_nc_u32_e32 v50, 29, v3
	v_sub_nc_u32_e32 v3, 30, v3
	v_lshlrev_b32_e32 v50, v50, v36
	v_lshlrev_b32_e32 v36, 24, v36
	v_cndmask_b32_e32 v3, v39, v3, vcc_lo
	v_and_b32_e32 v50, 3, v50
	v_and_b32_e32 v36, 0x80000000, v36
	v_lshl_add_u32 v3, v3, 23, 0x37800000
	v_cndmask_b32_e32 v2, v2, v50, vcc_lo
	v_lshlrev_b32_e32 v2, 21, v2
	v_or3_b32 v39, v36, v3, v2
.LBB6_9802:                             ;   in Loop: Header=BB6_8809 Depth=2
	s_or_b32 exec_lo, exec_lo, s29
	s_waitcnt vmcnt(4) lgkmcnt(4)
	v_cmp_gt_i16_sdwa s29, v34, v43 src0_sel:BYTE_0 src1_sel:DWORD
	s_mov_b32 s12, 0
	s_and_saveexec_b32 s40, s29
	s_xor_b32 s29, exec_lo, s40
	s_cbranch_execz .LBB6_10181
; %bb.9803:                             ;   in Loop: Header=BB6_8809 Depth=2
	v_cmp_eq_u16_sdwa s41, v34, v44 src0_sel:BYTE_0 src1_sel:DWORD
	s_mov_b32 s12, -1
	s_and_saveexec_b32 s40, s41
; %bb.9804:                             ;   in Loop: Header=BB6_8809 Depth=2
	s_xor_b32 s12, exec_lo, -1
; %bb.9805:                             ;   in Loop: Header=BB6_8809 Depth=2
	s_or_b32 exec_lo, exec_lo, s40
	s_and_b32 s12, s12, exec_lo
	s_or_saveexec_b32 s29, s29
	v_mov_b32_e32 v2, 0x7f800001
	s_xor_b32 exec_lo, exec_lo, s29
	s_cbranch_execnz .LBB6_10182
.LBB6_9806:                             ;   in Loop: Header=BB6_8809 Depth=2
	s_or_b32 exec_lo, exec_lo, s29
	s_and_saveexec_b32 s29, s12
	s_cbranch_execz .LBB6_9808
.LBB6_9807:                             ;   in Loop: Header=BB6_8809 Depth=2
	v_and_b32_e32 v2, 3, v34
	v_lshrrev_b16 v36, 2, v34
	v_ffbh_u32_e32 v3, v2
	v_and_b32_e32 v36, 31, v36
	v_min_u32_e32 v3, 32, v3
	v_cmp_eq_u32_e32 vcc_lo, 0, v36
	v_subrev_nc_u32_e32 v50, 29, v3
	v_sub_nc_u32_e32 v3, 30, v3
	v_lshlrev_b32_e32 v50, v50, v34
	v_lshlrev_b32_e32 v34, 24, v34
	v_cndmask_b32_e32 v3, v36, v3, vcc_lo
	v_and_b32_e32 v50, 3, v50
	v_and_b32_e32 v34, 0x80000000, v34
	v_lshl_add_u32 v3, v3, 23, 0x37800000
	v_cndmask_b32_e32 v2, v2, v50, vcc_lo
	v_lshlrev_b32_e32 v2, 21, v2
	v_or3_b32 v2, v34, v3, v2
.LBB6_9808:                             ;   in Loop: Header=BB6_8809 Depth=2
	s_or_b32 exec_lo, exec_lo, s29
	v_max_f32_e32 v2, v2, v2
	v_max_f32_e32 v3, v39, v39
	v_min_f32_e32 v39, v3, v2
.LBB6_9809:                             ;   in Loop: Header=BB6_8809 Depth=2
	v_and_b32_e32 v2, 0x7f800000, v39
	s_waitcnt vmcnt(4) lgkmcnt(4)
	v_mov_b32_e32 v34, 0x80
	s_mov_b32 s29, exec_lo
	v_cmpx_ne_u32_e32 0x7f800000, v2
	s_cbranch_execz .LBB6_9817
; %bb.9810:                             ;   in Loop: Header=BB6_8809 Depth=2
	v_mov_b32_e32 v34, 0
	s_mov_b32 s40, exec_lo
	v_cmpx_ne_u32_e32 0, v39
	s_cbranch_execz .LBB6_9816
; %bb.9811:                             ;   in Loop: Header=BB6_8809 Depth=2
	v_bfe_u32 v2, v39, 23, 8
	v_and_b32_e32 v3, 0x7fffff, v39
	v_sub_nc_u32_e32 v34, 0x70, v2
	v_cmp_gt_u32_e32 vcc_lo, 0x71, v2
	v_or_b32_e32 v36, 0x800000, v3
	v_cndmask_b32_e32 v34, 0, v34, vcc_lo
	v_cmp_eq_u32_e32 vcc_lo, 0, v2
	v_add_nc_u32_e32 v2, 0xffffff91, v2
	v_cndmask_b32_e64 v34, v34, 0x6f, vcc_lo
	v_cndmask_b32_e32 v3, v36, v3, vcc_lo
	v_cndmask_b32_e64 v2, v2, 0xffffff92, vcc_lo
	v_lshl_add_u32 v36, 0x200000, v34, -1
	v_lshrrev_b32_e32 v50, v34, v3
	v_lshlrev_b32_e64 v98, v34, 0x100000
	v_and_b32_e32 v3, v36, v3
	v_bfe_u32 v86, v50, 21, 1
	v_cmp_eq_u32_e64 s12, v3, v98
	v_add_nc_u32_e32 v36, -1, v86
	v_lshrrev_b32_e32 v86, 23, v50
	v_cndmask_b32_e64 v3, 0, v36, s12
	s_mov_b32 s12, exec_lo
	v_add_nc_u32_e32 v36, v3, v50
	v_add_nc_u32_e32 v3, v34, v2
                                        ; implicit-def: $vgpr34
	v_and_b32_e32 v2, 0x1fffff, v36
	v_xor_b32_e32 v36, 1, v86
	v_add_nc_u32_e32 v2, v2, v50
	v_cmpx_ne_u32_e64 v3, v36
	s_xor_b32 s12, exec_lo, s12
; %bb.9812:                             ;   in Loop: Header=BB6_8809 Depth=2
	v_cmp_lt_u32_e32 vcc_lo, 0xffffff, v2
	v_sub_nc_u32_e32 v3, v3, v36
	v_cndmask_b32_e64 v36, 0, 1, vcc_lo
	v_add_co_ci_u32_e64 v34, null, 0, v3, vcc_lo
	v_lshrrev_b32_e32 v2, v36, v2
; %bb.9813:                             ;   in Loop: Header=BB6_8809 Depth=2
	s_andn2_saveexec_b32 s12, s12
; %bb.9814:                             ;   in Loop: Header=BB6_8809 Depth=2
	v_bfe_u32 v34, v2, 23, 1
; %bb.9815:                             ;   in Loop: Header=BB6_8809 Depth=2
	s_or_b32 exec_lo, exec_lo, s12
	v_lshrrev_b32_e32 v2, 21, v2
	v_cmp_gt_i32_e32 vcc_lo, 32, v34
	v_min_i32_e32 v3, 31, v34
	v_and_b32_sdwa v36, v39, v44 dst_sel:DWORD dst_unused:UNUSED_PAD src0_sel:BYTE_3 src1_sel:DWORD
	v_cndmask_b32_e32 v2, 3, v2, vcc_lo
	v_lshlrev_b32_e32 v3, 2, v3
	v_and_b32_e32 v39, 3, v2
	v_or_b32_e32 v2, v34, v2
	v_or3_b32 v3, v3, v36, v39
	v_cmp_ne_u32_e32 vcc_lo, 0, v2
	v_cndmask_b32_e32 v34, 0, v3, vcc_lo
.LBB6_9816:                             ;   in Loop: Header=BB6_8809 Depth=2
	s_or_b32 exec_lo, exec_lo, s40
.LBB6_9817:                             ;   in Loop: Header=BB6_8809 Depth=2
	s_or_b32 exec_lo, exec_lo, s29
	v_cmp_gt_i16_sdwa s29, v33, v43 src0_sel:BYTE_0 src1_sel:DWORD
	s_andn2_b32 vcc_lo, exec_lo, s27
	s_mov_b32 s12, -1
                                        ; implicit-def: $vgpr36
	s_cbranch_vccnz .LBB6_9831
; %bb.9818:                             ;   in Loop: Header=BB6_8809 Depth=2
	s_mov_b32 s12, 0
	s_and_saveexec_b32 s40, s29
	s_xor_b32 s29, exec_lo, s40
	s_cbranch_execz .LBB6_10183
; %bb.9819:                             ;   in Loop: Header=BB6_8809 Depth=2
	v_cmp_eq_u16_sdwa s41, v33, v44 src0_sel:BYTE_0 src1_sel:DWORD
	s_mov_b32 s12, -1
	s_and_saveexec_b32 s40, s41
; %bb.9820:                             ;   in Loop: Header=BB6_8809 Depth=2
	s_xor_b32 s12, exec_lo, -1
; %bb.9821:                             ;   in Loop: Header=BB6_8809 Depth=2
	s_or_b32 exec_lo, exec_lo, s40
	s_and_b32 s12, s12, exec_lo
	s_or_saveexec_b32 s29, s29
	v_mov_b32_e32 v36, 0x7f800001
	s_xor_b32 exec_lo, exec_lo, s29
	s_cbranch_execnz .LBB6_10184
.LBB6_9822:                             ;   in Loop: Header=BB6_8809 Depth=2
	s_or_b32 exec_lo, exec_lo, s29
	s_and_saveexec_b32 s29, s12
	s_cbranch_execz .LBB6_9824
.LBB6_9823:                             ;   in Loop: Header=BB6_8809 Depth=2
	v_and_b32_e32 v2, 3, v33
	v_lshrrev_b16 v36, 2, v33
	v_lshlrev_b32_e32 v50, 24, v33
	v_ffbh_u32_e32 v3, v2
	v_and_b32_e32 v36, 31, v36
	v_min_u32_e32 v3, 32, v3
	v_cmp_eq_u32_e32 vcc_lo, 0, v36
	v_subrev_nc_u32_e32 v39, 29, v3
	v_sub_nc_u32_e32 v3, 30, v3
	v_lshlrev_b32_e32 v39, v39, v33
	v_cndmask_b32_e32 v3, v36, v3, vcc_lo
	v_and_b32_e32 v36, 0x80000000, v50
	v_and_b32_e32 v39, 3, v39
	v_lshl_add_u32 v3, v3, 23, 0x37800000
	v_cndmask_b32_e32 v2, v2, v39, vcc_lo
	v_lshlrev_b32_e32 v2, 21, v2
	v_or3_b32 v36, v36, v3, v2
.LBB6_9824:                             ;   in Loop: Header=BB6_8809 Depth=2
	s_or_b32 exec_lo, exec_lo, s29
	s_waitcnt vmcnt(3) lgkmcnt(3)
	v_cmp_gt_i16_sdwa s29, v29, v43 src0_sel:BYTE_0 src1_sel:DWORD
	s_mov_b32 s12, 0
	s_and_saveexec_b32 s40, s29
	s_xor_b32 s29, exec_lo, s40
	s_cbranch_execz .LBB6_10185
; %bb.9825:                             ;   in Loop: Header=BB6_8809 Depth=2
	v_cmp_eq_u16_sdwa s41, v29, v44 src0_sel:BYTE_0 src1_sel:DWORD
	s_mov_b32 s12, -1
	s_and_saveexec_b32 s40, s41
; %bb.9826:                             ;   in Loop: Header=BB6_8809 Depth=2
	s_xor_b32 s12, exec_lo, -1
; %bb.9827:                             ;   in Loop: Header=BB6_8809 Depth=2
	s_or_b32 exec_lo, exec_lo, s40
	s_and_b32 s12, s12, exec_lo
	s_or_saveexec_b32 s29, s29
	v_mov_b32_e32 v2, 0x7f800001
	s_xor_b32 exec_lo, exec_lo, s29
	s_cbranch_execnz .LBB6_10186
.LBB6_9828:                             ;   in Loop: Header=BB6_8809 Depth=2
	s_or_b32 exec_lo, exec_lo, s29
	s_and_saveexec_b32 s29, s12
	s_cbranch_execz .LBB6_9830
.LBB6_9829:                             ;   in Loop: Header=BB6_8809 Depth=2
	v_and_b32_e32 v2, 3, v29
	v_lshrrev_b16 v39, 2, v29
	v_lshlrev_b32_e32 v86, 24, v29
	v_ffbh_u32_e32 v3, v2
	v_and_b32_e32 v39, 31, v39
	v_min_u32_e32 v3, 32, v3
	v_cmp_eq_u32_e32 vcc_lo, 0, v39
	v_subrev_nc_u32_e32 v50, 29, v3
	v_sub_nc_u32_e32 v3, 30, v3
	v_lshlrev_b32_e32 v50, v50, v29
	v_cndmask_b32_e32 v3, v39, v3, vcc_lo
	v_and_b32_e32 v39, 0x80000000, v86
	v_and_b32_e32 v50, 3, v50
	v_lshl_add_u32 v3, v3, 23, 0x37800000
	v_cndmask_b32_e32 v2, v2, v50, vcc_lo
	v_lshlrev_b32_e32 v2, 21, v2
	v_or3_b32 v2, v39, v3, v2
.LBB6_9830:                             ;   in Loop: Header=BB6_8809 Depth=2
	s_or_b32 exec_lo, exec_lo, s29
	v_max_f32_e32 v2, v2, v2
	v_max_f32_e32 v3, v36, v36
	s_mov_b32 s12, 0
	v_max_f32_e32 v36, v3, v2
.LBB6_9831:                             ;   in Loop: Header=BB6_8809 Depth=2
	s_and_b32 vcc_lo, exec_lo, s12
	s_cbranch_vccz .LBB6_9845
; %bb.9832:                             ;   in Loop: Header=BB6_8809 Depth=2
	v_cmp_gt_i16_sdwa s29, v33, v43 src0_sel:BYTE_0 src1_sel:DWORD
	s_mov_b32 s12, 0
	s_and_saveexec_b32 s40, s29
	s_xor_b32 s29, exec_lo, s40
	s_cbranch_execz .LBB6_10187
; %bb.9833:                             ;   in Loop: Header=BB6_8809 Depth=2
	v_cmp_eq_u16_sdwa s41, v33, v44 src0_sel:BYTE_0 src1_sel:DWORD
	s_mov_b32 s12, -1
	s_and_saveexec_b32 s40, s41
; %bb.9834:                             ;   in Loop: Header=BB6_8809 Depth=2
	s_xor_b32 s12, exec_lo, -1
; %bb.9835:                             ;   in Loop: Header=BB6_8809 Depth=2
	s_or_b32 exec_lo, exec_lo, s40
	s_and_b32 s12, s12, exec_lo
	s_or_saveexec_b32 s29, s29
	v_mov_b32_e32 v36, 0x7f800001
	s_xor_b32 exec_lo, exec_lo, s29
	s_cbranch_execnz .LBB6_10188
.LBB6_9836:                             ;   in Loop: Header=BB6_8809 Depth=2
	s_or_b32 exec_lo, exec_lo, s29
	s_and_saveexec_b32 s29, s12
	s_cbranch_execz .LBB6_9838
.LBB6_9837:                             ;   in Loop: Header=BB6_8809 Depth=2
	v_and_b32_e32 v2, 3, v33
	v_lshrrev_b16 v36, 2, v33
	v_ffbh_u32_e32 v3, v2
	v_and_b32_e32 v36, 31, v36
	v_min_u32_e32 v3, 32, v3
	v_cmp_eq_u32_e32 vcc_lo, 0, v36
	v_subrev_nc_u32_e32 v39, 29, v3
	v_sub_nc_u32_e32 v3, 30, v3
	v_lshlrev_b32_e32 v39, v39, v33
	v_lshlrev_b32_e32 v33, 24, v33
	v_cndmask_b32_e32 v3, v36, v3, vcc_lo
	v_and_b32_e32 v39, 3, v39
	v_and_b32_e32 v33, 0x80000000, v33
	v_lshl_add_u32 v3, v3, 23, 0x37800000
	v_cndmask_b32_e32 v2, v2, v39, vcc_lo
	v_lshlrev_b32_e32 v2, 21, v2
	v_or3_b32 v36, v33, v3, v2
.LBB6_9838:                             ;   in Loop: Header=BB6_8809 Depth=2
	s_or_b32 exec_lo, exec_lo, s29
	s_waitcnt vmcnt(3) lgkmcnt(3)
	v_cmp_gt_i16_sdwa s29, v29, v43 src0_sel:BYTE_0 src1_sel:DWORD
	s_mov_b32 s12, 0
	s_and_saveexec_b32 s40, s29
	s_xor_b32 s29, exec_lo, s40
	s_cbranch_execz .LBB6_10189
; %bb.9839:                             ;   in Loop: Header=BB6_8809 Depth=2
	v_cmp_eq_u16_sdwa s41, v29, v44 src0_sel:BYTE_0 src1_sel:DWORD
	s_mov_b32 s12, -1
	s_and_saveexec_b32 s40, s41
; %bb.9840:                             ;   in Loop: Header=BB6_8809 Depth=2
	s_xor_b32 s12, exec_lo, -1
; %bb.9841:                             ;   in Loop: Header=BB6_8809 Depth=2
	s_or_b32 exec_lo, exec_lo, s40
	s_and_b32 s12, s12, exec_lo
	s_or_saveexec_b32 s29, s29
	v_mov_b32_e32 v2, 0x7f800001
	s_xor_b32 exec_lo, exec_lo, s29
	s_cbranch_execnz .LBB6_10190
.LBB6_9842:                             ;   in Loop: Header=BB6_8809 Depth=2
	s_or_b32 exec_lo, exec_lo, s29
	s_and_saveexec_b32 s29, s12
	s_cbranch_execz .LBB6_9844
.LBB6_9843:                             ;   in Loop: Header=BB6_8809 Depth=2
	v_and_b32_e32 v2, 3, v29
	v_lshrrev_b16 v33, 2, v29
	v_ffbh_u32_e32 v3, v2
	v_and_b32_e32 v33, 31, v33
	v_min_u32_e32 v3, 32, v3
	v_cmp_eq_u32_e32 vcc_lo, 0, v33
	v_subrev_nc_u32_e32 v39, 29, v3
	v_sub_nc_u32_e32 v3, 30, v3
	v_lshlrev_b32_e32 v39, v39, v29
	v_lshlrev_b32_e32 v29, 24, v29
	v_cndmask_b32_e32 v3, v33, v3, vcc_lo
	v_and_b32_e32 v39, 3, v39
	v_and_b32_e32 v29, 0x80000000, v29
	v_lshl_add_u32 v3, v3, 23, 0x37800000
	v_cndmask_b32_e32 v2, v2, v39, vcc_lo
	v_lshlrev_b32_e32 v2, 21, v2
	v_or3_b32 v2, v29, v3, v2
.LBB6_9844:                             ;   in Loop: Header=BB6_8809 Depth=2
	s_or_b32 exec_lo, exec_lo, s29
	v_max_f32_e32 v2, v2, v2
	v_max_f32_e32 v3, v36, v36
	v_min_f32_e32 v36, v3, v2
.LBB6_9845:                             ;   in Loop: Header=BB6_8809 Depth=2
	v_and_b32_e32 v2, 0x7f800000, v36
	s_waitcnt vmcnt(3) lgkmcnt(3)
	v_mov_b32_e32 v29, 0x80
	s_mov_b32 s29, exec_lo
	v_cmpx_ne_u32_e32 0x7f800000, v2
	s_cbranch_execz .LBB6_9853
; %bb.9846:                             ;   in Loop: Header=BB6_8809 Depth=2
	v_mov_b32_e32 v29, 0
	s_mov_b32 s40, exec_lo
	v_cmpx_ne_u32_e32 0, v36
	s_cbranch_execz .LBB6_9852
; %bb.9847:                             ;   in Loop: Header=BB6_8809 Depth=2
	v_bfe_u32 v2, v36, 23, 8
	v_and_b32_e32 v3, 0x7fffff, v36
	v_sub_nc_u32_e32 v29, 0x70, v2
	v_cmp_gt_u32_e32 vcc_lo, 0x71, v2
	v_or_b32_e32 v33, 0x800000, v3
	v_cndmask_b32_e32 v29, 0, v29, vcc_lo
	v_cmp_eq_u32_e32 vcc_lo, 0, v2
	v_add_nc_u32_e32 v2, 0xffffff91, v2
	v_cndmask_b32_e64 v29, v29, 0x6f, vcc_lo
	v_cndmask_b32_e32 v3, v33, v3, vcc_lo
	v_cndmask_b32_e64 v2, v2, 0xffffff92, vcc_lo
	v_lshl_add_u32 v33, 0x200000, v29, -1
	v_lshrrev_b32_e32 v39, v29, v3
	v_lshlrev_b32_e64 v86, v29, 0x100000
	v_and_b32_e32 v3, v33, v3
	v_bfe_u32 v50, v39, 21, 1
	v_cmp_eq_u32_e64 s12, v3, v86
	v_add_nc_u32_e32 v33, -1, v50
	v_lshrrev_b32_e32 v50, 23, v39
	v_cndmask_b32_e64 v3, 0, v33, s12
	s_mov_b32 s12, exec_lo
	v_add_nc_u32_e32 v33, v3, v39
	v_add_nc_u32_e32 v3, v29, v2
                                        ; implicit-def: $vgpr29
	v_and_b32_e32 v2, 0x1fffff, v33
	v_xor_b32_e32 v33, 1, v50
	v_add_nc_u32_e32 v2, v2, v39
	v_cmpx_ne_u32_e64 v3, v33
	s_xor_b32 s12, exec_lo, s12
; %bb.9848:                             ;   in Loop: Header=BB6_8809 Depth=2
	v_cmp_lt_u32_e32 vcc_lo, 0xffffff, v2
	v_sub_nc_u32_e32 v3, v3, v33
	v_cndmask_b32_e64 v33, 0, 1, vcc_lo
	v_add_co_ci_u32_e64 v29, null, 0, v3, vcc_lo
	v_lshrrev_b32_e32 v2, v33, v2
; %bb.9849:                             ;   in Loop: Header=BB6_8809 Depth=2
	s_andn2_saveexec_b32 s12, s12
; %bb.9850:                             ;   in Loop: Header=BB6_8809 Depth=2
	v_bfe_u32 v29, v2, 23, 1
; %bb.9851:                             ;   in Loop: Header=BB6_8809 Depth=2
	s_or_b32 exec_lo, exec_lo, s12
	v_lshrrev_b32_e32 v2, 21, v2
	v_cmp_gt_i32_e32 vcc_lo, 32, v29
	v_min_i32_e32 v3, 31, v29
	v_and_b32_sdwa v33, v36, v44 dst_sel:DWORD dst_unused:UNUSED_PAD src0_sel:BYTE_3 src1_sel:DWORD
	v_cndmask_b32_e32 v2, 3, v2, vcc_lo
	v_lshlrev_b32_e32 v3, 2, v3
	v_and_b32_e32 v36, 3, v2
	v_or_b32_e32 v2, v29, v2
	v_or3_b32 v3, v3, v33, v36
	v_cmp_ne_u32_e32 vcc_lo, 0, v2
	v_cndmask_b32_e32 v29, 0, v3, vcc_lo
.LBB6_9852:                             ;   in Loop: Header=BB6_8809 Depth=2
	s_or_b32 exec_lo, exec_lo, s40
.LBB6_9853:                             ;   in Loop: Header=BB6_8809 Depth=2
	s_or_b32 exec_lo, exec_lo, s29
	v_cmp_gt_i16_sdwa s29, v28, v43 src0_sel:BYTE_0 src1_sel:DWORD
	s_andn2_b32 vcc_lo, exec_lo, s27
	s_mov_b32 s12, -1
                                        ; implicit-def: $vgpr33
	s_cbranch_vccnz .LBB6_9867
; %bb.9854:                             ;   in Loop: Header=BB6_8809 Depth=2
	s_mov_b32 s12, 0
	s_and_saveexec_b32 s40, s29
	s_xor_b32 s29, exec_lo, s40
	s_cbranch_execz .LBB6_10191
; %bb.9855:                             ;   in Loop: Header=BB6_8809 Depth=2
	v_cmp_eq_u16_sdwa s41, v28, v44 src0_sel:BYTE_0 src1_sel:DWORD
	s_mov_b32 s12, -1
	s_and_saveexec_b32 s40, s41
; %bb.9856:                             ;   in Loop: Header=BB6_8809 Depth=2
	s_xor_b32 s12, exec_lo, -1
; %bb.9857:                             ;   in Loop: Header=BB6_8809 Depth=2
	s_or_b32 exec_lo, exec_lo, s40
	s_and_b32 s12, s12, exec_lo
	s_or_saveexec_b32 s29, s29
	v_mov_b32_e32 v33, 0x7f800001
	s_xor_b32 exec_lo, exec_lo, s29
	s_cbranch_execnz .LBB6_10192
.LBB6_9858:                             ;   in Loop: Header=BB6_8809 Depth=2
	s_or_b32 exec_lo, exec_lo, s29
	s_and_saveexec_b32 s29, s12
	s_cbranch_execz .LBB6_9860
.LBB6_9859:                             ;   in Loop: Header=BB6_8809 Depth=2
	v_and_b32_e32 v2, 3, v28
	v_lshrrev_b16 v33, 2, v28
	v_lshlrev_b32_e32 v39, 24, v28
	v_ffbh_u32_e32 v3, v2
	v_and_b32_e32 v33, 31, v33
	v_min_u32_e32 v3, 32, v3
	v_cmp_eq_u32_e32 vcc_lo, 0, v33
	v_subrev_nc_u32_e32 v36, 29, v3
	v_sub_nc_u32_e32 v3, 30, v3
	v_lshlrev_b32_e32 v36, v36, v28
	v_cndmask_b32_e32 v3, v33, v3, vcc_lo
	v_and_b32_e32 v33, 0x80000000, v39
	v_and_b32_e32 v36, 3, v36
	v_lshl_add_u32 v3, v3, 23, 0x37800000
	v_cndmask_b32_e32 v2, v2, v36, vcc_lo
	v_lshlrev_b32_e32 v2, 21, v2
	v_or3_b32 v33, v33, v3, v2
.LBB6_9860:                             ;   in Loop: Header=BB6_8809 Depth=2
	s_or_b32 exec_lo, exec_lo, s29
	s_waitcnt vmcnt(2) lgkmcnt(2)
	v_cmp_gt_i16_sdwa s29, v27, v43 src0_sel:BYTE_0 src1_sel:DWORD
	s_mov_b32 s12, 0
	s_and_saveexec_b32 s40, s29
	s_xor_b32 s29, exec_lo, s40
	s_cbranch_execz .LBB6_10193
; %bb.9861:                             ;   in Loop: Header=BB6_8809 Depth=2
	v_cmp_eq_u16_sdwa s41, v27, v44 src0_sel:BYTE_0 src1_sel:DWORD
	s_mov_b32 s12, -1
	s_and_saveexec_b32 s40, s41
; %bb.9862:                             ;   in Loop: Header=BB6_8809 Depth=2
	s_xor_b32 s12, exec_lo, -1
; %bb.9863:                             ;   in Loop: Header=BB6_8809 Depth=2
	s_or_b32 exec_lo, exec_lo, s40
	s_and_b32 s12, s12, exec_lo
	s_or_saveexec_b32 s29, s29
	v_mov_b32_e32 v2, 0x7f800001
	s_xor_b32 exec_lo, exec_lo, s29
	s_cbranch_execnz .LBB6_10194
.LBB6_9864:                             ;   in Loop: Header=BB6_8809 Depth=2
	s_or_b32 exec_lo, exec_lo, s29
	s_and_saveexec_b32 s29, s12
	s_cbranch_execz .LBB6_9866
.LBB6_9865:                             ;   in Loop: Header=BB6_8809 Depth=2
	v_and_b32_e32 v2, 3, v27
	v_lshrrev_b16 v36, 2, v27
	v_lshlrev_b32_e32 v50, 24, v27
	v_ffbh_u32_e32 v3, v2
	v_and_b32_e32 v36, 31, v36
	v_min_u32_e32 v3, 32, v3
	v_cmp_eq_u32_e32 vcc_lo, 0, v36
	v_subrev_nc_u32_e32 v39, 29, v3
	v_sub_nc_u32_e32 v3, 30, v3
	v_lshlrev_b32_e32 v39, v39, v27
	v_cndmask_b32_e32 v3, v36, v3, vcc_lo
	v_and_b32_e32 v36, 0x80000000, v50
	v_and_b32_e32 v39, 3, v39
	v_lshl_add_u32 v3, v3, 23, 0x37800000
	v_cndmask_b32_e32 v2, v2, v39, vcc_lo
	v_lshlrev_b32_e32 v2, 21, v2
	v_or3_b32 v2, v36, v3, v2
.LBB6_9866:                             ;   in Loop: Header=BB6_8809 Depth=2
	s_or_b32 exec_lo, exec_lo, s29
	v_max_f32_e32 v2, v2, v2
	v_max_f32_e32 v3, v33, v33
	s_mov_b32 s12, 0
	v_max_f32_e32 v33, v3, v2
.LBB6_9867:                             ;   in Loop: Header=BB6_8809 Depth=2
	s_and_b32 vcc_lo, exec_lo, s12
	s_cbranch_vccz .LBB6_9881
; %bb.9868:                             ;   in Loop: Header=BB6_8809 Depth=2
	v_cmp_gt_i16_sdwa s29, v28, v43 src0_sel:BYTE_0 src1_sel:DWORD
	s_mov_b32 s12, 0
	s_and_saveexec_b32 s40, s29
	s_xor_b32 s29, exec_lo, s40
	s_cbranch_execz .LBB6_10195
; %bb.9869:                             ;   in Loop: Header=BB6_8809 Depth=2
	v_cmp_eq_u16_sdwa s41, v28, v44 src0_sel:BYTE_0 src1_sel:DWORD
	s_mov_b32 s12, -1
	s_and_saveexec_b32 s40, s41
; %bb.9870:                             ;   in Loop: Header=BB6_8809 Depth=2
	s_xor_b32 s12, exec_lo, -1
; %bb.9871:                             ;   in Loop: Header=BB6_8809 Depth=2
	s_or_b32 exec_lo, exec_lo, s40
	s_and_b32 s12, s12, exec_lo
	s_or_saveexec_b32 s29, s29
	v_mov_b32_e32 v33, 0x7f800001
	s_xor_b32 exec_lo, exec_lo, s29
	s_cbranch_execnz .LBB6_10196
.LBB6_9872:                             ;   in Loop: Header=BB6_8809 Depth=2
	s_or_b32 exec_lo, exec_lo, s29
	s_and_saveexec_b32 s29, s12
	s_cbranch_execz .LBB6_9874
.LBB6_9873:                             ;   in Loop: Header=BB6_8809 Depth=2
	v_and_b32_e32 v2, 3, v28
	v_lshrrev_b16 v33, 2, v28
	v_ffbh_u32_e32 v3, v2
	v_and_b32_e32 v33, 31, v33
	v_min_u32_e32 v3, 32, v3
	v_cmp_eq_u32_e32 vcc_lo, 0, v33
	v_subrev_nc_u32_e32 v36, 29, v3
	v_sub_nc_u32_e32 v3, 30, v3
	v_lshlrev_b32_e32 v36, v36, v28
	v_lshlrev_b32_e32 v28, 24, v28
	v_cndmask_b32_e32 v3, v33, v3, vcc_lo
	v_and_b32_e32 v36, 3, v36
	v_and_b32_e32 v28, 0x80000000, v28
	v_lshl_add_u32 v3, v3, 23, 0x37800000
	v_cndmask_b32_e32 v2, v2, v36, vcc_lo
	v_lshlrev_b32_e32 v2, 21, v2
	v_or3_b32 v33, v28, v3, v2
.LBB6_9874:                             ;   in Loop: Header=BB6_8809 Depth=2
	s_or_b32 exec_lo, exec_lo, s29
	s_waitcnt vmcnt(2) lgkmcnt(2)
	v_cmp_gt_i16_sdwa s29, v27, v43 src0_sel:BYTE_0 src1_sel:DWORD
	s_mov_b32 s12, 0
	s_and_saveexec_b32 s40, s29
	s_xor_b32 s29, exec_lo, s40
	s_cbranch_execz .LBB6_10197
; %bb.9875:                             ;   in Loop: Header=BB6_8809 Depth=2
	v_cmp_eq_u16_sdwa s41, v27, v44 src0_sel:BYTE_0 src1_sel:DWORD
	s_mov_b32 s12, -1
	s_and_saveexec_b32 s40, s41
; %bb.9876:                             ;   in Loop: Header=BB6_8809 Depth=2
	s_xor_b32 s12, exec_lo, -1
; %bb.9877:                             ;   in Loop: Header=BB6_8809 Depth=2
	s_or_b32 exec_lo, exec_lo, s40
	s_and_b32 s12, s12, exec_lo
	s_or_saveexec_b32 s29, s29
	v_mov_b32_e32 v2, 0x7f800001
	s_xor_b32 exec_lo, exec_lo, s29
	s_cbranch_execnz .LBB6_10198
.LBB6_9878:                             ;   in Loop: Header=BB6_8809 Depth=2
	s_or_b32 exec_lo, exec_lo, s29
	s_and_saveexec_b32 s29, s12
	s_cbranch_execz .LBB6_9880
.LBB6_9879:                             ;   in Loop: Header=BB6_8809 Depth=2
	v_and_b32_e32 v2, 3, v27
	v_lshrrev_b16 v28, 2, v27
	v_ffbh_u32_e32 v3, v2
	v_and_b32_e32 v28, 31, v28
	v_min_u32_e32 v3, 32, v3
	v_cmp_eq_u32_e32 vcc_lo, 0, v28
	v_subrev_nc_u32_e32 v36, 29, v3
	v_sub_nc_u32_e32 v3, 30, v3
	v_lshlrev_b32_e32 v36, v36, v27
	v_lshlrev_b32_e32 v27, 24, v27
	v_cndmask_b32_e32 v3, v28, v3, vcc_lo
	v_and_b32_e32 v36, 3, v36
	v_and_b32_e32 v27, 0x80000000, v27
	v_lshl_add_u32 v3, v3, 23, 0x37800000
	v_cndmask_b32_e32 v2, v2, v36, vcc_lo
	v_lshlrev_b32_e32 v2, 21, v2
	v_or3_b32 v2, v27, v3, v2
.LBB6_9880:                             ;   in Loop: Header=BB6_8809 Depth=2
	s_or_b32 exec_lo, exec_lo, s29
	v_max_f32_e32 v2, v2, v2
	v_max_f32_e32 v3, v33, v33
	v_min_f32_e32 v33, v3, v2
.LBB6_9881:                             ;   in Loop: Header=BB6_8809 Depth=2
	v_and_b32_e32 v2, 0x7f800000, v33
	s_waitcnt vmcnt(2) lgkmcnt(2)
	v_mov_b32_e32 v27, 0x80
	s_mov_b32 s29, exec_lo
	v_cmpx_ne_u32_e32 0x7f800000, v2
	s_cbranch_execz .LBB6_9889
; %bb.9882:                             ;   in Loop: Header=BB6_8809 Depth=2
	v_mov_b32_e32 v27, 0
	s_mov_b32 s40, exec_lo
	v_cmpx_ne_u32_e32 0, v33
	s_cbranch_execz .LBB6_9888
; %bb.9883:                             ;   in Loop: Header=BB6_8809 Depth=2
	v_bfe_u32 v2, v33, 23, 8
	v_and_b32_e32 v3, 0x7fffff, v33
	v_sub_nc_u32_e32 v27, 0x70, v2
	v_cmp_gt_u32_e32 vcc_lo, 0x71, v2
	v_or_b32_e32 v28, 0x800000, v3
	v_cndmask_b32_e32 v27, 0, v27, vcc_lo
	v_cmp_eq_u32_e32 vcc_lo, 0, v2
	v_add_nc_u32_e32 v2, 0xffffff91, v2
	v_cndmask_b32_e64 v27, v27, 0x6f, vcc_lo
	v_cndmask_b32_e32 v3, v28, v3, vcc_lo
	v_cndmask_b32_e64 v2, v2, 0xffffff92, vcc_lo
	v_lshl_add_u32 v28, 0x200000, v27, -1
	v_lshrrev_b32_e32 v36, v27, v3
	v_lshlrev_b32_e64 v50, v27, 0x100000
	v_and_b32_e32 v3, v28, v3
	v_bfe_u32 v39, v36, 21, 1
	v_cmp_eq_u32_e64 s12, v3, v50
	v_add_nc_u32_e32 v28, -1, v39
	v_lshrrev_b32_e32 v39, 23, v36
	v_cndmask_b32_e64 v3, 0, v28, s12
	s_mov_b32 s12, exec_lo
	v_add_nc_u32_e32 v28, v3, v36
	v_add_nc_u32_e32 v3, v27, v2
                                        ; implicit-def: $vgpr27
	v_and_b32_e32 v2, 0x1fffff, v28
	v_xor_b32_e32 v28, 1, v39
	v_add_nc_u32_e32 v2, v2, v36
	v_cmpx_ne_u32_e64 v3, v28
	s_xor_b32 s12, exec_lo, s12
; %bb.9884:                             ;   in Loop: Header=BB6_8809 Depth=2
	v_cmp_lt_u32_e32 vcc_lo, 0xffffff, v2
	v_sub_nc_u32_e32 v3, v3, v28
	v_cndmask_b32_e64 v28, 0, 1, vcc_lo
	v_add_co_ci_u32_e64 v27, null, 0, v3, vcc_lo
	v_lshrrev_b32_e32 v2, v28, v2
; %bb.9885:                             ;   in Loop: Header=BB6_8809 Depth=2
	s_andn2_saveexec_b32 s12, s12
; %bb.9886:                             ;   in Loop: Header=BB6_8809 Depth=2
	v_bfe_u32 v27, v2, 23, 1
; %bb.9887:                             ;   in Loop: Header=BB6_8809 Depth=2
	s_or_b32 exec_lo, exec_lo, s12
	v_lshrrev_b32_e32 v2, 21, v2
	v_cmp_gt_i32_e32 vcc_lo, 32, v27
	v_min_i32_e32 v3, 31, v27
	v_and_b32_sdwa v28, v33, v44 dst_sel:DWORD dst_unused:UNUSED_PAD src0_sel:BYTE_3 src1_sel:DWORD
	v_cndmask_b32_e32 v2, 3, v2, vcc_lo
	v_lshlrev_b32_e32 v3, 2, v3
	v_and_b32_e32 v33, 3, v2
	v_or_b32_e32 v2, v27, v2
	v_or3_b32 v3, v3, v28, v33
	v_cmp_ne_u32_e32 vcc_lo, 0, v2
	v_cndmask_b32_e32 v27, 0, v3, vcc_lo
.LBB6_9888:                             ;   in Loop: Header=BB6_8809 Depth=2
	s_or_b32 exec_lo, exec_lo, s40
.LBB6_9889:                             ;   in Loop: Header=BB6_8809 Depth=2
	s_or_b32 exec_lo, exec_lo, s29
	v_cmp_gt_i16_sdwa s29, v25, v43 src0_sel:BYTE_0 src1_sel:DWORD
	s_andn2_b32 vcc_lo, exec_lo, s27
	s_mov_b32 s12, -1
                                        ; implicit-def: $vgpr28
	s_cbranch_vccnz .LBB6_9903
; %bb.9890:                             ;   in Loop: Header=BB6_8809 Depth=2
	s_mov_b32 s12, 0
	s_and_saveexec_b32 s40, s29
	s_xor_b32 s29, exec_lo, s40
	s_cbranch_execz .LBB6_10199
; %bb.9891:                             ;   in Loop: Header=BB6_8809 Depth=2
	v_cmp_eq_u16_sdwa s41, v25, v44 src0_sel:BYTE_0 src1_sel:DWORD
	s_mov_b32 s12, -1
	s_and_saveexec_b32 s40, s41
; %bb.9892:                             ;   in Loop: Header=BB6_8809 Depth=2
	s_xor_b32 s12, exec_lo, -1
; %bb.9893:                             ;   in Loop: Header=BB6_8809 Depth=2
	s_or_b32 exec_lo, exec_lo, s40
	s_and_b32 s12, s12, exec_lo
	s_or_saveexec_b32 s29, s29
	v_mov_b32_e32 v28, 0x7f800001
	s_xor_b32 exec_lo, exec_lo, s29
	s_cbranch_execnz .LBB6_10200
.LBB6_9894:                             ;   in Loop: Header=BB6_8809 Depth=2
	s_or_b32 exec_lo, exec_lo, s29
	s_and_saveexec_b32 s29, s12
	s_cbranch_execz .LBB6_9896
.LBB6_9895:                             ;   in Loop: Header=BB6_8809 Depth=2
	v_and_b32_e32 v2, 3, v25
	v_lshrrev_b16 v28, 2, v25
	v_lshlrev_b32_e32 v36, 24, v25
	v_ffbh_u32_e32 v3, v2
	v_and_b32_e32 v28, 31, v28
	v_min_u32_e32 v3, 32, v3
	v_cmp_eq_u32_e32 vcc_lo, 0, v28
	v_subrev_nc_u32_e32 v33, 29, v3
	v_sub_nc_u32_e32 v3, 30, v3
	v_lshlrev_b32_e32 v33, v33, v25
	v_cndmask_b32_e32 v3, v28, v3, vcc_lo
	v_and_b32_e32 v28, 0x80000000, v36
	v_and_b32_e32 v33, 3, v33
	v_lshl_add_u32 v3, v3, 23, 0x37800000
	v_cndmask_b32_e32 v2, v2, v33, vcc_lo
	v_lshlrev_b32_e32 v2, 21, v2
	v_or3_b32 v28, v28, v3, v2
.LBB6_9896:                             ;   in Loop: Header=BB6_8809 Depth=2
	s_or_b32 exec_lo, exec_lo, s29
	s_waitcnt vmcnt(1) lgkmcnt(1)
	v_cmp_gt_i16_sdwa s29, v24, v43 src0_sel:BYTE_0 src1_sel:DWORD
	s_mov_b32 s12, 0
	s_and_saveexec_b32 s40, s29
	s_xor_b32 s29, exec_lo, s40
	s_cbranch_execz .LBB6_10201
; %bb.9897:                             ;   in Loop: Header=BB6_8809 Depth=2
	v_cmp_eq_u16_sdwa s41, v24, v44 src0_sel:BYTE_0 src1_sel:DWORD
	s_mov_b32 s12, -1
	s_and_saveexec_b32 s40, s41
; %bb.9898:                             ;   in Loop: Header=BB6_8809 Depth=2
	s_xor_b32 s12, exec_lo, -1
; %bb.9899:                             ;   in Loop: Header=BB6_8809 Depth=2
	s_or_b32 exec_lo, exec_lo, s40
	s_and_b32 s12, s12, exec_lo
	s_or_saveexec_b32 s29, s29
	v_mov_b32_e32 v2, 0x7f800001
	s_xor_b32 exec_lo, exec_lo, s29
	s_cbranch_execnz .LBB6_10202
.LBB6_9900:                             ;   in Loop: Header=BB6_8809 Depth=2
	s_or_b32 exec_lo, exec_lo, s29
	s_and_saveexec_b32 s29, s12
	s_cbranch_execz .LBB6_9902
.LBB6_9901:                             ;   in Loop: Header=BB6_8809 Depth=2
	v_and_b32_e32 v2, 3, v24
	v_lshrrev_b16 v33, 2, v24
	v_lshlrev_b32_e32 v39, 24, v24
	v_ffbh_u32_e32 v3, v2
	v_and_b32_e32 v33, 31, v33
	v_min_u32_e32 v3, 32, v3
	v_cmp_eq_u32_e32 vcc_lo, 0, v33
	v_subrev_nc_u32_e32 v36, 29, v3
	v_sub_nc_u32_e32 v3, 30, v3
	v_lshlrev_b32_e32 v36, v36, v24
	v_cndmask_b32_e32 v3, v33, v3, vcc_lo
	v_and_b32_e32 v33, 0x80000000, v39
	v_and_b32_e32 v36, 3, v36
	v_lshl_add_u32 v3, v3, 23, 0x37800000
	v_cndmask_b32_e32 v2, v2, v36, vcc_lo
	v_lshlrev_b32_e32 v2, 21, v2
	v_or3_b32 v2, v33, v3, v2
.LBB6_9902:                             ;   in Loop: Header=BB6_8809 Depth=2
	s_or_b32 exec_lo, exec_lo, s29
	v_max_f32_e32 v2, v2, v2
	v_max_f32_e32 v3, v28, v28
	s_mov_b32 s12, 0
	v_max_f32_e32 v28, v3, v2
.LBB6_9903:                             ;   in Loop: Header=BB6_8809 Depth=2
	s_and_b32 vcc_lo, exec_lo, s12
	s_cbranch_vccz .LBB6_9917
; %bb.9904:                             ;   in Loop: Header=BB6_8809 Depth=2
	v_cmp_gt_i16_sdwa s29, v25, v43 src0_sel:BYTE_0 src1_sel:DWORD
	s_mov_b32 s12, 0
	s_and_saveexec_b32 s40, s29
	s_xor_b32 s29, exec_lo, s40
	s_cbranch_execz .LBB6_10203
; %bb.9905:                             ;   in Loop: Header=BB6_8809 Depth=2
	v_cmp_eq_u16_sdwa s41, v25, v44 src0_sel:BYTE_0 src1_sel:DWORD
	s_mov_b32 s12, -1
	s_and_saveexec_b32 s40, s41
; %bb.9906:                             ;   in Loop: Header=BB6_8809 Depth=2
	s_xor_b32 s12, exec_lo, -1
; %bb.9907:                             ;   in Loop: Header=BB6_8809 Depth=2
	s_or_b32 exec_lo, exec_lo, s40
	s_and_b32 s12, s12, exec_lo
	s_or_saveexec_b32 s29, s29
	v_mov_b32_e32 v28, 0x7f800001
	s_xor_b32 exec_lo, exec_lo, s29
	s_cbranch_execnz .LBB6_10204
.LBB6_9908:                             ;   in Loop: Header=BB6_8809 Depth=2
	s_or_b32 exec_lo, exec_lo, s29
	s_and_saveexec_b32 s29, s12
	s_cbranch_execz .LBB6_9910
.LBB6_9909:                             ;   in Loop: Header=BB6_8809 Depth=2
	v_and_b32_e32 v2, 3, v25
	v_lshrrev_b16 v28, 2, v25
	v_ffbh_u32_e32 v3, v2
	v_and_b32_e32 v28, 31, v28
	v_min_u32_e32 v3, 32, v3
	v_cmp_eq_u32_e32 vcc_lo, 0, v28
	v_subrev_nc_u32_e32 v33, 29, v3
	v_sub_nc_u32_e32 v3, 30, v3
	v_lshlrev_b32_e32 v33, v33, v25
	v_lshlrev_b32_e32 v25, 24, v25
	v_cndmask_b32_e32 v3, v28, v3, vcc_lo
	v_and_b32_e32 v33, 3, v33
	v_and_b32_e32 v25, 0x80000000, v25
	v_lshl_add_u32 v3, v3, 23, 0x37800000
	v_cndmask_b32_e32 v2, v2, v33, vcc_lo
	v_lshlrev_b32_e32 v2, 21, v2
	v_or3_b32 v28, v25, v3, v2
.LBB6_9910:                             ;   in Loop: Header=BB6_8809 Depth=2
	s_or_b32 exec_lo, exec_lo, s29
	s_waitcnt vmcnt(1) lgkmcnt(1)
	v_cmp_gt_i16_sdwa s29, v24, v43 src0_sel:BYTE_0 src1_sel:DWORD
	s_mov_b32 s12, 0
	s_and_saveexec_b32 s40, s29
	s_xor_b32 s29, exec_lo, s40
	s_cbranch_execz .LBB6_10205
; %bb.9911:                             ;   in Loop: Header=BB6_8809 Depth=2
	v_cmp_eq_u16_sdwa s41, v24, v44 src0_sel:BYTE_0 src1_sel:DWORD
	s_mov_b32 s12, -1
	s_and_saveexec_b32 s40, s41
; %bb.9912:                             ;   in Loop: Header=BB6_8809 Depth=2
	s_xor_b32 s12, exec_lo, -1
; %bb.9913:                             ;   in Loop: Header=BB6_8809 Depth=2
	s_or_b32 exec_lo, exec_lo, s40
	s_and_b32 s12, s12, exec_lo
	s_or_saveexec_b32 s29, s29
	v_mov_b32_e32 v2, 0x7f800001
	s_xor_b32 exec_lo, exec_lo, s29
	s_cbranch_execnz .LBB6_10206
.LBB6_9914:                             ;   in Loop: Header=BB6_8809 Depth=2
	s_or_b32 exec_lo, exec_lo, s29
	s_and_saveexec_b32 s29, s12
	s_cbranch_execz .LBB6_9916
.LBB6_9915:                             ;   in Loop: Header=BB6_8809 Depth=2
	v_and_b32_e32 v2, 3, v24
	v_lshrrev_b16 v25, 2, v24
	v_ffbh_u32_e32 v3, v2
	v_and_b32_e32 v25, 31, v25
	v_min_u32_e32 v3, 32, v3
	v_cmp_eq_u32_e32 vcc_lo, 0, v25
	v_subrev_nc_u32_e32 v33, 29, v3
	v_sub_nc_u32_e32 v3, 30, v3
	v_lshlrev_b32_e32 v33, v33, v24
	v_lshlrev_b32_e32 v24, 24, v24
	v_cndmask_b32_e32 v3, v25, v3, vcc_lo
	v_and_b32_e32 v33, 3, v33
	v_and_b32_e32 v24, 0x80000000, v24
	v_lshl_add_u32 v3, v3, 23, 0x37800000
	v_cndmask_b32_e32 v2, v2, v33, vcc_lo
	v_lshlrev_b32_e32 v2, 21, v2
	v_or3_b32 v2, v24, v3, v2
.LBB6_9916:                             ;   in Loop: Header=BB6_8809 Depth=2
	s_or_b32 exec_lo, exec_lo, s29
	v_max_f32_e32 v2, v2, v2
	v_max_f32_e32 v3, v28, v28
	v_min_f32_e32 v28, v3, v2
.LBB6_9917:                             ;   in Loop: Header=BB6_8809 Depth=2
	v_and_b32_e32 v2, 0x7f800000, v28
	s_waitcnt vmcnt(1) lgkmcnt(1)
	v_mov_b32_e32 v24, 0x80
	s_mov_b32 s29, exec_lo
	v_cmpx_ne_u32_e32 0x7f800000, v2
	s_cbranch_execz .LBB6_9925
; %bb.9918:                             ;   in Loop: Header=BB6_8809 Depth=2
	v_mov_b32_e32 v24, 0
	s_mov_b32 s40, exec_lo
	v_cmpx_ne_u32_e32 0, v28
	s_cbranch_execz .LBB6_9924
; %bb.9919:                             ;   in Loop: Header=BB6_8809 Depth=2
	v_bfe_u32 v2, v28, 23, 8
	v_and_b32_e32 v3, 0x7fffff, v28
	v_sub_nc_u32_e32 v24, 0x70, v2
	v_cmp_gt_u32_e32 vcc_lo, 0x71, v2
	v_or_b32_e32 v25, 0x800000, v3
	v_cndmask_b32_e32 v24, 0, v24, vcc_lo
	v_cmp_eq_u32_e32 vcc_lo, 0, v2
	v_add_nc_u32_e32 v2, 0xffffff91, v2
	v_cndmask_b32_e64 v24, v24, 0x6f, vcc_lo
	v_cndmask_b32_e32 v3, v25, v3, vcc_lo
	v_cndmask_b32_e64 v2, v2, 0xffffff92, vcc_lo
	v_lshl_add_u32 v25, 0x200000, v24, -1
	v_lshrrev_b32_e32 v33, v24, v3
	v_lshlrev_b32_e64 v39, v24, 0x100000
	v_and_b32_e32 v3, v25, v3
	v_bfe_u32 v36, v33, 21, 1
	v_cmp_eq_u32_e64 s12, v3, v39
	v_add_nc_u32_e32 v25, -1, v36
	v_lshrrev_b32_e32 v36, 23, v33
	v_cndmask_b32_e64 v3, 0, v25, s12
	s_mov_b32 s12, exec_lo
	v_add_nc_u32_e32 v25, v3, v33
	v_add_nc_u32_e32 v3, v24, v2
                                        ; implicit-def: $vgpr24
	v_and_b32_e32 v2, 0x1fffff, v25
	v_xor_b32_e32 v25, 1, v36
	v_add_nc_u32_e32 v2, v2, v33
	v_cmpx_ne_u32_e64 v3, v25
	s_xor_b32 s12, exec_lo, s12
; %bb.9920:                             ;   in Loop: Header=BB6_8809 Depth=2
	v_cmp_lt_u32_e32 vcc_lo, 0xffffff, v2
	v_sub_nc_u32_e32 v3, v3, v25
	v_cndmask_b32_e64 v25, 0, 1, vcc_lo
	v_add_co_ci_u32_e64 v24, null, 0, v3, vcc_lo
	v_lshrrev_b32_e32 v2, v25, v2
; %bb.9921:                             ;   in Loop: Header=BB6_8809 Depth=2
	s_andn2_saveexec_b32 s12, s12
; %bb.9922:                             ;   in Loop: Header=BB6_8809 Depth=2
	v_bfe_u32 v24, v2, 23, 1
; %bb.9923:                             ;   in Loop: Header=BB6_8809 Depth=2
	s_or_b32 exec_lo, exec_lo, s12
	v_lshrrev_b32_e32 v2, 21, v2
	v_cmp_gt_i32_e32 vcc_lo, 32, v24
	v_min_i32_e32 v3, 31, v24
	v_and_b32_sdwa v25, v28, v44 dst_sel:DWORD dst_unused:UNUSED_PAD src0_sel:BYTE_3 src1_sel:DWORD
	v_cndmask_b32_e32 v2, 3, v2, vcc_lo
	v_lshlrev_b32_e32 v3, 2, v3
	v_and_b32_e32 v28, 3, v2
	v_or_b32_e32 v2, v24, v2
	v_or3_b32 v3, v3, v25, v28
	v_cmp_ne_u32_e32 vcc_lo, 0, v2
	v_cndmask_b32_e32 v24, 0, v3, vcc_lo
.LBB6_9924:                             ;   in Loop: Header=BB6_8809 Depth=2
	s_or_b32 exec_lo, exec_lo, s40
.LBB6_9925:                             ;   in Loop: Header=BB6_8809 Depth=2
	s_or_b32 exec_lo, exec_lo, s29
	v_cmp_gt_i16_sdwa s29, v22, v43 src0_sel:BYTE_0 src1_sel:DWORD
	s_andn2_b32 vcc_lo, exec_lo, s27
	s_mov_b32 s12, -1
                                        ; implicit-def: $vgpr25
	s_cbranch_vccnz .LBB6_9939
; %bb.9926:                             ;   in Loop: Header=BB6_8809 Depth=2
	s_mov_b32 s12, 0
	s_and_saveexec_b32 s40, s29
	s_xor_b32 s29, exec_lo, s40
	s_cbranch_execz .LBB6_10207
; %bb.9927:                             ;   in Loop: Header=BB6_8809 Depth=2
	v_cmp_eq_u16_sdwa s41, v22, v44 src0_sel:BYTE_0 src1_sel:DWORD
	s_mov_b32 s12, -1
	s_and_saveexec_b32 s40, s41
; %bb.9928:                             ;   in Loop: Header=BB6_8809 Depth=2
	s_xor_b32 s12, exec_lo, -1
; %bb.9929:                             ;   in Loop: Header=BB6_8809 Depth=2
	s_or_b32 exec_lo, exec_lo, s40
	s_and_b32 s12, s12, exec_lo
	s_or_saveexec_b32 s29, s29
	v_mov_b32_e32 v25, 0x7f800001
	s_xor_b32 exec_lo, exec_lo, s29
	s_cbranch_execnz .LBB6_10208
.LBB6_9930:                             ;   in Loop: Header=BB6_8809 Depth=2
	s_or_b32 exec_lo, exec_lo, s29
	s_and_saveexec_b32 s29, s12
	s_cbranch_execz .LBB6_9932
.LBB6_9931:                             ;   in Loop: Header=BB6_8809 Depth=2
	v_and_b32_e32 v2, 3, v22
	v_lshrrev_b16 v25, 2, v22
	v_lshlrev_b32_e32 v33, 24, v22
	v_ffbh_u32_e32 v3, v2
	v_and_b32_e32 v25, 31, v25
	v_min_u32_e32 v3, 32, v3
	v_cmp_eq_u32_e32 vcc_lo, 0, v25
	v_subrev_nc_u32_e32 v28, 29, v3
	v_sub_nc_u32_e32 v3, 30, v3
	v_lshlrev_b32_e32 v28, v28, v22
	v_cndmask_b32_e32 v3, v25, v3, vcc_lo
	v_and_b32_e32 v25, 0x80000000, v33
	v_and_b32_e32 v28, 3, v28
	v_lshl_add_u32 v3, v3, 23, 0x37800000
	v_cndmask_b32_e32 v2, v2, v28, vcc_lo
	v_lshlrev_b32_e32 v2, 21, v2
	v_or3_b32 v25, v25, v3, v2
.LBB6_9932:                             ;   in Loop: Header=BB6_8809 Depth=2
	s_or_b32 exec_lo, exec_lo, s29
	s_waitcnt vmcnt(0) lgkmcnt(0)
	v_cmp_gt_i16_sdwa s29, v21, v43 src0_sel:BYTE_0 src1_sel:DWORD
	s_mov_b32 s12, 0
	s_and_saveexec_b32 s40, s29
	s_xor_b32 s29, exec_lo, s40
	s_cbranch_execz .LBB6_10209
; %bb.9933:                             ;   in Loop: Header=BB6_8809 Depth=2
	v_cmp_eq_u16_sdwa s41, v21, v44 src0_sel:BYTE_0 src1_sel:DWORD
	s_mov_b32 s12, -1
	s_and_saveexec_b32 s40, s41
; %bb.9934:                             ;   in Loop: Header=BB6_8809 Depth=2
	s_xor_b32 s12, exec_lo, -1
; %bb.9935:                             ;   in Loop: Header=BB6_8809 Depth=2
	s_or_b32 exec_lo, exec_lo, s40
	s_and_b32 s12, s12, exec_lo
	s_or_saveexec_b32 s29, s29
	v_mov_b32_e32 v2, 0x7f800001
	s_xor_b32 exec_lo, exec_lo, s29
	s_cbranch_execnz .LBB6_10210
.LBB6_9936:                             ;   in Loop: Header=BB6_8809 Depth=2
	s_or_b32 exec_lo, exec_lo, s29
	s_and_saveexec_b32 s29, s12
	s_cbranch_execz .LBB6_9938
.LBB6_9937:                             ;   in Loop: Header=BB6_8809 Depth=2
	v_and_b32_e32 v2, 3, v21
	v_lshrrev_b16 v28, 2, v21
	v_lshlrev_b32_e32 v36, 24, v21
	v_ffbh_u32_e32 v3, v2
	v_and_b32_e32 v28, 31, v28
	v_min_u32_e32 v3, 32, v3
	v_cmp_eq_u32_e32 vcc_lo, 0, v28
	v_subrev_nc_u32_e32 v33, 29, v3
	v_sub_nc_u32_e32 v3, 30, v3
	v_lshlrev_b32_e32 v33, v33, v21
	v_cndmask_b32_e32 v3, v28, v3, vcc_lo
	v_and_b32_e32 v28, 0x80000000, v36
	v_and_b32_e32 v33, 3, v33
	v_lshl_add_u32 v3, v3, 23, 0x37800000
	v_cndmask_b32_e32 v2, v2, v33, vcc_lo
	v_lshlrev_b32_e32 v2, 21, v2
	v_or3_b32 v2, v28, v3, v2
.LBB6_9938:                             ;   in Loop: Header=BB6_8809 Depth=2
	s_or_b32 exec_lo, exec_lo, s29
	v_max_f32_e32 v2, v2, v2
	v_max_f32_e32 v3, v25, v25
	s_mov_b32 s12, 0
	v_max_f32_e32 v25, v3, v2
.LBB6_9939:                             ;   in Loop: Header=BB6_8809 Depth=2
	s_and_b32 vcc_lo, exec_lo, s12
	s_cbranch_vccz .LBB6_9953
; %bb.9940:                             ;   in Loop: Header=BB6_8809 Depth=2
	v_cmp_gt_i16_sdwa s29, v22, v43 src0_sel:BYTE_0 src1_sel:DWORD
	s_mov_b32 s12, 0
	s_and_saveexec_b32 s40, s29
	s_xor_b32 s29, exec_lo, s40
	s_cbranch_execz .LBB6_10211
; %bb.9941:                             ;   in Loop: Header=BB6_8809 Depth=2
	v_cmp_eq_u16_sdwa s41, v22, v44 src0_sel:BYTE_0 src1_sel:DWORD
	s_mov_b32 s12, -1
	s_and_saveexec_b32 s40, s41
; %bb.9942:                             ;   in Loop: Header=BB6_8809 Depth=2
	s_xor_b32 s12, exec_lo, -1
; %bb.9943:                             ;   in Loop: Header=BB6_8809 Depth=2
	s_or_b32 exec_lo, exec_lo, s40
	s_and_b32 s12, s12, exec_lo
	s_or_saveexec_b32 s29, s29
	v_mov_b32_e32 v25, 0x7f800001
	s_xor_b32 exec_lo, exec_lo, s29
	s_cbranch_execnz .LBB6_10212
.LBB6_9944:                             ;   in Loop: Header=BB6_8809 Depth=2
	s_or_b32 exec_lo, exec_lo, s29
	s_and_saveexec_b32 s29, s12
	s_cbranch_execz .LBB6_9946
.LBB6_9945:                             ;   in Loop: Header=BB6_8809 Depth=2
	v_and_b32_e32 v2, 3, v22
	v_lshrrev_b16 v25, 2, v22
	v_ffbh_u32_e32 v3, v2
	v_and_b32_e32 v25, 31, v25
	v_min_u32_e32 v3, 32, v3
	v_cmp_eq_u32_e32 vcc_lo, 0, v25
	v_subrev_nc_u32_e32 v28, 29, v3
	v_sub_nc_u32_e32 v3, 30, v3
	v_lshlrev_b32_e32 v28, v28, v22
	v_lshlrev_b32_e32 v22, 24, v22
	v_cndmask_b32_e32 v3, v25, v3, vcc_lo
	v_and_b32_e32 v28, 3, v28
	v_and_b32_e32 v22, 0x80000000, v22
	v_lshl_add_u32 v3, v3, 23, 0x37800000
	v_cndmask_b32_e32 v2, v2, v28, vcc_lo
	v_lshlrev_b32_e32 v2, 21, v2
	v_or3_b32 v25, v22, v3, v2
.LBB6_9946:                             ;   in Loop: Header=BB6_8809 Depth=2
	s_or_b32 exec_lo, exec_lo, s29
	s_waitcnt vmcnt(0) lgkmcnt(0)
	v_cmp_gt_i16_sdwa s29, v21, v43 src0_sel:BYTE_0 src1_sel:DWORD
	s_mov_b32 s12, 0
	s_and_saveexec_b32 s40, s29
	s_xor_b32 s29, exec_lo, s40
	s_cbranch_execz .LBB6_10213
; %bb.9947:                             ;   in Loop: Header=BB6_8809 Depth=2
	v_cmp_eq_u16_sdwa s41, v21, v44 src0_sel:BYTE_0 src1_sel:DWORD
	s_mov_b32 s12, -1
	s_and_saveexec_b32 s40, s41
; %bb.9948:                             ;   in Loop: Header=BB6_8809 Depth=2
	s_xor_b32 s12, exec_lo, -1
; %bb.9949:                             ;   in Loop: Header=BB6_8809 Depth=2
	s_or_b32 exec_lo, exec_lo, s40
	s_and_b32 s12, s12, exec_lo
	s_or_saveexec_b32 s29, s29
	v_mov_b32_e32 v2, 0x7f800001
	s_xor_b32 exec_lo, exec_lo, s29
	s_cbranch_execnz .LBB6_10214
.LBB6_9950:                             ;   in Loop: Header=BB6_8809 Depth=2
	s_or_b32 exec_lo, exec_lo, s29
	s_and_saveexec_b32 s29, s12
	s_cbranch_execz .LBB6_9952
.LBB6_9951:                             ;   in Loop: Header=BB6_8809 Depth=2
	v_and_b32_e32 v2, 3, v21
	v_lshrrev_b16 v22, 2, v21
	v_ffbh_u32_e32 v3, v2
	v_and_b32_e32 v22, 31, v22
	v_min_u32_e32 v3, 32, v3
	v_cmp_eq_u32_e32 vcc_lo, 0, v22
	v_subrev_nc_u32_e32 v28, 29, v3
	v_sub_nc_u32_e32 v3, 30, v3
	v_lshlrev_b32_e32 v28, v28, v21
	v_lshlrev_b32_e32 v21, 24, v21
	v_cndmask_b32_e32 v3, v22, v3, vcc_lo
	v_and_b32_e32 v28, 3, v28
	v_and_b32_e32 v21, 0x80000000, v21
	v_lshl_add_u32 v3, v3, 23, 0x37800000
	v_cndmask_b32_e32 v2, v2, v28, vcc_lo
	v_lshlrev_b32_e32 v2, 21, v2
	v_or3_b32 v2, v21, v3, v2
.LBB6_9952:                             ;   in Loop: Header=BB6_8809 Depth=2
	s_or_b32 exec_lo, exec_lo, s29
	v_max_f32_e32 v2, v2, v2
	v_max_f32_e32 v3, v25, v25
	v_min_f32_e32 v25, v3, v2
.LBB6_9953:                             ;   in Loop: Header=BB6_8809 Depth=2
	v_and_b32_e32 v2, 0x7f800000, v25
	s_waitcnt vmcnt(0) lgkmcnt(0)
	v_mov_b32_e32 v21, 0x80
	s_mov_b32 s29, exec_lo
	v_cmpx_ne_u32_e32 0x7f800000, v2
	s_cbranch_execz .LBB6_8808
; %bb.9954:                             ;   in Loop: Header=BB6_8809 Depth=2
	v_mov_b32_e32 v21, 0
	s_mov_b32 s40, exec_lo
	v_cmpx_ne_u32_e32 0, v25
	s_cbranch_execz .LBB6_8807
; %bb.9955:                             ;   in Loop: Header=BB6_8809 Depth=2
	v_bfe_u32 v2, v25, 23, 8
	v_and_b32_e32 v3, 0x7fffff, v25
	v_sub_nc_u32_e32 v21, 0x70, v2
	v_cmp_gt_u32_e32 vcc_lo, 0x71, v2
	v_or_b32_e32 v22, 0x800000, v3
	v_cndmask_b32_e32 v21, 0, v21, vcc_lo
	v_cmp_eq_u32_e32 vcc_lo, 0, v2
	v_add_nc_u32_e32 v2, 0xffffff91, v2
	v_cndmask_b32_e64 v21, v21, 0x6f, vcc_lo
	v_cndmask_b32_e32 v3, v22, v3, vcc_lo
	v_cndmask_b32_e64 v2, v2, 0xffffff92, vcc_lo
	v_lshl_add_u32 v22, 0x200000, v21, -1
	v_lshrrev_b32_e32 v28, v21, v3
	v_lshlrev_b32_e64 v36, v21, 0x100000
	v_and_b32_e32 v3, v22, v3
	v_bfe_u32 v33, v28, 21, 1
	v_cmp_eq_u32_e64 s12, v3, v36
	v_add_nc_u32_e32 v22, -1, v33
	v_lshrrev_b32_e32 v33, 23, v28
	v_cndmask_b32_e64 v3, 0, v22, s12
	s_mov_b32 s12, exec_lo
	v_add_nc_u32_e32 v22, v3, v28
	v_add_nc_u32_e32 v3, v21, v2
                                        ; implicit-def: $vgpr21
	v_and_b32_e32 v2, 0x1fffff, v22
	v_xor_b32_e32 v22, 1, v33
	v_add_nc_u32_e32 v2, v2, v28
	v_cmpx_ne_u32_e64 v3, v22
	s_xor_b32 s12, exec_lo, s12
; %bb.9956:                             ;   in Loop: Header=BB6_8809 Depth=2
	v_cmp_lt_u32_e32 vcc_lo, 0xffffff, v2
	v_sub_nc_u32_e32 v3, v3, v22
	v_cndmask_b32_e64 v22, 0, 1, vcc_lo
	v_add_co_ci_u32_e64 v21, null, 0, v3, vcc_lo
	v_lshrrev_b32_e32 v2, v22, v2
; %bb.9957:                             ;   in Loop: Header=BB6_8809 Depth=2
	s_andn2_saveexec_b32 s12, s12
	s_cbranch_execz .LBB6_8806
; %bb.9958:                             ;   in Loop: Header=BB6_8809 Depth=2
	v_bfe_u32 v21, v2, 23, 1
	s_branch .LBB6_8806
.LBB6_9959:                             ;   in Loop: Header=BB6_8809 Depth=2
	s_or_saveexec_b32 s12, s12
	v_mov_b32_e32 v123, 0x7f800001
	s_xor_b32 exec_lo, exec_lo, s12
	s_cbranch_execz .LBB6_8814
.LBB6_9960:                             ;   in Loop: Header=BB6_8809 Depth=2
	v_cmp_ne_u16_sdwa s40, v122, v30 src0_sel:BYTE_0 src1_sel:DWORD
	v_mov_b32_e32 v123, 0
	s_andn2_b32 s29, s29, exec_lo
	s_and_b32 s40, s40, exec_lo
	s_or_b32 s29, s29, s40
	s_or_b32 exec_lo, exec_lo, s12
	s_and_saveexec_b32 s12, s29
	s_cbranch_execnz .LBB6_8815
	s_branch .LBB6_8816
.LBB6_9961:                             ;   in Loop: Header=BB6_8809 Depth=2
	s_or_saveexec_b32 s12, s12
	v_mov_b32_e32 v2, 0x7f800001
	s_xor_b32 exec_lo, exec_lo, s12
	s_cbranch_execz .LBB6_8820
.LBB6_9962:                             ;   in Loop: Header=BB6_8809 Depth=2
	v_cmp_ne_u16_sdwa s40, v23, v30 src0_sel:BYTE_0 src1_sel:DWORD
	v_mov_b32_e32 v2, 0
	s_andn2_b32 s29, s29, exec_lo
	s_and_b32 s40, s40, exec_lo
	s_or_b32 s29, s29, s40
	s_or_b32 exec_lo, exec_lo, s12
	s_and_saveexec_b32 s12, s29
	s_cbranch_execnz .LBB6_8821
	s_branch .LBB6_8822
.LBB6_9963:                             ;   in Loop: Header=BB6_8809 Depth=2
	s_or_saveexec_b32 s29, s29
	v_mov_b32_e32 v123, 0x7f800001
	s_xor_b32 exec_lo, exec_lo, s29
	s_cbranch_execz .LBB6_8828
.LBB6_9964:                             ;   in Loop: Header=BB6_8809 Depth=2
	v_cmp_ne_u16_sdwa s40, v122, v30 src0_sel:BYTE_0 src1_sel:DWORD
	v_mov_b32_e32 v123, 0
	s_andn2_b32 s12, s12, exec_lo
	s_and_b32 s40, s40, exec_lo
	s_or_b32 s12, s12, s40
	s_or_b32 exec_lo, exec_lo, s29
	s_and_saveexec_b32 s29, s12
	s_cbranch_execnz .LBB6_8829
	s_branch .LBB6_8830
.LBB6_9965:                             ;   in Loop: Header=BB6_8809 Depth=2
	s_or_saveexec_b32 s29, s29
	v_mov_b32_e32 v2, 0x7f800001
	s_xor_b32 exec_lo, exec_lo, s29
	s_cbranch_execz .LBB6_8834
.LBB6_9966:                             ;   in Loop: Header=BB6_8809 Depth=2
	v_cmp_ne_u16_sdwa s40, v23, v30 src0_sel:BYTE_0 src1_sel:DWORD
	v_mov_b32_e32 v2, 0
	s_andn2_b32 s12, s12, exec_lo
	s_and_b32 s40, s40, exec_lo
	s_or_b32 s12, s12, s40
	s_or_b32 exec_lo, exec_lo, s29
	s_and_saveexec_b32 s29, s12
	s_cbranch_execnz .LBB6_8835
	s_branch .LBB6_8836
.LBB6_9967:                             ;   in Loop: Header=BB6_8809 Depth=2
	s_or_saveexec_b32 s29, s29
	v_mov_b32_e32 v122, 0x7f800001
	s_xor_b32 exec_lo, exec_lo, s29
	s_cbranch_execz .LBB6_8850
.LBB6_9968:                             ;   in Loop: Header=BB6_8809 Depth=2
	v_cmp_ne_u16_sdwa s40, v121, v30 src0_sel:BYTE_0 src1_sel:DWORD
	v_mov_b32_e32 v122, 0
	s_andn2_b32 s12, s12, exec_lo
	s_and_b32 s40, s40, exec_lo
	s_or_b32 s12, s12, s40
	s_or_b32 exec_lo, exec_lo, s29
	s_and_saveexec_b32 s29, s12
	s_cbranch_execnz .LBB6_8851
	s_branch .LBB6_8852
.LBB6_9969:                             ;   in Loop: Header=BB6_8809 Depth=2
	s_or_saveexec_b32 s29, s29
	v_mov_b32_e32 v2, 0x7f800001
	s_xor_b32 exec_lo, exec_lo, s29
	s_cbranch_execz .LBB6_8856
.LBB6_9970:                             ;   in Loop: Header=BB6_8809 Depth=2
	v_cmp_ne_u16_sdwa s40, v26, v30 src0_sel:BYTE_0 src1_sel:DWORD
	v_mov_b32_e32 v2, 0
	s_andn2_b32 s12, s12, exec_lo
	s_and_b32 s40, s40, exec_lo
	s_or_b32 s12, s12, s40
	s_or_b32 exec_lo, exec_lo, s29
	s_and_saveexec_b32 s29, s12
	s_cbranch_execnz .LBB6_8857
	s_branch .LBB6_8858
.LBB6_9971:                             ;   in Loop: Header=BB6_8809 Depth=2
	s_or_saveexec_b32 s29, s29
	v_mov_b32_e32 v122, 0x7f800001
	s_xor_b32 exec_lo, exec_lo, s29
	s_cbranch_execz .LBB6_8864
.LBB6_9972:                             ;   in Loop: Header=BB6_8809 Depth=2
	v_cmp_ne_u16_sdwa s40, v121, v30 src0_sel:BYTE_0 src1_sel:DWORD
	v_mov_b32_e32 v122, 0
	s_andn2_b32 s12, s12, exec_lo
	s_and_b32 s40, s40, exec_lo
	s_or_b32 s12, s12, s40
	s_or_b32 exec_lo, exec_lo, s29
	s_and_saveexec_b32 s29, s12
	s_cbranch_execnz .LBB6_8865
	s_branch .LBB6_8866
.LBB6_9973:                             ;   in Loop: Header=BB6_8809 Depth=2
	s_or_saveexec_b32 s29, s29
	v_mov_b32_e32 v2, 0x7f800001
	s_xor_b32 exec_lo, exec_lo, s29
	s_cbranch_execz .LBB6_8870
.LBB6_9974:                             ;   in Loop: Header=BB6_8809 Depth=2
	v_cmp_ne_u16_sdwa s40, v26, v30 src0_sel:BYTE_0 src1_sel:DWORD
	v_mov_b32_e32 v2, 0
	s_andn2_b32 s12, s12, exec_lo
	s_and_b32 s40, s40, exec_lo
	s_or_b32 s12, s12, s40
	s_or_b32 exec_lo, exec_lo, s29
	s_and_saveexec_b32 s29, s12
	s_cbranch_execnz .LBB6_8871
	s_branch .LBB6_8872
.LBB6_9975:                             ;   in Loop: Header=BB6_8809 Depth=2
	s_or_saveexec_b32 s29, s29
	v_mov_b32_e32 v121, 0x7f800001
	s_xor_b32 exec_lo, exec_lo, s29
	s_cbranch_execz .LBB6_8886
.LBB6_9976:                             ;   in Loop: Header=BB6_8809 Depth=2
	v_cmp_ne_u16_sdwa s40, v120, v30 src0_sel:BYTE_0 src1_sel:DWORD
	v_mov_b32_e32 v121, 0
	s_andn2_b32 s12, s12, exec_lo
	s_and_b32 s40, s40, exec_lo
	s_or_b32 s12, s12, s40
	s_or_b32 exec_lo, exec_lo, s29
	s_and_saveexec_b32 s29, s12
	s_cbranch_execnz .LBB6_8887
	s_branch .LBB6_8888
.LBB6_9977:                             ;   in Loop: Header=BB6_8809 Depth=2
	s_or_saveexec_b32 s29, s29
	v_mov_b32_e32 v2, 0x7f800001
	s_xor_b32 exec_lo, exec_lo, s29
	s_cbranch_execz .LBB6_8892
.LBB6_9978:                             ;   in Loop: Header=BB6_8809 Depth=2
	v_cmp_ne_u16_sdwa s40, v32, v30 src0_sel:BYTE_0 src1_sel:DWORD
	v_mov_b32_e32 v2, 0
	s_andn2_b32 s12, s12, exec_lo
	s_and_b32 s40, s40, exec_lo
	s_or_b32 s12, s12, s40
	s_or_b32 exec_lo, exec_lo, s29
	s_and_saveexec_b32 s29, s12
	s_cbranch_execnz .LBB6_8893
	s_branch .LBB6_8894
.LBB6_9979:                             ;   in Loop: Header=BB6_8809 Depth=2
	s_or_saveexec_b32 s29, s29
	v_mov_b32_e32 v121, 0x7f800001
	s_xor_b32 exec_lo, exec_lo, s29
	s_cbranch_execz .LBB6_8900
.LBB6_9980:                             ;   in Loop: Header=BB6_8809 Depth=2
	v_cmp_ne_u16_sdwa s40, v120, v30 src0_sel:BYTE_0 src1_sel:DWORD
	v_mov_b32_e32 v121, 0
	s_andn2_b32 s12, s12, exec_lo
	s_and_b32 s40, s40, exec_lo
	s_or_b32 s12, s12, s40
	s_or_b32 exec_lo, exec_lo, s29
	s_and_saveexec_b32 s29, s12
	s_cbranch_execnz .LBB6_8901
	s_branch .LBB6_8902
.LBB6_9981:                             ;   in Loop: Header=BB6_8809 Depth=2
	s_or_saveexec_b32 s29, s29
	v_mov_b32_e32 v2, 0x7f800001
	s_xor_b32 exec_lo, exec_lo, s29
	s_cbranch_execz .LBB6_8906
.LBB6_9982:                             ;   in Loop: Header=BB6_8809 Depth=2
	v_cmp_ne_u16_sdwa s40, v32, v30 src0_sel:BYTE_0 src1_sel:DWORD
	v_mov_b32_e32 v2, 0
	s_andn2_b32 s12, s12, exec_lo
	s_and_b32 s40, s40, exec_lo
	s_or_b32 s12, s12, s40
	s_or_b32 exec_lo, exec_lo, s29
	s_and_saveexec_b32 s29, s12
	s_cbranch_execnz .LBB6_8907
	s_branch .LBB6_8908
.LBB6_9983:                             ;   in Loop: Header=BB6_8809 Depth=2
	s_or_saveexec_b32 s29, s29
	v_mov_b32_e32 v120, 0x7f800001
	s_xor_b32 exec_lo, exec_lo, s29
	s_cbranch_execz .LBB6_8922
.LBB6_9984:                             ;   in Loop: Header=BB6_8809 Depth=2
	v_cmp_ne_u16_sdwa s40, v111, v30 src0_sel:BYTE_0 src1_sel:DWORD
	v_mov_b32_e32 v120, 0
	s_andn2_b32 s12, s12, exec_lo
	s_and_b32 s40, s40, exec_lo
	s_or_b32 s12, s12, s40
	s_or_b32 exec_lo, exec_lo, s29
	s_and_saveexec_b32 s29, s12
	s_cbranch_execnz .LBB6_8923
	s_branch .LBB6_8924
.LBB6_9985:                             ;   in Loop: Header=BB6_8809 Depth=2
	s_or_saveexec_b32 s29, s29
	v_mov_b32_e32 v2, 0x7f800001
	s_xor_b32 exec_lo, exec_lo, s29
	s_cbranch_execz .LBB6_8928
.LBB6_9986:                             ;   in Loop: Header=BB6_8809 Depth=2
	v_cmp_ne_u16_sdwa s40, v35, v30 src0_sel:BYTE_0 src1_sel:DWORD
	v_mov_b32_e32 v2, 0
	s_andn2_b32 s12, s12, exec_lo
	s_and_b32 s40, s40, exec_lo
	s_or_b32 s12, s12, s40
	s_or_b32 exec_lo, exec_lo, s29
	s_and_saveexec_b32 s29, s12
	s_cbranch_execnz .LBB6_8929
	s_branch .LBB6_8930
.LBB6_9987:                             ;   in Loop: Header=BB6_8809 Depth=2
	s_or_saveexec_b32 s29, s29
	v_mov_b32_e32 v120, 0x7f800001
	s_xor_b32 exec_lo, exec_lo, s29
	s_cbranch_execz .LBB6_8936
.LBB6_9988:                             ;   in Loop: Header=BB6_8809 Depth=2
	v_cmp_ne_u16_sdwa s40, v111, v30 src0_sel:BYTE_0 src1_sel:DWORD
	v_mov_b32_e32 v120, 0
	s_andn2_b32 s12, s12, exec_lo
	s_and_b32 s40, s40, exec_lo
	s_or_b32 s12, s12, s40
	s_or_b32 exec_lo, exec_lo, s29
	s_and_saveexec_b32 s29, s12
	s_cbranch_execnz .LBB6_8937
	s_branch .LBB6_8938
.LBB6_9989:                             ;   in Loop: Header=BB6_8809 Depth=2
	s_or_saveexec_b32 s29, s29
	v_mov_b32_e32 v2, 0x7f800001
	s_xor_b32 exec_lo, exec_lo, s29
	s_cbranch_execz .LBB6_8942
.LBB6_9990:                             ;   in Loop: Header=BB6_8809 Depth=2
	v_cmp_ne_u16_sdwa s40, v35, v30 src0_sel:BYTE_0 src1_sel:DWORD
	v_mov_b32_e32 v2, 0
	s_andn2_b32 s12, s12, exec_lo
	s_and_b32 s40, s40, exec_lo
	s_or_b32 s12, s12, s40
	s_or_b32 exec_lo, exec_lo, s29
	s_and_saveexec_b32 s29, s12
	s_cbranch_execnz .LBB6_8943
	s_branch .LBB6_8944
.LBB6_9991:                             ;   in Loop: Header=BB6_8809 Depth=2
	s_or_saveexec_b32 s29, s29
	v_mov_b32_e32 v111, 0x7f800001
	s_xor_b32 exec_lo, exec_lo, s29
	s_cbranch_execz .LBB6_8958
.LBB6_9992:                             ;   in Loop: Header=BB6_8809 Depth=2
	v_cmp_ne_u16_sdwa s40, v110, v30 src0_sel:BYTE_0 src1_sel:DWORD
	v_mov_b32_e32 v111, 0
	s_andn2_b32 s12, s12, exec_lo
	s_and_b32 s40, s40, exec_lo
	s_or_b32 s12, s12, s40
	s_or_b32 exec_lo, exec_lo, s29
	s_and_saveexec_b32 s29, s12
	s_cbranch_execnz .LBB6_8959
	s_branch .LBB6_8960
.LBB6_9993:                             ;   in Loop: Header=BB6_8809 Depth=2
	s_or_saveexec_b32 s29, s29
	v_mov_b32_e32 v2, 0x7f800001
	s_xor_b32 exec_lo, exec_lo, s29
	s_cbranch_execz .LBB6_8964
.LBB6_9994:                             ;   in Loop: Header=BB6_8809 Depth=2
	v_cmp_ne_u16_sdwa s40, v38, v30 src0_sel:BYTE_0 src1_sel:DWORD
	v_mov_b32_e32 v2, 0
	s_andn2_b32 s12, s12, exec_lo
	s_and_b32 s40, s40, exec_lo
	s_or_b32 s12, s12, s40
	s_or_b32 exec_lo, exec_lo, s29
	s_and_saveexec_b32 s29, s12
	s_cbranch_execnz .LBB6_8965
	s_branch .LBB6_8966
.LBB6_9995:                             ;   in Loop: Header=BB6_8809 Depth=2
	s_or_saveexec_b32 s29, s29
	v_mov_b32_e32 v111, 0x7f800001
	s_xor_b32 exec_lo, exec_lo, s29
	s_cbranch_execz .LBB6_8972
.LBB6_9996:                             ;   in Loop: Header=BB6_8809 Depth=2
	v_cmp_ne_u16_sdwa s40, v110, v30 src0_sel:BYTE_0 src1_sel:DWORD
	v_mov_b32_e32 v111, 0
	s_andn2_b32 s12, s12, exec_lo
	s_and_b32 s40, s40, exec_lo
	s_or_b32 s12, s12, s40
	s_or_b32 exec_lo, exec_lo, s29
	s_and_saveexec_b32 s29, s12
	s_cbranch_execnz .LBB6_8973
	s_branch .LBB6_8974
.LBB6_9997:                             ;   in Loop: Header=BB6_8809 Depth=2
	s_or_saveexec_b32 s29, s29
	v_mov_b32_e32 v2, 0x7f800001
	s_xor_b32 exec_lo, exec_lo, s29
	s_cbranch_execz .LBB6_8978
.LBB6_9998:                             ;   in Loop: Header=BB6_8809 Depth=2
	v_cmp_ne_u16_sdwa s40, v38, v30 src0_sel:BYTE_0 src1_sel:DWORD
	v_mov_b32_e32 v2, 0
	s_andn2_b32 s12, s12, exec_lo
	s_and_b32 s40, s40, exec_lo
	s_or_b32 s12, s12, s40
	s_or_b32 exec_lo, exec_lo, s29
	s_and_saveexec_b32 s29, s12
	s_cbranch_execnz .LBB6_8979
	s_branch .LBB6_8980
.LBB6_9999:                             ;   in Loop: Header=BB6_8809 Depth=2
	s_or_saveexec_b32 s29, s29
	v_mov_b32_e32 v110, 0x7f800001
	s_xor_b32 exec_lo, exec_lo, s29
	s_cbranch_execz .LBB6_8994
.LBB6_10000:                            ;   in Loop: Header=BB6_8809 Depth=2
	v_cmp_ne_u16_sdwa s40, v109, v30 src0_sel:BYTE_0 src1_sel:DWORD
	v_mov_b32_e32 v110, 0
	s_andn2_b32 s12, s12, exec_lo
	s_and_b32 s40, s40, exec_lo
	s_or_b32 s12, s12, s40
	s_or_b32 exec_lo, exec_lo, s29
	s_and_saveexec_b32 s29, s12
	s_cbranch_execnz .LBB6_8995
	s_branch .LBB6_8996
.LBB6_10001:                            ;   in Loop: Header=BB6_8809 Depth=2
	s_or_saveexec_b32 s29, s29
	v_mov_b32_e32 v2, 0x7f800001
	s_xor_b32 exec_lo, exec_lo, s29
	s_cbranch_execz .LBB6_9000
.LBB6_10002:                            ;   in Loop: Header=BB6_8809 Depth=2
	v_cmp_ne_u16_sdwa s40, v49, v30 src0_sel:BYTE_0 src1_sel:DWORD
	v_mov_b32_e32 v2, 0
	s_andn2_b32 s12, s12, exec_lo
	s_and_b32 s40, s40, exec_lo
	s_or_b32 s12, s12, s40
	s_or_b32 exec_lo, exec_lo, s29
	s_and_saveexec_b32 s29, s12
	s_cbranch_execnz .LBB6_9001
	s_branch .LBB6_9002
.LBB6_10003:                            ;   in Loop: Header=BB6_8809 Depth=2
	s_or_saveexec_b32 s29, s29
	v_mov_b32_e32 v110, 0x7f800001
	s_xor_b32 exec_lo, exec_lo, s29
	s_cbranch_execz .LBB6_9008
.LBB6_10004:                            ;   in Loop: Header=BB6_8809 Depth=2
	v_cmp_ne_u16_sdwa s40, v109, v30 src0_sel:BYTE_0 src1_sel:DWORD
	v_mov_b32_e32 v110, 0
	s_andn2_b32 s12, s12, exec_lo
	s_and_b32 s40, s40, exec_lo
	s_or_b32 s12, s12, s40
	s_or_b32 exec_lo, exec_lo, s29
	s_and_saveexec_b32 s29, s12
	s_cbranch_execnz .LBB6_9009
	s_branch .LBB6_9010
.LBB6_10005:                            ;   in Loop: Header=BB6_8809 Depth=2
	s_or_saveexec_b32 s29, s29
	v_mov_b32_e32 v2, 0x7f800001
	s_xor_b32 exec_lo, exec_lo, s29
	s_cbranch_execz .LBB6_9014
.LBB6_10006:                            ;   in Loop: Header=BB6_8809 Depth=2
	v_cmp_ne_u16_sdwa s40, v49, v30 src0_sel:BYTE_0 src1_sel:DWORD
	v_mov_b32_e32 v2, 0
	s_andn2_b32 s12, s12, exec_lo
	s_and_b32 s40, s40, exec_lo
	s_or_b32 s12, s12, s40
	s_or_b32 exec_lo, exec_lo, s29
	s_and_saveexec_b32 s29, s12
	s_cbranch_execnz .LBB6_9015
	s_branch .LBB6_9016
.LBB6_10007:                            ;   in Loop: Header=BB6_8809 Depth=2
	s_or_saveexec_b32 s29, s29
	v_mov_b32_e32 v109, 0x7f800001
	s_xor_b32 exec_lo, exec_lo, s29
	s_cbranch_execz .LBB6_9030
.LBB6_10008:                            ;   in Loop: Header=BB6_8809 Depth=2
	v_cmp_ne_u16_sdwa s40, v108, v30 src0_sel:BYTE_0 src1_sel:DWORD
	v_mov_b32_e32 v109, 0
	s_andn2_b32 s12, s12, exec_lo
	s_and_b32 s40, s40, exec_lo
	s_or_b32 s12, s12, s40
	s_or_b32 exec_lo, exec_lo, s29
	s_and_saveexec_b32 s29, s12
	s_cbranch_execnz .LBB6_9031
	s_branch .LBB6_9032
.LBB6_10009:                            ;   in Loop: Header=BB6_8809 Depth=2
	s_or_saveexec_b32 s29, s29
	v_mov_b32_e32 v2, 0x7f800001
	s_xor_b32 exec_lo, exec_lo, s29
	s_cbranch_execz .LBB6_9036
.LBB6_10010:                            ;   in Loop: Header=BB6_8809 Depth=2
	v_cmp_ne_u16_sdwa s40, v51, v30 src0_sel:BYTE_0 src1_sel:DWORD
	v_mov_b32_e32 v2, 0
	s_andn2_b32 s12, s12, exec_lo
	s_and_b32 s40, s40, exec_lo
	s_or_b32 s12, s12, s40
	s_or_b32 exec_lo, exec_lo, s29
	s_and_saveexec_b32 s29, s12
	s_cbranch_execnz .LBB6_9037
	s_branch .LBB6_9038
.LBB6_10011:                            ;   in Loop: Header=BB6_8809 Depth=2
	s_or_saveexec_b32 s29, s29
	v_mov_b32_e32 v109, 0x7f800001
	s_xor_b32 exec_lo, exec_lo, s29
	s_cbranch_execz .LBB6_9044
.LBB6_10012:                            ;   in Loop: Header=BB6_8809 Depth=2
	v_cmp_ne_u16_sdwa s40, v108, v30 src0_sel:BYTE_0 src1_sel:DWORD
	v_mov_b32_e32 v109, 0
	s_andn2_b32 s12, s12, exec_lo
	s_and_b32 s40, s40, exec_lo
	s_or_b32 s12, s12, s40
	s_or_b32 exec_lo, exec_lo, s29
	s_and_saveexec_b32 s29, s12
	s_cbranch_execnz .LBB6_9045
	s_branch .LBB6_9046
.LBB6_10013:                            ;   in Loop: Header=BB6_8809 Depth=2
	s_or_saveexec_b32 s29, s29
	v_mov_b32_e32 v2, 0x7f800001
	s_xor_b32 exec_lo, exec_lo, s29
	s_cbranch_execz .LBB6_9050
.LBB6_10014:                            ;   in Loop: Header=BB6_8809 Depth=2
	v_cmp_ne_u16_sdwa s40, v51, v30 src0_sel:BYTE_0 src1_sel:DWORD
	v_mov_b32_e32 v2, 0
	s_andn2_b32 s12, s12, exec_lo
	s_and_b32 s40, s40, exec_lo
	s_or_b32 s12, s12, s40
	s_or_b32 exec_lo, exec_lo, s29
	s_and_saveexec_b32 s29, s12
	s_cbranch_execnz .LBB6_9051
	s_branch .LBB6_9052
.LBB6_10015:                            ;   in Loop: Header=BB6_8809 Depth=2
	s_or_saveexec_b32 s29, s29
	v_mov_b32_e32 v108, 0x7f800001
	s_xor_b32 exec_lo, exec_lo, s29
	s_cbranch_execz .LBB6_9066
.LBB6_10016:                            ;   in Loop: Header=BB6_8809 Depth=2
	v_cmp_ne_u16_sdwa s40, v107, v30 src0_sel:BYTE_0 src1_sel:DWORD
	v_mov_b32_e32 v108, 0
	s_andn2_b32 s12, s12, exec_lo
	s_and_b32 s40, s40, exec_lo
	s_or_b32 s12, s12, s40
	s_or_b32 exec_lo, exec_lo, s29
	s_and_saveexec_b32 s29, s12
	s_cbranch_execnz .LBB6_9067
	s_branch .LBB6_9068
.LBB6_10017:                            ;   in Loop: Header=BB6_8809 Depth=2
	s_or_saveexec_b32 s29, s29
	v_mov_b32_e32 v2, 0x7f800001
	s_xor_b32 exec_lo, exec_lo, s29
	s_cbranch_execz .LBB6_9072
.LBB6_10018:                            ;   in Loop: Header=BB6_8809 Depth=2
	v_cmp_ne_u16_sdwa s40, v96, v30 src0_sel:BYTE_0 src1_sel:DWORD
	v_mov_b32_e32 v2, 0
	s_andn2_b32 s12, s12, exec_lo
	s_and_b32 s40, s40, exec_lo
	s_or_b32 s12, s12, s40
	s_or_b32 exec_lo, exec_lo, s29
	s_and_saveexec_b32 s29, s12
	s_cbranch_execnz .LBB6_9073
	s_branch .LBB6_9074
.LBB6_10019:                            ;   in Loop: Header=BB6_8809 Depth=2
	s_or_saveexec_b32 s29, s29
	v_mov_b32_e32 v108, 0x7f800001
	s_xor_b32 exec_lo, exec_lo, s29
	s_cbranch_execz .LBB6_9080
.LBB6_10020:                            ;   in Loop: Header=BB6_8809 Depth=2
	v_cmp_ne_u16_sdwa s40, v107, v30 src0_sel:BYTE_0 src1_sel:DWORD
	v_mov_b32_e32 v108, 0
	s_andn2_b32 s12, s12, exec_lo
	s_and_b32 s40, s40, exec_lo
	s_or_b32 s12, s12, s40
	s_or_b32 exec_lo, exec_lo, s29
	s_and_saveexec_b32 s29, s12
	s_cbranch_execnz .LBB6_9081
	s_branch .LBB6_9082
.LBB6_10021:                            ;   in Loop: Header=BB6_8809 Depth=2
	s_or_saveexec_b32 s29, s29
	v_mov_b32_e32 v2, 0x7f800001
	s_xor_b32 exec_lo, exec_lo, s29
	s_cbranch_execz .LBB6_9086
.LBB6_10022:                            ;   in Loop: Header=BB6_8809 Depth=2
	v_cmp_ne_u16_sdwa s40, v96, v30 src0_sel:BYTE_0 src1_sel:DWORD
	v_mov_b32_e32 v2, 0
	s_andn2_b32 s12, s12, exec_lo
	s_and_b32 s40, s40, exec_lo
	s_or_b32 s12, s12, s40
	s_or_b32 exec_lo, exec_lo, s29
	s_and_saveexec_b32 s29, s12
	s_cbranch_execnz .LBB6_9087
	s_branch .LBB6_9088
.LBB6_10023:                            ;   in Loop: Header=BB6_8809 Depth=2
	s_or_saveexec_b32 s29, s29
	v_mov_b32_e32 v107, 0x7f800001
	s_xor_b32 exec_lo, exec_lo, s29
	s_cbranch_execz .LBB6_9102
.LBB6_10024:                            ;   in Loop: Header=BB6_8809 Depth=2
	v_cmp_ne_u16_sdwa s40, v106, v30 src0_sel:BYTE_0 src1_sel:DWORD
	v_mov_b32_e32 v107, 0
	s_andn2_b32 s12, s12, exec_lo
	s_and_b32 s40, s40, exec_lo
	s_or_b32 s12, s12, s40
	s_or_b32 exec_lo, exec_lo, s29
	s_and_saveexec_b32 s29, s12
	s_cbranch_execnz .LBB6_9103
	s_branch .LBB6_9104
.LBB6_10025:                            ;   in Loop: Header=BB6_8809 Depth=2
	s_or_saveexec_b32 s29, s29
	v_mov_b32_e32 v2, 0x7f800001
	s_xor_b32 exec_lo, exec_lo, s29
	s_cbranch_execz .LBB6_9108
.LBB6_10026:                            ;   in Loop: Header=BB6_8809 Depth=2
	v_cmp_ne_u16_sdwa s40, v99, v30 src0_sel:BYTE_0 src1_sel:DWORD
	v_mov_b32_e32 v2, 0
	s_andn2_b32 s12, s12, exec_lo
	s_and_b32 s40, s40, exec_lo
	s_or_b32 s12, s12, s40
	s_or_b32 exec_lo, exec_lo, s29
	s_and_saveexec_b32 s29, s12
	s_cbranch_execnz .LBB6_9109
	s_branch .LBB6_9110
.LBB6_10027:                            ;   in Loop: Header=BB6_8809 Depth=2
	s_or_saveexec_b32 s29, s29
	v_mov_b32_e32 v107, 0x7f800001
	s_xor_b32 exec_lo, exec_lo, s29
	s_cbranch_execz .LBB6_9116
.LBB6_10028:                            ;   in Loop: Header=BB6_8809 Depth=2
	v_cmp_ne_u16_sdwa s40, v106, v30 src0_sel:BYTE_0 src1_sel:DWORD
	v_mov_b32_e32 v107, 0
	s_andn2_b32 s12, s12, exec_lo
	s_and_b32 s40, s40, exec_lo
	s_or_b32 s12, s12, s40
	s_or_b32 exec_lo, exec_lo, s29
	s_and_saveexec_b32 s29, s12
	s_cbranch_execnz .LBB6_9117
	s_branch .LBB6_9118
.LBB6_10029:                            ;   in Loop: Header=BB6_8809 Depth=2
	s_or_saveexec_b32 s29, s29
	v_mov_b32_e32 v2, 0x7f800001
	s_xor_b32 exec_lo, exec_lo, s29
	s_cbranch_execz .LBB6_9122
.LBB6_10030:                            ;   in Loop: Header=BB6_8809 Depth=2
	v_cmp_ne_u16_sdwa s40, v99, v30 src0_sel:BYTE_0 src1_sel:DWORD
	v_mov_b32_e32 v2, 0
	s_andn2_b32 s12, s12, exec_lo
	s_and_b32 s40, s40, exec_lo
	s_or_b32 s12, s12, s40
	s_or_b32 exec_lo, exec_lo, s29
	s_and_saveexec_b32 s29, s12
	s_cbranch_execnz .LBB6_9123
	s_branch .LBB6_9124
.LBB6_10031:                            ;   in Loop: Header=BB6_8809 Depth=2
	s_or_saveexec_b32 s29, s29
	v_mov_b32_e32 v106, 0x7f800001
	s_xor_b32 exec_lo, exec_lo, s29
	s_cbranch_execz .LBB6_9138
.LBB6_10032:                            ;   in Loop: Header=BB6_8809 Depth=2
	v_cmp_ne_u16_sdwa s40, v105, v30 src0_sel:BYTE_0 src1_sel:DWORD
	v_mov_b32_e32 v106, 0
	s_andn2_b32 s12, s12, exec_lo
	s_and_b32 s40, s40, exec_lo
	s_or_b32 s12, s12, s40
	s_or_b32 exec_lo, exec_lo, s29
	s_and_saveexec_b32 s29, s12
	s_cbranch_execnz .LBB6_9139
	s_branch .LBB6_9140
.LBB6_10033:                            ;   in Loop: Header=BB6_8809 Depth=2
	s_or_saveexec_b32 s29, s29
	v_mov_b32_e32 v2, 0x7f800001
	s_xor_b32 exec_lo, exec_lo, s29
	s_cbranch_execz .LBB6_9144
.LBB6_10034:                            ;   in Loop: Header=BB6_8809 Depth=2
	v_cmp_ne_u16_sdwa s40, v102, v30 src0_sel:BYTE_0 src1_sel:DWORD
	v_mov_b32_e32 v2, 0
	s_andn2_b32 s12, s12, exec_lo
	s_and_b32 s40, s40, exec_lo
	s_or_b32 s12, s12, s40
	s_or_b32 exec_lo, exec_lo, s29
	s_and_saveexec_b32 s29, s12
	s_cbranch_execnz .LBB6_9145
	s_branch .LBB6_9146
.LBB6_10035:                            ;   in Loop: Header=BB6_8809 Depth=2
	s_or_saveexec_b32 s29, s29
	v_mov_b32_e32 v106, 0x7f800001
	s_xor_b32 exec_lo, exec_lo, s29
	s_cbranch_execz .LBB6_9152
.LBB6_10036:                            ;   in Loop: Header=BB6_8809 Depth=2
	v_cmp_ne_u16_sdwa s40, v105, v30 src0_sel:BYTE_0 src1_sel:DWORD
	v_mov_b32_e32 v106, 0
	s_andn2_b32 s12, s12, exec_lo
	s_and_b32 s40, s40, exec_lo
	s_or_b32 s12, s12, s40
	s_or_b32 exec_lo, exec_lo, s29
	s_and_saveexec_b32 s29, s12
	s_cbranch_execnz .LBB6_9153
	s_branch .LBB6_9154
.LBB6_10037:                            ;   in Loop: Header=BB6_8809 Depth=2
	s_or_saveexec_b32 s29, s29
	v_mov_b32_e32 v2, 0x7f800001
	s_xor_b32 exec_lo, exec_lo, s29
	s_cbranch_execz .LBB6_9158
.LBB6_10038:                            ;   in Loop: Header=BB6_8809 Depth=2
	v_cmp_ne_u16_sdwa s40, v102, v30 src0_sel:BYTE_0 src1_sel:DWORD
	v_mov_b32_e32 v2, 0
	s_andn2_b32 s12, s12, exec_lo
	s_and_b32 s40, s40, exec_lo
	s_or_b32 s12, s12, s40
	s_or_b32 exec_lo, exec_lo, s29
	s_and_saveexec_b32 s29, s12
	s_cbranch_execnz .LBB6_9159
	s_branch .LBB6_9160
.LBB6_10039:                            ;   in Loop: Header=BB6_8809 Depth=2
	s_or_saveexec_b32 s29, s29
	v_mov_b32_e32 v105, 0x7f800001
	s_xor_b32 exec_lo, exec_lo, s29
	s_cbranch_execz .LBB6_9174
.LBB6_10040:                            ;   in Loop: Header=BB6_8809 Depth=2
	v_cmp_ne_u16_sdwa s40, v104, v30 src0_sel:BYTE_0 src1_sel:DWORD
	v_mov_b32_e32 v105, 0
	s_andn2_b32 s12, s12, exec_lo
	s_and_b32 s40, s40, exec_lo
	s_or_b32 s12, s12, s40
	s_or_b32 exec_lo, exec_lo, s29
	s_and_saveexec_b32 s29, s12
	s_cbranch_execnz .LBB6_9175
	s_branch .LBB6_9176
.LBB6_10041:                            ;   in Loop: Header=BB6_8809 Depth=2
	s_or_saveexec_b32 s29, s29
	v_mov_b32_e32 v2, 0x7f800001
	s_xor_b32 exec_lo, exec_lo, s29
	s_cbranch_execz .LBB6_9180
.LBB6_10042:                            ;   in Loop: Header=BB6_8809 Depth=2
	v_cmp_ne_u16_sdwa s40, v59, v30 src0_sel:BYTE_0 src1_sel:DWORD
	v_mov_b32_e32 v2, 0
	s_andn2_b32 s12, s12, exec_lo
	s_and_b32 s40, s40, exec_lo
	s_or_b32 s12, s12, s40
	s_or_b32 exec_lo, exec_lo, s29
	s_and_saveexec_b32 s29, s12
	s_cbranch_execnz .LBB6_9181
	s_branch .LBB6_9182
.LBB6_10043:                            ;   in Loop: Header=BB6_8809 Depth=2
	s_or_saveexec_b32 s29, s29
	v_mov_b32_e32 v105, 0x7f800001
	s_xor_b32 exec_lo, exec_lo, s29
	s_cbranch_execz .LBB6_9188
.LBB6_10044:                            ;   in Loop: Header=BB6_8809 Depth=2
	v_cmp_ne_u16_sdwa s40, v104, v30 src0_sel:BYTE_0 src1_sel:DWORD
	v_mov_b32_e32 v105, 0
	s_andn2_b32 s12, s12, exec_lo
	s_and_b32 s40, s40, exec_lo
	s_or_b32 s12, s12, s40
	s_or_b32 exec_lo, exec_lo, s29
	s_and_saveexec_b32 s29, s12
	s_cbranch_execnz .LBB6_9189
	s_branch .LBB6_9190
.LBB6_10045:                            ;   in Loop: Header=BB6_8809 Depth=2
	s_or_saveexec_b32 s29, s29
	v_mov_b32_e32 v2, 0x7f800001
	s_xor_b32 exec_lo, exec_lo, s29
	s_cbranch_execz .LBB6_9194
.LBB6_10046:                            ;   in Loop: Header=BB6_8809 Depth=2
	v_cmp_ne_u16_sdwa s40, v59, v30 src0_sel:BYTE_0 src1_sel:DWORD
	v_mov_b32_e32 v2, 0
	s_andn2_b32 s12, s12, exec_lo
	s_and_b32 s40, s40, exec_lo
	s_or_b32 s12, s12, s40
	s_or_b32 exec_lo, exec_lo, s29
	s_and_saveexec_b32 s29, s12
	s_cbranch_execnz .LBB6_9195
	s_branch .LBB6_9196
.LBB6_10047:                            ;   in Loop: Header=BB6_8809 Depth=2
	s_or_saveexec_b32 s29, s29
	v_mov_b32_e32 v104, 0x7f800001
	s_xor_b32 exec_lo, exec_lo, s29
	s_cbranch_execz .LBB6_9210
.LBB6_10048:                            ;   in Loop: Header=BB6_8809 Depth=2
	v_cmp_ne_u16_sdwa s40, v95, v30 src0_sel:BYTE_0 src1_sel:DWORD
	v_mov_b32_e32 v104, 0
	s_andn2_b32 s12, s12, exec_lo
	s_and_b32 s40, s40, exec_lo
	s_or_b32 s12, s12, s40
	s_or_b32 exec_lo, exec_lo, s29
	s_and_saveexec_b32 s29, s12
	s_cbranch_execnz .LBB6_9211
	s_branch .LBB6_9212
.LBB6_10049:                            ;   in Loop: Header=BB6_8809 Depth=2
	s_or_saveexec_b32 s29, s29
	v_mov_b32_e32 v2, 0x7f800001
	s_xor_b32 exec_lo, exec_lo, s29
	s_cbranch_execz .LBB6_9216
.LBB6_10050:                            ;   in Loop: Header=BB6_8809 Depth=2
	v_cmp_ne_u16_sdwa s40, v62, v30 src0_sel:BYTE_0 src1_sel:DWORD
	v_mov_b32_e32 v2, 0
	s_andn2_b32 s12, s12, exec_lo
	s_and_b32 s40, s40, exec_lo
	s_or_b32 s12, s12, s40
	s_or_b32 exec_lo, exec_lo, s29
	s_and_saveexec_b32 s29, s12
	s_cbranch_execnz .LBB6_9217
	s_branch .LBB6_9218
.LBB6_10051:                            ;   in Loop: Header=BB6_8809 Depth=2
	s_or_saveexec_b32 s29, s29
	v_mov_b32_e32 v104, 0x7f800001
	s_xor_b32 exec_lo, exec_lo, s29
	s_cbranch_execz .LBB6_9224
.LBB6_10052:                            ;   in Loop: Header=BB6_8809 Depth=2
	v_cmp_ne_u16_sdwa s40, v95, v30 src0_sel:BYTE_0 src1_sel:DWORD
	v_mov_b32_e32 v104, 0
	s_andn2_b32 s12, s12, exec_lo
	s_and_b32 s40, s40, exec_lo
	s_or_b32 s12, s12, s40
	s_or_b32 exec_lo, exec_lo, s29
	s_and_saveexec_b32 s29, s12
	s_cbranch_execnz .LBB6_9225
	s_branch .LBB6_9226
.LBB6_10053:                            ;   in Loop: Header=BB6_8809 Depth=2
	s_or_saveexec_b32 s29, s29
	v_mov_b32_e32 v2, 0x7f800001
	s_xor_b32 exec_lo, exec_lo, s29
	s_cbranch_execz .LBB6_9230
.LBB6_10054:                            ;   in Loop: Header=BB6_8809 Depth=2
	v_cmp_ne_u16_sdwa s40, v62, v30 src0_sel:BYTE_0 src1_sel:DWORD
	v_mov_b32_e32 v2, 0
	s_andn2_b32 s12, s12, exec_lo
	s_and_b32 s40, s40, exec_lo
	s_or_b32 s12, s12, s40
	s_or_b32 exec_lo, exec_lo, s29
	s_and_saveexec_b32 s29, s12
	s_cbranch_execnz .LBB6_9231
	s_branch .LBB6_9232
.LBB6_10055:                            ;   in Loop: Header=BB6_8809 Depth=2
	s_or_saveexec_b32 s29, s29
	v_mov_b32_e32 v95, 0x7f800001
	s_xor_b32 exec_lo, exec_lo, s29
	s_cbranch_execz .LBB6_9246
.LBB6_10056:                            ;   in Loop: Header=BB6_8809 Depth=2
	v_cmp_ne_u16_sdwa s40, v94, v30 src0_sel:BYTE_0 src1_sel:DWORD
	v_mov_b32_e32 v95, 0
	s_andn2_b32 s12, s12, exec_lo
	s_and_b32 s40, s40, exec_lo
	s_or_b32 s12, s12, s40
	s_or_b32 exec_lo, exec_lo, s29
	s_and_saveexec_b32 s29, s12
	s_cbranch_execnz .LBB6_9247
	s_branch .LBB6_9248
.LBB6_10057:                            ;   in Loop: Header=BB6_8809 Depth=2
	s_or_saveexec_b32 s29, s29
	v_mov_b32_e32 v2, 0x7f800001
	s_xor_b32 exec_lo, exec_lo, s29
	s_cbranch_execz .LBB6_9252
.LBB6_10058:                            ;   in Loop: Header=BB6_8809 Depth=2
	v_cmp_ne_u16_sdwa s40, v73, v30 src0_sel:BYTE_0 src1_sel:DWORD
	v_mov_b32_e32 v2, 0
	s_andn2_b32 s12, s12, exec_lo
	s_and_b32 s40, s40, exec_lo
	s_or_b32 s12, s12, s40
	s_or_b32 exec_lo, exec_lo, s29
	s_and_saveexec_b32 s29, s12
	s_cbranch_execnz .LBB6_9253
	s_branch .LBB6_9254
.LBB6_10059:                            ;   in Loop: Header=BB6_8809 Depth=2
	s_or_saveexec_b32 s29, s29
	v_mov_b32_e32 v95, 0x7f800001
	s_xor_b32 exec_lo, exec_lo, s29
	s_cbranch_execz .LBB6_9260
.LBB6_10060:                            ;   in Loop: Header=BB6_8809 Depth=2
	v_cmp_ne_u16_sdwa s40, v94, v30 src0_sel:BYTE_0 src1_sel:DWORD
	v_mov_b32_e32 v95, 0
	s_andn2_b32 s12, s12, exec_lo
	s_and_b32 s40, s40, exec_lo
	s_or_b32 s12, s12, s40
	s_or_b32 exec_lo, exec_lo, s29
	s_and_saveexec_b32 s29, s12
	s_cbranch_execnz .LBB6_9261
	s_branch .LBB6_9262
.LBB6_10061:                            ;   in Loop: Header=BB6_8809 Depth=2
	s_or_saveexec_b32 s29, s29
	v_mov_b32_e32 v2, 0x7f800001
	s_xor_b32 exec_lo, exec_lo, s29
	s_cbranch_execz .LBB6_9266
.LBB6_10062:                            ;   in Loop: Header=BB6_8809 Depth=2
	v_cmp_ne_u16_sdwa s40, v73, v30 src0_sel:BYTE_0 src1_sel:DWORD
	v_mov_b32_e32 v2, 0
	s_andn2_b32 s12, s12, exec_lo
	s_and_b32 s40, s40, exec_lo
	s_or_b32 s12, s12, s40
	s_or_b32 exec_lo, exec_lo, s29
	s_and_saveexec_b32 s29, s12
	s_cbranch_execnz .LBB6_9267
	s_branch .LBB6_9268
.LBB6_10063:                            ;   in Loop: Header=BB6_8809 Depth=2
	s_or_saveexec_b32 s29, s29
	v_mov_b32_e32 v94, 0x7f800001
	s_xor_b32 exec_lo, exec_lo, s29
	s_cbranch_execz .LBB6_9282
.LBB6_10064:                            ;   in Loop: Header=BB6_8809 Depth=2
	v_cmp_ne_u16_sdwa s40, v93, v30 src0_sel:BYTE_0 src1_sel:DWORD
	v_mov_b32_e32 v94, 0
	s_andn2_b32 s12, s12, exec_lo
	s_and_b32 s40, s40, exec_lo
	s_or_b32 s12, s12, s40
	s_or_b32 exec_lo, exec_lo, s29
	s_and_saveexec_b32 s29, s12
	s_cbranch_execnz .LBB6_9283
	s_branch .LBB6_9284
.LBB6_10065:                            ;   in Loop: Header=BB6_8809 Depth=2
	s_or_saveexec_b32 s29, s29
	v_mov_b32_e32 v2, 0x7f800001
	s_xor_b32 exec_lo, exec_lo, s29
	s_cbranch_execz .LBB6_9288
.LBB6_10066:                            ;   in Loop: Header=BB6_8809 Depth=2
	v_cmp_ne_u16_sdwa s40, v76, v30 src0_sel:BYTE_0 src1_sel:DWORD
	v_mov_b32_e32 v2, 0
	s_andn2_b32 s12, s12, exec_lo
	s_and_b32 s40, s40, exec_lo
	s_or_b32 s12, s12, s40
	s_or_b32 exec_lo, exec_lo, s29
	s_and_saveexec_b32 s29, s12
	s_cbranch_execnz .LBB6_9289
	s_branch .LBB6_9290
.LBB6_10067:                            ;   in Loop: Header=BB6_8809 Depth=2
	s_or_saveexec_b32 s29, s29
	v_mov_b32_e32 v94, 0x7f800001
	s_xor_b32 exec_lo, exec_lo, s29
	s_cbranch_execz .LBB6_9296
.LBB6_10068:                            ;   in Loop: Header=BB6_8809 Depth=2
	v_cmp_ne_u16_sdwa s40, v93, v30 src0_sel:BYTE_0 src1_sel:DWORD
	v_mov_b32_e32 v94, 0
	s_andn2_b32 s12, s12, exec_lo
	s_and_b32 s40, s40, exec_lo
	s_or_b32 s12, s12, s40
	s_or_b32 exec_lo, exec_lo, s29
	s_and_saveexec_b32 s29, s12
	s_cbranch_execnz .LBB6_9297
	s_branch .LBB6_9298
.LBB6_10069:                            ;   in Loop: Header=BB6_8809 Depth=2
	s_or_saveexec_b32 s29, s29
	v_mov_b32_e32 v2, 0x7f800001
	s_xor_b32 exec_lo, exec_lo, s29
	s_cbranch_execz .LBB6_9302
.LBB6_10070:                            ;   in Loop: Header=BB6_8809 Depth=2
	v_cmp_ne_u16_sdwa s40, v76, v30 src0_sel:BYTE_0 src1_sel:DWORD
	v_mov_b32_e32 v2, 0
	s_andn2_b32 s12, s12, exec_lo
	s_and_b32 s40, s40, exec_lo
	s_or_b32 s12, s12, s40
	s_or_b32 exec_lo, exec_lo, s29
	s_and_saveexec_b32 s29, s12
	s_cbranch_execnz .LBB6_9303
	s_branch .LBB6_9304
.LBB6_10071:                            ;   in Loop: Header=BB6_8809 Depth=2
	s_or_saveexec_b32 s29, s29
	v_mov_b32_e32 v93, 0x7f800001
	s_xor_b32 exec_lo, exec_lo, s29
	s_cbranch_execz .LBB6_9318
.LBB6_10072:                            ;   in Loop: Header=BB6_8809 Depth=2
	v_cmp_ne_u16_sdwa s40, v92, v30 src0_sel:BYTE_0 src1_sel:DWORD
	v_mov_b32_e32 v93, 0
	s_andn2_b32 s12, s12, exec_lo
	s_and_b32 s40, s40, exec_lo
	s_or_b32 s12, s12, s40
	s_or_b32 exec_lo, exec_lo, s29
	s_and_saveexec_b32 s29, s12
	s_cbranch_execnz .LBB6_9319
	s_branch .LBB6_9320
.LBB6_10073:                            ;   in Loop: Header=BB6_8809 Depth=2
	s_or_saveexec_b32 s29, s29
	v_mov_b32_e32 v2, 0x7f800001
	s_xor_b32 exec_lo, exec_lo, s29
	s_cbranch_execz .LBB6_9324
.LBB6_10074:                            ;   in Loop: Header=BB6_8809 Depth=2
	v_cmp_ne_u16_sdwa s40, v79, v30 src0_sel:BYTE_0 src1_sel:DWORD
	v_mov_b32_e32 v2, 0
	s_andn2_b32 s12, s12, exec_lo
	s_and_b32 s40, s40, exec_lo
	s_or_b32 s12, s12, s40
	s_or_b32 exec_lo, exec_lo, s29
	s_and_saveexec_b32 s29, s12
	s_cbranch_execnz .LBB6_9325
	s_branch .LBB6_9326
.LBB6_10075:                            ;   in Loop: Header=BB6_8809 Depth=2
	s_or_saveexec_b32 s29, s29
	v_mov_b32_e32 v93, 0x7f800001
	s_xor_b32 exec_lo, exec_lo, s29
	s_cbranch_execz .LBB6_9332
.LBB6_10076:                            ;   in Loop: Header=BB6_8809 Depth=2
	v_cmp_ne_u16_sdwa s40, v92, v30 src0_sel:BYTE_0 src1_sel:DWORD
	v_mov_b32_e32 v93, 0
	s_andn2_b32 s12, s12, exec_lo
	s_and_b32 s40, s40, exec_lo
	s_or_b32 s12, s12, s40
	s_or_b32 exec_lo, exec_lo, s29
	s_and_saveexec_b32 s29, s12
	s_cbranch_execnz .LBB6_9333
	s_branch .LBB6_9334
.LBB6_10077:                            ;   in Loop: Header=BB6_8809 Depth=2
	s_or_saveexec_b32 s29, s29
	v_mov_b32_e32 v2, 0x7f800001
	s_xor_b32 exec_lo, exec_lo, s29
	s_cbranch_execz .LBB6_9338
.LBB6_10078:                            ;   in Loop: Header=BB6_8809 Depth=2
	v_cmp_ne_u16_sdwa s40, v79, v30 src0_sel:BYTE_0 src1_sel:DWORD
	v_mov_b32_e32 v2, 0
	s_andn2_b32 s12, s12, exec_lo
	s_and_b32 s40, s40, exec_lo
	s_or_b32 s12, s12, s40
	s_or_b32 exec_lo, exec_lo, s29
	s_and_saveexec_b32 s29, s12
	s_cbranch_execnz .LBB6_9339
	s_branch .LBB6_9340
.LBB6_10079:                            ;   in Loop: Header=BB6_8809 Depth=2
	s_or_saveexec_b32 s29, s29
	v_mov_b32_e32 v92, 0x7f800001
	s_xor_b32 exec_lo, exec_lo, s29
	s_cbranch_execz .LBB6_9354
.LBB6_10080:                            ;   in Loop: Header=BB6_8809 Depth=2
	v_cmp_ne_u16_sdwa s40, v91, v30 src0_sel:BYTE_0 src1_sel:DWORD
	v_mov_b32_e32 v92, 0
	s_andn2_b32 s12, s12, exec_lo
	s_and_b32 s40, s40, exec_lo
	s_or_b32 s12, s12, s40
	s_or_b32 exec_lo, exec_lo, s29
	s_and_saveexec_b32 s29, s12
	s_cbranch_execnz .LBB6_9355
	s_branch .LBB6_9356
.LBB6_10081:                            ;   in Loop: Header=BB6_8809 Depth=2
	s_or_saveexec_b32 s29, s29
	v_mov_b32_e32 v2, 0x7f800001
	s_xor_b32 exec_lo, exec_lo, s29
	s_cbranch_execz .LBB6_9360
.LBB6_10082:                            ;   in Loop: Header=BB6_8809 Depth=2
	v_cmp_ne_u16_sdwa s40, v90, v30 src0_sel:BYTE_0 src1_sel:DWORD
	v_mov_b32_e32 v2, 0
	s_andn2_b32 s12, s12, exec_lo
	s_and_b32 s40, s40, exec_lo
	s_or_b32 s12, s12, s40
	s_or_b32 exec_lo, exec_lo, s29
	s_and_saveexec_b32 s29, s12
	s_cbranch_execnz .LBB6_9361
	s_branch .LBB6_9362
.LBB6_10083:                            ;   in Loop: Header=BB6_8809 Depth=2
	s_or_saveexec_b32 s29, s29
	v_mov_b32_e32 v92, 0x7f800001
	s_xor_b32 exec_lo, exec_lo, s29
	s_cbranch_execz .LBB6_9368
.LBB6_10084:                            ;   in Loop: Header=BB6_8809 Depth=2
	v_cmp_ne_u16_sdwa s40, v91, v30 src0_sel:BYTE_0 src1_sel:DWORD
	v_mov_b32_e32 v92, 0
	s_andn2_b32 s12, s12, exec_lo
	s_and_b32 s40, s40, exec_lo
	s_or_b32 s12, s12, s40
	s_or_b32 exec_lo, exec_lo, s29
	s_and_saveexec_b32 s29, s12
	s_cbranch_execnz .LBB6_9369
	s_branch .LBB6_9370
.LBB6_10085:                            ;   in Loop: Header=BB6_8809 Depth=2
	s_or_saveexec_b32 s29, s29
	v_mov_b32_e32 v2, 0x7f800001
	s_xor_b32 exec_lo, exec_lo, s29
	s_cbranch_execz .LBB6_9374
.LBB6_10086:                            ;   in Loop: Header=BB6_8809 Depth=2
	v_cmp_ne_u16_sdwa s40, v90, v30 src0_sel:BYTE_0 src1_sel:DWORD
	v_mov_b32_e32 v2, 0
	s_andn2_b32 s12, s12, exec_lo
	s_and_b32 s40, s40, exec_lo
	s_or_b32 s12, s12, s40
	s_or_b32 exec_lo, exec_lo, s29
	s_and_saveexec_b32 s29, s12
	s_cbranch_execnz .LBB6_9375
	s_branch .LBB6_9376
.LBB6_10087:                            ;   in Loop: Header=BB6_8809 Depth=2
	s_or_saveexec_b32 s29, s29
	v_mov_b32_e32 v91, 0x7f800001
	s_xor_b32 exec_lo, exec_lo, s29
	s_cbranch_execz .LBB6_9390
.LBB6_10088:                            ;   in Loop: Header=BB6_8809 Depth=2
	v_cmp_ne_u16_sdwa s40, v89, v30 src0_sel:BYTE_0 src1_sel:DWORD
	v_mov_b32_e32 v91, 0
	s_andn2_b32 s12, s12, exec_lo
	s_and_b32 s40, s40, exec_lo
	s_or_b32 s12, s12, s40
	s_or_b32 exec_lo, exec_lo, s29
	s_and_saveexec_b32 s29, s12
	s_cbranch_execnz .LBB6_9391
	s_branch .LBB6_9392
.LBB6_10089:                            ;   in Loop: Header=BB6_8809 Depth=2
	s_or_saveexec_b32 s29, s29
	v_mov_b32_e32 v2, 0x7f800001
	s_xor_b32 exec_lo, exec_lo, s29
	s_cbranch_execz .LBB6_9396
.LBB6_10090:                            ;   in Loop: Header=BB6_8809 Depth=2
	v_cmp_ne_u16_sdwa s40, v88, v30 src0_sel:BYTE_0 src1_sel:DWORD
	v_mov_b32_e32 v2, 0
	s_andn2_b32 s12, s12, exec_lo
	s_and_b32 s40, s40, exec_lo
	s_or_b32 s12, s12, s40
	s_or_b32 exec_lo, exec_lo, s29
	s_and_saveexec_b32 s29, s12
	s_cbranch_execnz .LBB6_9397
	s_branch .LBB6_9398
.LBB6_10091:                            ;   in Loop: Header=BB6_8809 Depth=2
	s_or_saveexec_b32 s29, s29
	v_mov_b32_e32 v91, 0x7f800001
	s_xor_b32 exec_lo, exec_lo, s29
	s_cbranch_execz .LBB6_9404
.LBB6_10092:                            ;   in Loop: Header=BB6_8809 Depth=2
	v_cmp_ne_u16_sdwa s40, v89, v30 src0_sel:BYTE_0 src1_sel:DWORD
	v_mov_b32_e32 v91, 0
	s_andn2_b32 s12, s12, exec_lo
	s_and_b32 s40, s40, exec_lo
	s_or_b32 s12, s12, s40
	s_or_b32 exec_lo, exec_lo, s29
	s_and_saveexec_b32 s29, s12
	s_cbranch_execnz .LBB6_9405
	s_branch .LBB6_9406
.LBB6_10093:                            ;   in Loop: Header=BB6_8809 Depth=2
	s_or_saveexec_b32 s29, s29
	v_mov_b32_e32 v2, 0x7f800001
	s_xor_b32 exec_lo, exec_lo, s29
	s_cbranch_execz .LBB6_9410
.LBB6_10094:                            ;   in Loop: Header=BB6_8809 Depth=2
	v_cmp_ne_u16_sdwa s40, v88, v30 src0_sel:BYTE_0 src1_sel:DWORD
	v_mov_b32_e32 v2, 0
	s_andn2_b32 s12, s12, exec_lo
	s_and_b32 s40, s40, exec_lo
	s_or_b32 s12, s12, s40
	s_or_b32 exec_lo, exec_lo, s29
	s_and_saveexec_b32 s29, s12
	s_cbranch_execnz .LBB6_9411
	s_branch .LBB6_9412
.LBB6_10095:                            ;   in Loop: Header=BB6_8809 Depth=2
	s_or_saveexec_b32 s29, s29
	v_mov_b32_e32 v89, 0x7f800001
	s_xor_b32 exec_lo, exec_lo, s29
	s_cbranch_execz .LBB6_9426
.LBB6_10096:                            ;   in Loop: Header=BB6_8809 Depth=2
	v_cmp_ne_u16_sdwa s40, v78, v30 src0_sel:BYTE_0 src1_sel:DWORD
	v_mov_b32_e32 v89, 0
	s_andn2_b32 s12, s12, exec_lo
	s_and_b32 s40, s40, exec_lo
	s_or_b32 s12, s12, s40
	s_or_b32 exec_lo, exec_lo, s29
	s_and_saveexec_b32 s29, s12
	s_cbranch_execnz .LBB6_9427
	s_branch .LBB6_9428
.LBB6_10097:                            ;   in Loop: Header=BB6_8809 Depth=2
	s_or_saveexec_b32 s29, s29
	v_mov_b32_e32 v2, 0x7f800001
	s_xor_b32 exec_lo, exec_lo, s29
	s_cbranch_execz .LBB6_9432
.LBB6_10098:                            ;   in Loop: Header=BB6_8809 Depth=2
	v_cmp_ne_u16_sdwa s40, v77, v30 src0_sel:BYTE_0 src1_sel:DWORD
	v_mov_b32_e32 v2, 0
	s_andn2_b32 s12, s12, exec_lo
	s_and_b32 s40, s40, exec_lo
	s_or_b32 s12, s12, s40
	s_or_b32 exec_lo, exec_lo, s29
	s_and_saveexec_b32 s29, s12
	s_cbranch_execnz .LBB6_9433
	s_branch .LBB6_9434
.LBB6_10099:                            ;   in Loop: Header=BB6_8809 Depth=2
	s_or_saveexec_b32 s29, s29
	v_mov_b32_e32 v89, 0x7f800001
	s_xor_b32 exec_lo, exec_lo, s29
	s_cbranch_execz .LBB6_9440
.LBB6_10100:                            ;   in Loop: Header=BB6_8809 Depth=2
	v_cmp_ne_u16_sdwa s40, v78, v30 src0_sel:BYTE_0 src1_sel:DWORD
	v_mov_b32_e32 v89, 0
	s_andn2_b32 s12, s12, exec_lo
	s_and_b32 s40, s40, exec_lo
	s_or_b32 s12, s12, s40
	s_or_b32 exec_lo, exec_lo, s29
	s_and_saveexec_b32 s29, s12
	s_cbranch_execnz .LBB6_9441
	s_branch .LBB6_9442
.LBB6_10101:                            ;   in Loop: Header=BB6_8809 Depth=2
	s_or_saveexec_b32 s29, s29
	v_mov_b32_e32 v2, 0x7f800001
	s_xor_b32 exec_lo, exec_lo, s29
	s_cbranch_execz .LBB6_9446
.LBB6_10102:                            ;   in Loop: Header=BB6_8809 Depth=2
	v_cmp_ne_u16_sdwa s40, v77, v30 src0_sel:BYTE_0 src1_sel:DWORD
	v_mov_b32_e32 v2, 0
	s_andn2_b32 s12, s12, exec_lo
	s_and_b32 s40, s40, exec_lo
	s_or_b32 s12, s12, s40
	s_or_b32 exec_lo, exec_lo, s29
	s_and_saveexec_b32 s29, s12
	s_cbranch_execnz .LBB6_9447
	s_branch .LBB6_9448
.LBB6_10103:                            ;   in Loop: Header=BB6_8809 Depth=2
	s_or_saveexec_b32 s29, s29
	v_mov_b32_e32 v78, 0x7f800001
	s_xor_b32 exec_lo, exec_lo, s29
	s_cbranch_execz .LBB6_9462
.LBB6_10104:                            ;   in Loop: Header=BB6_8809 Depth=2
	v_cmp_ne_u16_sdwa s40, v75, v30 src0_sel:BYTE_0 src1_sel:DWORD
	v_mov_b32_e32 v78, 0
	s_andn2_b32 s12, s12, exec_lo
	s_and_b32 s40, s40, exec_lo
	s_or_b32 s12, s12, s40
	s_or_b32 exec_lo, exec_lo, s29
	s_and_saveexec_b32 s29, s12
	s_cbranch_execnz .LBB6_9463
	s_branch .LBB6_9464
.LBB6_10105:                            ;   in Loop: Header=BB6_8809 Depth=2
	s_or_saveexec_b32 s29, s29
	v_mov_b32_e32 v2, 0x7f800001
	s_xor_b32 exec_lo, exec_lo, s29
	s_cbranch_execz .LBB6_9468
.LBB6_10106:                            ;   in Loop: Header=BB6_8809 Depth=2
	v_cmp_ne_u16_sdwa s40, v74, v30 src0_sel:BYTE_0 src1_sel:DWORD
	v_mov_b32_e32 v2, 0
	s_andn2_b32 s12, s12, exec_lo
	s_and_b32 s40, s40, exec_lo
	s_or_b32 s12, s12, s40
	s_or_b32 exec_lo, exec_lo, s29
	s_and_saveexec_b32 s29, s12
	s_cbranch_execnz .LBB6_9469
	s_branch .LBB6_9470
.LBB6_10107:                            ;   in Loop: Header=BB6_8809 Depth=2
	s_or_saveexec_b32 s29, s29
	v_mov_b32_e32 v78, 0x7f800001
	s_xor_b32 exec_lo, exec_lo, s29
	s_cbranch_execz .LBB6_9476
.LBB6_10108:                            ;   in Loop: Header=BB6_8809 Depth=2
	v_cmp_ne_u16_sdwa s40, v75, v30 src0_sel:BYTE_0 src1_sel:DWORD
	v_mov_b32_e32 v78, 0
	s_andn2_b32 s12, s12, exec_lo
	s_and_b32 s40, s40, exec_lo
	s_or_b32 s12, s12, s40
	s_or_b32 exec_lo, exec_lo, s29
	s_and_saveexec_b32 s29, s12
	s_cbranch_execnz .LBB6_9477
	s_branch .LBB6_9478
.LBB6_10109:                            ;   in Loop: Header=BB6_8809 Depth=2
	s_or_saveexec_b32 s29, s29
	v_mov_b32_e32 v2, 0x7f800001
	s_xor_b32 exec_lo, exec_lo, s29
	s_cbranch_execz .LBB6_9482
.LBB6_10110:                            ;   in Loop: Header=BB6_8809 Depth=2
	v_cmp_ne_u16_sdwa s40, v74, v30 src0_sel:BYTE_0 src1_sel:DWORD
	v_mov_b32_e32 v2, 0
	s_andn2_b32 s12, s12, exec_lo
	s_and_b32 s40, s40, exec_lo
	s_or_b32 s12, s12, s40
	s_or_b32 exec_lo, exec_lo, s29
	s_and_saveexec_b32 s29, s12
	s_cbranch_execnz .LBB6_9483
	s_branch .LBB6_9484
.LBB6_10111:                            ;   in Loop: Header=BB6_8809 Depth=2
	s_or_saveexec_b32 s29, s29
	v_mov_b32_e32 v75, 0x7f800001
	s_xor_b32 exec_lo, exec_lo, s29
	s_cbranch_execz .LBB6_9498
.LBB6_10112:                            ;   in Loop: Header=BB6_8809 Depth=2
	v_cmp_ne_u16_sdwa s40, v72, v30 src0_sel:BYTE_0 src1_sel:DWORD
	v_mov_b32_e32 v75, 0
	s_andn2_b32 s12, s12, exec_lo
	s_and_b32 s40, s40, exec_lo
	s_or_b32 s12, s12, s40
	s_or_b32 exec_lo, exec_lo, s29
	s_and_saveexec_b32 s29, s12
	s_cbranch_execnz .LBB6_9499
	s_branch .LBB6_9500
.LBB6_10113:                            ;   in Loop: Header=BB6_8809 Depth=2
	s_or_saveexec_b32 s29, s29
	v_mov_b32_e32 v2, 0x7f800001
	s_xor_b32 exec_lo, exec_lo, s29
	s_cbranch_execz .LBB6_9504
.LBB6_10114:                            ;   in Loop: Header=BB6_8809 Depth=2
	v_cmp_ne_u16_sdwa s40, v63, v30 src0_sel:BYTE_0 src1_sel:DWORD
	v_mov_b32_e32 v2, 0
	s_andn2_b32 s12, s12, exec_lo
	s_and_b32 s40, s40, exec_lo
	s_or_b32 s12, s12, s40
	s_or_b32 exec_lo, exec_lo, s29
	s_and_saveexec_b32 s29, s12
	s_cbranch_execnz .LBB6_9505
	s_branch .LBB6_9506
.LBB6_10115:                            ;   in Loop: Header=BB6_8809 Depth=2
	s_or_saveexec_b32 s29, s29
	v_mov_b32_e32 v75, 0x7f800001
	s_xor_b32 exec_lo, exec_lo, s29
	s_cbranch_execz .LBB6_9512
.LBB6_10116:                            ;   in Loop: Header=BB6_8809 Depth=2
	v_cmp_ne_u16_sdwa s40, v72, v30 src0_sel:BYTE_0 src1_sel:DWORD
	v_mov_b32_e32 v75, 0
	s_andn2_b32 s12, s12, exec_lo
	s_and_b32 s40, s40, exec_lo
	s_or_b32 s12, s12, s40
	s_or_b32 exec_lo, exec_lo, s29
	s_and_saveexec_b32 s29, s12
	s_cbranch_execnz .LBB6_9513
	s_branch .LBB6_9514
.LBB6_10117:                            ;   in Loop: Header=BB6_8809 Depth=2
	s_or_saveexec_b32 s29, s29
	v_mov_b32_e32 v2, 0x7f800001
	s_xor_b32 exec_lo, exec_lo, s29
	s_cbranch_execz .LBB6_9518
.LBB6_10118:                            ;   in Loop: Header=BB6_8809 Depth=2
	v_cmp_ne_u16_sdwa s40, v63, v30 src0_sel:BYTE_0 src1_sel:DWORD
	v_mov_b32_e32 v2, 0
	s_andn2_b32 s12, s12, exec_lo
	s_and_b32 s40, s40, exec_lo
	s_or_b32 s12, s12, s40
	s_or_b32 exec_lo, exec_lo, s29
	s_and_saveexec_b32 s29, s12
	s_cbranch_execnz .LBB6_9519
	s_branch .LBB6_9520
.LBB6_10119:                            ;   in Loop: Header=BB6_8809 Depth=2
	s_or_saveexec_b32 s29, s29
	v_mov_b32_e32 v72, 0x7f800001
	s_xor_b32 exec_lo, exec_lo, s29
	s_cbranch_execz .LBB6_9534
.LBB6_10120:                            ;   in Loop: Header=BB6_8809 Depth=2
	v_cmp_ne_u16_sdwa s40, v61, v30 src0_sel:BYTE_0 src1_sel:DWORD
	v_mov_b32_e32 v72, 0
	s_andn2_b32 s12, s12, exec_lo
	s_and_b32 s40, s40, exec_lo
	s_or_b32 s12, s12, s40
	s_or_b32 exec_lo, exec_lo, s29
	s_and_saveexec_b32 s29, s12
	s_cbranch_execnz .LBB6_9535
	s_branch .LBB6_9536
.LBB6_10121:                            ;   in Loop: Header=BB6_8809 Depth=2
	s_or_saveexec_b32 s29, s29
	v_mov_b32_e32 v2, 0x7f800001
	s_xor_b32 exec_lo, exec_lo, s29
	s_cbranch_execz .LBB6_9540
.LBB6_10122:                            ;   in Loop: Header=BB6_8809 Depth=2
	v_cmp_ne_u16_sdwa s40, v60, v30 src0_sel:BYTE_0 src1_sel:DWORD
	v_mov_b32_e32 v2, 0
	s_andn2_b32 s12, s12, exec_lo
	s_and_b32 s40, s40, exec_lo
	s_or_b32 s12, s12, s40
	s_or_b32 exec_lo, exec_lo, s29
	s_and_saveexec_b32 s29, s12
	s_cbranch_execnz .LBB6_9541
	s_branch .LBB6_9542
.LBB6_10123:                            ;   in Loop: Header=BB6_8809 Depth=2
	s_or_saveexec_b32 s29, s29
	v_mov_b32_e32 v72, 0x7f800001
	s_xor_b32 exec_lo, exec_lo, s29
	s_cbranch_execz .LBB6_9548
.LBB6_10124:                            ;   in Loop: Header=BB6_8809 Depth=2
	v_cmp_ne_u16_sdwa s40, v61, v30 src0_sel:BYTE_0 src1_sel:DWORD
	v_mov_b32_e32 v72, 0
	s_andn2_b32 s12, s12, exec_lo
	s_and_b32 s40, s40, exec_lo
	s_or_b32 s12, s12, s40
	s_or_b32 exec_lo, exec_lo, s29
	s_and_saveexec_b32 s29, s12
	s_cbranch_execnz .LBB6_9549
	s_branch .LBB6_9550
.LBB6_10125:                            ;   in Loop: Header=BB6_8809 Depth=2
	s_or_saveexec_b32 s29, s29
	v_mov_b32_e32 v2, 0x7f800001
	s_xor_b32 exec_lo, exec_lo, s29
	s_cbranch_execz .LBB6_9554
.LBB6_10126:                            ;   in Loop: Header=BB6_8809 Depth=2
	v_cmp_ne_u16_sdwa s40, v60, v30 src0_sel:BYTE_0 src1_sel:DWORD
	v_mov_b32_e32 v2, 0
	s_andn2_b32 s12, s12, exec_lo
	s_and_b32 s40, s40, exec_lo
	s_or_b32 s12, s12, s40
	s_or_b32 exec_lo, exec_lo, s29
	s_and_saveexec_b32 s29, s12
	s_cbranch_execnz .LBB6_9555
	s_branch .LBB6_9556
.LBB6_10127:                            ;   in Loop: Header=BB6_8809 Depth=2
	s_or_saveexec_b32 s29, s29
	v_mov_b32_e32 v61, 0x7f800001
	s_xor_b32 exec_lo, exec_lo, s29
	s_cbranch_execz .LBB6_9570
.LBB6_10128:                            ;   in Loop: Header=BB6_8809 Depth=2
	v_cmp_ne_u16_sdwa s40, v58, v30 src0_sel:BYTE_0 src1_sel:DWORD
	v_mov_b32_e32 v61, 0
	s_andn2_b32 s12, s12, exec_lo
	s_and_b32 s40, s40, exec_lo
	s_or_b32 s12, s12, s40
	s_or_b32 exec_lo, exec_lo, s29
	s_and_saveexec_b32 s29, s12
	s_cbranch_execnz .LBB6_9571
	s_branch .LBB6_9572
.LBB6_10129:                            ;   in Loop: Header=BB6_8809 Depth=2
	s_or_saveexec_b32 s29, s29
	v_mov_b32_e32 v2, 0x7f800001
	s_xor_b32 exec_lo, exec_lo, s29
	s_cbranch_execz .LBB6_9576
.LBB6_10130:                            ;   in Loop: Header=BB6_8809 Depth=2
	v_cmp_ne_u16_sdwa s40, v103, v30 src0_sel:BYTE_0 src1_sel:DWORD
	v_mov_b32_e32 v2, 0
	s_andn2_b32 s12, s12, exec_lo
	s_and_b32 s40, s40, exec_lo
	s_or_b32 s12, s12, s40
	s_or_b32 exec_lo, exec_lo, s29
	s_and_saveexec_b32 s29, s12
	s_cbranch_execnz .LBB6_9577
	s_branch .LBB6_9578
.LBB6_10131:                            ;   in Loop: Header=BB6_8809 Depth=2
	s_or_saveexec_b32 s29, s29
	v_mov_b32_e32 v61, 0x7f800001
	s_xor_b32 exec_lo, exec_lo, s29
	s_cbranch_execz .LBB6_9584
.LBB6_10132:                            ;   in Loop: Header=BB6_8809 Depth=2
	v_cmp_ne_u16_sdwa s40, v58, v30 src0_sel:BYTE_0 src1_sel:DWORD
	v_mov_b32_e32 v61, 0
	s_andn2_b32 s12, s12, exec_lo
	s_and_b32 s40, s40, exec_lo
	s_or_b32 s12, s12, s40
	s_or_b32 exec_lo, exec_lo, s29
	s_and_saveexec_b32 s29, s12
	s_cbranch_execnz .LBB6_9585
	s_branch .LBB6_9586
.LBB6_10133:                            ;   in Loop: Header=BB6_8809 Depth=2
	s_or_saveexec_b32 s29, s29
	v_mov_b32_e32 v2, 0x7f800001
	s_xor_b32 exec_lo, exec_lo, s29
	s_cbranch_execz .LBB6_9590
.LBB6_10134:                            ;   in Loop: Header=BB6_8809 Depth=2
	v_cmp_ne_u16_sdwa s40, v103, v30 src0_sel:BYTE_0 src1_sel:DWORD
	v_mov_b32_e32 v2, 0
	s_andn2_b32 s12, s12, exec_lo
	s_and_b32 s40, s40, exec_lo
	s_or_b32 s12, s12, s40
	s_or_b32 exec_lo, exec_lo, s29
	s_and_saveexec_b32 s29, s12
	s_cbranch_execnz .LBB6_9591
	s_branch .LBB6_9592
.LBB6_10135:                            ;   in Loop: Header=BB6_8809 Depth=2
	s_or_saveexec_b32 s29, s29
	v_mov_b32_e32 v58, 0x7f800001
	s_xor_b32 exec_lo, exec_lo, s29
	s_cbranch_execz .LBB6_9606
.LBB6_10136:                            ;   in Loop: Header=BB6_8809 Depth=2
	v_cmp_ne_u16_sdwa s40, v101, v30 src0_sel:BYTE_0 src1_sel:DWORD
	v_mov_b32_e32 v58, 0
	s_andn2_b32 s12, s12, exec_lo
	s_and_b32 s40, s40, exec_lo
	s_or_b32 s12, s12, s40
	s_or_b32 exec_lo, exec_lo, s29
	s_and_saveexec_b32 s29, s12
	s_cbranch_execnz .LBB6_9607
	s_branch .LBB6_9608
.LBB6_10137:                            ;   in Loop: Header=BB6_8809 Depth=2
	s_or_saveexec_b32 s29, s29
	v_mov_b32_e32 v2, 0x7f800001
	s_xor_b32 exec_lo, exec_lo, s29
	s_cbranch_execz .LBB6_9612
.LBB6_10138:                            ;   in Loop: Header=BB6_8809 Depth=2
	v_cmp_ne_u16_sdwa s40, v100, v30 src0_sel:BYTE_0 src1_sel:DWORD
	v_mov_b32_e32 v2, 0
	s_andn2_b32 s12, s12, exec_lo
	s_and_b32 s40, s40, exec_lo
	s_or_b32 s12, s12, s40
	s_or_b32 exec_lo, exec_lo, s29
	s_and_saveexec_b32 s29, s12
	s_cbranch_execnz .LBB6_9613
	s_branch .LBB6_9614
.LBB6_10139:                            ;   in Loop: Header=BB6_8809 Depth=2
	s_or_saveexec_b32 s29, s29
	v_mov_b32_e32 v58, 0x7f800001
	s_xor_b32 exec_lo, exec_lo, s29
	s_cbranch_execz .LBB6_9620
.LBB6_10140:                            ;   in Loop: Header=BB6_8809 Depth=2
	v_cmp_ne_u16_sdwa s40, v101, v30 src0_sel:BYTE_0 src1_sel:DWORD
	v_mov_b32_e32 v58, 0
	s_andn2_b32 s12, s12, exec_lo
	s_and_b32 s40, s40, exec_lo
	s_or_b32 s12, s12, s40
	s_or_b32 exec_lo, exec_lo, s29
	s_and_saveexec_b32 s29, s12
	s_cbranch_execnz .LBB6_9621
	s_branch .LBB6_9622
.LBB6_10141:                            ;   in Loop: Header=BB6_8809 Depth=2
	s_or_saveexec_b32 s29, s29
	v_mov_b32_e32 v2, 0x7f800001
	s_xor_b32 exec_lo, exec_lo, s29
	s_cbranch_execz .LBB6_9626
.LBB6_10142:                            ;   in Loop: Header=BB6_8809 Depth=2
	v_cmp_ne_u16_sdwa s40, v100, v30 src0_sel:BYTE_0 src1_sel:DWORD
	v_mov_b32_e32 v2, 0
	s_andn2_b32 s12, s12, exec_lo
	s_and_b32 s40, s40, exec_lo
	s_or_b32 s12, s12, s40
	s_or_b32 exec_lo, exec_lo, s29
	s_and_saveexec_b32 s29, s12
	s_cbranch_execnz .LBB6_9627
	s_branch .LBB6_9628
.LBB6_10143:                            ;   in Loop: Header=BB6_8809 Depth=2
	s_or_saveexec_b32 s29, s29
	v_mov_b32_e32 v101, 0x7f800001
	s_xor_b32 exec_lo, exec_lo, s29
	s_cbranch_execz .LBB6_9642
.LBB6_10144:                            ;   in Loop: Header=BB6_8809 Depth=2
	v_cmp_ne_u16_sdwa s40, v98, v30 src0_sel:BYTE_0 src1_sel:DWORD
	v_mov_b32_e32 v101, 0
	s_andn2_b32 s12, s12, exec_lo
	s_and_b32 s40, s40, exec_lo
	s_or_b32 s12, s12, s40
	s_or_b32 exec_lo, exec_lo, s29
	s_and_saveexec_b32 s29, s12
	s_cbranch_execnz .LBB6_9643
	s_branch .LBB6_9644
.LBB6_10145:                            ;   in Loop: Header=BB6_8809 Depth=2
	s_or_saveexec_b32 s29, s29
	v_mov_b32_e32 v2, 0x7f800001
	s_xor_b32 exec_lo, exec_lo, s29
	s_cbranch_execz .LBB6_9648
.LBB6_10146:                            ;   in Loop: Header=BB6_8809 Depth=2
	v_cmp_ne_u16_sdwa s40, v97, v30 src0_sel:BYTE_0 src1_sel:DWORD
	v_mov_b32_e32 v2, 0
	s_andn2_b32 s12, s12, exec_lo
	s_and_b32 s40, s40, exec_lo
	s_or_b32 s12, s12, s40
	s_or_b32 exec_lo, exec_lo, s29
	s_and_saveexec_b32 s29, s12
	s_cbranch_execnz .LBB6_9649
	s_branch .LBB6_9650
.LBB6_10147:                            ;   in Loop: Header=BB6_8809 Depth=2
	s_or_saveexec_b32 s29, s29
	v_mov_b32_e32 v101, 0x7f800001
	s_xor_b32 exec_lo, exec_lo, s29
	s_cbranch_execz .LBB6_9656
.LBB6_10148:                            ;   in Loop: Header=BB6_8809 Depth=2
	v_cmp_ne_u16_sdwa s40, v98, v30 src0_sel:BYTE_0 src1_sel:DWORD
	v_mov_b32_e32 v101, 0
	s_andn2_b32 s12, s12, exec_lo
	s_and_b32 s40, s40, exec_lo
	s_or_b32 s12, s12, s40
	s_or_b32 exec_lo, exec_lo, s29
	s_and_saveexec_b32 s29, s12
	s_cbranch_execnz .LBB6_9657
	s_branch .LBB6_9658
.LBB6_10149:                            ;   in Loop: Header=BB6_8809 Depth=2
	s_or_saveexec_b32 s29, s29
	v_mov_b32_e32 v2, 0x7f800001
	s_xor_b32 exec_lo, exec_lo, s29
	s_cbranch_execz .LBB6_9662
.LBB6_10150:                            ;   in Loop: Header=BB6_8809 Depth=2
	v_cmp_ne_u16_sdwa s40, v97, v30 src0_sel:BYTE_0 src1_sel:DWORD
	v_mov_b32_e32 v2, 0
	s_andn2_b32 s12, s12, exec_lo
	s_and_b32 s40, s40, exec_lo
	s_or_b32 s12, s12, s40
	s_or_b32 exec_lo, exec_lo, s29
	s_and_saveexec_b32 s29, s12
	s_cbranch_execnz .LBB6_9663
	s_branch .LBB6_9664
.LBB6_10151:                            ;   in Loop: Header=BB6_8809 Depth=2
	s_or_saveexec_b32 s29, s29
	v_mov_b32_e32 v98, 0x7f800001
	s_xor_b32 exec_lo, exec_lo, s29
	s_cbranch_execz .LBB6_9678
.LBB6_10152:                            ;   in Loop: Header=BB6_8809 Depth=2
	v_cmp_ne_u16_sdwa s40, v86, v30 src0_sel:BYTE_0 src1_sel:DWORD
	v_mov_b32_e32 v98, 0
	s_andn2_b32 s12, s12, exec_lo
	s_and_b32 s40, s40, exec_lo
	s_or_b32 s12, s12, s40
	s_or_b32 exec_lo, exec_lo, s29
	s_and_saveexec_b32 s29, s12
	s_cbranch_execnz .LBB6_9679
	s_branch .LBB6_9680
.LBB6_10153:                            ;   in Loop: Header=BB6_8809 Depth=2
	s_or_saveexec_b32 s29, s29
	v_mov_b32_e32 v2, 0x7f800001
	s_xor_b32 exec_lo, exec_lo, s29
	s_cbranch_execz .LBB6_9684
.LBB6_10154:                            ;   in Loop: Header=BB6_8809 Depth=2
	v_cmp_ne_u16_sdwa s40, v85, v30 src0_sel:BYTE_0 src1_sel:DWORD
	v_mov_b32_e32 v2, 0
	s_andn2_b32 s12, s12, exec_lo
	s_and_b32 s40, s40, exec_lo
	s_or_b32 s12, s12, s40
	s_or_b32 exec_lo, exec_lo, s29
	s_and_saveexec_b32 s29, s12
	s_cbranch_execnz .LBB6_9685
	s_branch .LBB6_9686
.LBB6_10155:                            ;   in Loop: Header=BB6_8809 Depth=2
	s_or_saveexec_b32 s29, s29
	v_mov_b32_e32 v98, 0x7f800001
	s_xor_b32 exec_lo, exec_lo, s29
	s_cbranch_execz .LBB6_9692
.LBB6_10156:                            ;   in Loop: Header=BB6_8809 Depth=2
	v_cmp_ne_u16_sdwa s40, v86, v30 src0_sel:BYTE_0 src1_sel:DWORD
	v_mov_b32_e32 v98, 0
	s_andn2_b32 s12, s12, exec_lo
	s_and_b32 s40, s40, exec_lo
	s_or_b32 s12, s12, s40
	s_or_b32 exec_lo, exec_lo, s29
	s_and_saveexec_b32 s29, s12
	s_cbranch_execnz .LBB6_9693
	s_branch .LBB6_9694
.LBB6_10157:                            ;   in Loop: Header=BB6_8809 Depth=2
	s_or_saveexec_b32 s29, s29
	v_mov_b32_e32 v2, 0x7f800001
	s_xor_b32 exec_lo, exec_lo, s29
	s_cbranch_execz .LBB6_9698
.LBB6_10158:                            ;   in Loop: Header=BB6_8809 Depth=2
	v_cmp_ne_u16_sdwa s40, v85, v30 src0_sel:BYTE_0 src1_sel:DWORD
	v_mov_b32_e32 v2, 0
	s_andn2_b32 s12, s12, exec_lo
	s_and_b32 s40, s40, exec_lo
	s_or_b32 s12, s12, s40
	s_or_b32 exec_lo, exec_lo, s29
	s_and_saveexec_b32 s29, s12
	s_cbranch_execnz .LBB6_9699
	s_branch .LBB6_9700
.LBB6_10159:                            ;   in Loop: Header=BB6_8809 Depth=2
	s_or_saveexec_b32 s29, s29
	v_mov_b32_e32 v86, 0x7f800001
	s_xor_b32 exec_lo, exec_lo, s29
	s_cbranch_execz .LBB6_9714
.LBB6_10160:                            ;   in Loop: Header=BB6_8809 Depth=2
	v_cmp_ne_u16_sdwa s40, v50, v30 src0_sel:BYTE_0 src1_sel:DWORD
	v_mov_b32_e32 v86, 0
	s_andn2_b32 s12, s12, exec_lo
	s_and_b32 s40, s40, exec_lo
	s_or_b32 s12, s12, s40
	s_or_b32 exec_lo, exec_lo, s29
	s_and_saveexec_b32 s29, s12
	s_cbranch_execnz .LBB6_9715
	s_branch .LBB6_9716
.LBB6_10161:                            ;   in Loop: Header=BB6_8809 Depth=2
	s_or_saveexec_b32 s29, s29
	v_mov_b32_e32 v2, 0x7f800001
	s_xor_b32 exec_lo, exec_lo, s29
	s_cbranch_execz .LBB6_9720
.LBB6_10162:                            ;   in Loop: Header=BB6_8809 Depth=2
	v_cmp_ne_u16_sdwa s40, v48, v30 src0_sel:BYTE_0 src1_sel:DWORD
	v_mov_b32_e32 v2, 0
	s_andn2_b32 s12, s12, exec_lo
	s_and_b32 s40, s40, exec_lo
	s_or_b32 s12, s12, s40
	s_or_b32 exec_lo, exec_lo, s29
	s_and_saveexec_b32 s29, s12
	s_cbranch_execnz .LBB6_9721
	s_branch .LBB6_9722
.LBB6_10163:                            ;   in Loop: Header=BB6_8809 Depth=2
	s_or_saveexec_b32 s29, s29
	v_mov_b32_e32 v86, 0x7f800001
	s_xor_b32 exec_lo, exec_lo, s29
	s_cbranch_execz .LBB6_9728
.LBB6_10164:                            ;   in Loop: Header=BB6_8809 Depth=2
	v_cmp_ne_u16_sdwa s40, v50, v30 src0_sel:BYTE_0 src1_sel:DWORD
	v_mov_b32_e32 v86, 0
	s_andn2_b32 s12, s12, exec_lo
	s_and_b32 s40, s40, exec_lo
	s_or_b32 s12, s12, s40
	s_or_b32 exec_lo, exec_lo, s29
	s_and_saveexec_b32 s29, s12
	s_cbranch_execnz .LBB6_9729
	s_branch .LBB6_9730
.LBB6_10165:                            ;   in Loop: Header=BB6_8809 Depth=2
	s_or_saveexec_b32 s29, s29
	v_mov_b32_e32 v2, 0x7f800001
	s_xor_b32 exec_lo, exec_lo, s29
	s_cbranch_execz .LBB6_9734
.LBB6_10166:                            ;   in Loop: Header=BB6_8809 Depth=2
	v_cmp_ne_u16_sdwa s40, v48, v30 src0_sel:BYTE_0 src1_sel:DWORD
	v_mov_b32_e32 v2, 0
	s_andn2_b32 s12, s12, exec_lo
	s_and_b32 s40, s40, exec_lo
	s_or_b32 s12, s12, s40
	s_or_b32 exec_lo, exec_lo, s29
	s_and_saveexec_b32 s29, s12
	s_cbranch_execnz .LBB6_9735
	s_branch .LBB6_9736
.LBB6_10167:                            ;   in Loop: Header=BB6_8809 Depth=2
	s_or_saveexec_b32 s29, s29
	v_mov_b32_e32 v50, 0x7f800001
	s_xor_b32 exec_lo, exec_lo, s29
	s_cbranch_execz .LBB6_9750
.LBB6_10168:                            ;   in Loop: Header=BB6_8809 Depth=2
	v_cmp_ne_u16_sdwa s40, v39, v30 src0_sel:BYTE_0 src1_sel:DWORD
	v_mov_b32_e32 v50, 0
	s_andn2_b32 s12, s12, exec_lo
	s_and_b32 s40, s40, exec_lo
	s_or_b32 s12, s12, s40
	s_or_b32 exec_lo, exec_lo, s29
	s_and_saveexec_b32 s29, s12
	s_cbranch_execnz .LBB6_9751
	s_branch .LBB6_9752
.LBB6_10169:                            ;   in Loop: Header=BB6_8809 Depth=2
	s_or_saveexec_b32 s29, s29
	v_mov_b32_e32 v2, 0x7f800001
	s_xor_b32 exec_lo, exec_lo, s29
	s_cbranch_execz .LBB6_9756
.LBB6_10170:                            ;   in Loop: Header=BB6_8809 Depth=2
	v_cmp_ne_u16_sdwa s40, v37, v30 src0_sel:BYTE_0 src1_sel:DWORD
	v_mov_b32_e32 v2, 0
	s_andn2_b32 s12, s12, exec_lo
	s_and_b32 s40, s40, exec_lo
	s_or_b32 s12, s12, s40
	s_or_b32 exec_lo, exec_lo, s29
	s_and_saveexec_b32 s29, s12
	s_cbranch_execnz .LBB6_9757
	s_branch .LBB6_9758
.LBB6_10171:                            ;   in Loop: Header=BB6_8809 Depth=2
	s_or_saveexec_b32 s29, s29
	v_mov_b32_e32 v50, 0x7f800001
	s_xor_b32 exec_lo, exec_lo, s29
	s_cbranch_execz .LBB6_9764
.LBB6_10172:                            ;   in Loop: Header=BB6_8809 Depth=2
	v_cmp_ne_u16_sdwa s40, v39, v30 src0_sel:BYTE_0 src1_sel:DWORD
	v_mov_b32_e32 v50, 0
	s_andn2_b32 s12, s12, exec_lo
	s_and_b32 s40, s40, exec_lo
	s_or_b32 s12, s12, s40
	s_or_b32 exec_lo, exec_lo, s29
	s_and_saveexec_b32 s29, s12
	s_cbranch_execnz .LBB6_9765
	s_branch .LBB6_9766
.LBB6_10173:                            ;   in Loop: Header=BB6_8809 Depth=2
	s_or_saveexec_b32 s29, s29
	v_mov_b32_e32 v2, 0x7f800001
	s_xor_b32 exec_lo, exec_lo, s29
	s_cbranch_execz .LBB6_9770
.LBB6_10174:                            ;   in Loop: Header=BB6_8809 Depth=2
	v_cmp_ne_u16_sdwa s40, v37, v30 src0_sel:BYTE_0 src1_sel:DWORD
	v_mov_b32_e32 v2, 0
	s_andn2_b32 s12, s12, exec_lo
	s_and_b32 s40, s40, exec_lo
	s_or_b32 s12, s12, s40
	s_or_b32 exec_lo, exec_lo, s29
	s_and_saveexec_b32 s29, s12
	s_cbranch_execnz .LBB6_9771
	s_branch .LBB6_9772
.LBB6_10175:                            ;   in Loop: Header=BB6_8809 Depth=2
	s_or_saveexec_b32 s29, s29
	v_mov_b32_e32 v39, 0x7f800001
	s_xor_b32 exec_lo, exec_lo, s29
	s_cbranch_execz .LBB6_9786
.LBB6_10176:                            ;   in Loop: Header=BB6_8809 Depth=2
	v_cmp_ne_u16_sdwa s40, v36, v30 src0_sel:BYTE_0 src1_sel:DWORD
	v_mov_b32_e32 v39, 0
	s_andn2_b32 s12, s12, exec_lo
	s_and_b32 s40, s40, exec_lo
	s_or_b32 s12, s12, s40
	s_or_b32 exec_lo, exec_lo, s29
	s_and_saveexec_b32 s29, s12
	s_cbranch_execnz .LBB6_9787
	s_branch .LBB6_9788
.LBB6_10177:                            ;   in Loop: Header=BB6_8809 Depth=2
	s_or_saveexec_b32 s29, s29
	v_mov_b32_e32 v2, 0x7f800001
	s_xor_b32 exec_lo, exec_lo, s29
	s_cbranch_execz .LBB6_9792
.LBB6_10178:                            ;   in Loop: Header=BB6_8809 Depth=2
	v_cmp_ne_u16_sdwa s40, v34, v30 src0_sel:BYTE_0 src1_sel:DWORD
	v_mov_b32_e32 v2, 0
	s_andn2_b32 s12, s12, exec_lo
	s_and_b32 s40, s40, exec_lo
	s_or_b32 s12, s12, s40
	s_or_b32 exec_lo, exec_lo, s29
	s_and_saveexec_b32 s29, s12
	s_cbranch_execnz .LBB6_9793
	s_branch .LBB6_9794
.LBB6_10179:                            ;   in Loop: Header=BB6_8809 Depth=2
	s_or_saveexec_b32 s29, s29
	v_mov_b32_e32 v39, 0x7f800001
	s_xor_b32 exec_lo, exec_lo, s29
	s_cbranch_execz .LBB6_9800
.LBB6_10180:                            ;   in Loop: Header=BB6_8809 Depth=2
	v_cmp_ne_u16_sdwa s40, v36, v30 src0_sel:BYTE_0 src1_sel:DWORD
	v_mov_b32_e32 v39, 0
	s_andn2_b32 s12, s12, exec_lo
	s_and_b32 s40, s40, exec_lo
	s_or_b32 s12, s12, s40
	s_or_b32 exec_lo, exec_lo, s29
	s_and_saveexec_b32 s29, s12
	s_cbranch_execnz .LBB6_9801
	s_branch .LBB6_9802
.LBB6_10181:                            ;   in Loop: Header=BB6_8809 Depth=2
	s_or_saveexec_b32 s29, s29
	v_mov_b32_e32 v2, 0x7f800001
	s_xor_b32 exec_lo, exec_lo, s29
	s_cbranch_execz .LBB6_9806
.LBB6_10182:                            ;   in Loop: Header=BB6_8809 Depth=2
	v_cmp_ne_u16_sdwa s40, v34, v30 src0_sel:BYTE_0 src1_sel:DWORD
	v_mov_b32_e32 v2, 0
	s_andn2_b32 s12, s12, exec_lo
	s_and_b32 s40, s40, exec_lo
	s_or_b32 s12, s12, s40
	s_or_b32 exec_lo, exec_lo, s29
	s_and_saveexec_b32 s29, s12
	s_cbranch_execnz .LBB6_9807
	s_branch .LBB6_9808
.LBB6_10183:                            ;   in Loop: Header=BB6_8809 Depth=2
	s_or_saveexec_b32 s29, s29
	v_mov_b32_e32 v36, 0x7f800001
	s_xor_b32 exec_lo, exec_lo, s29
	s_cbranch_execz .LBB6_9822
.LBB6_10184:                            ;   in Loop: Header=BB6_8809 Depth=2
	v_cmp_ne_u16_sdwa s40, v33, v30 src0_sel:BYTE_0 src1_sel:DWORD
	v_mov_b32_e32 v36, 0
	s_andn2_b32 s12, s12, exec_lo
	s_and_b32 s40, s40, exec_lo
	s_or_b32 s12, s12, s40
	s_or_b32 exec_lo, exec_lo, s29
	s_and_saveexec_b32 s29, s12
	s_cbranch_execnz .LBB6_9823
	s_branch .LBB6_9824
.LBB6_10185:                            ;   in Loop: Header=BB6_8809 Depth=2
	s_or_saveexec_b32 s29, s29
	v_mov_b32_e32 v2, 0x7f800001
	s_xor_b32 exec_lo, exec_lo, s29
	s_cbranch_execz .LBB6_9828
.LBB6_10186:                            ;   in Loop: Header=BB6_8809 Depth=2
	v_cmp_ne_u16_sdwa s40, v29, v30 src0_sel:BYTE_0 src1_sel:DWORD
	v_mov_b32_e32 v2, 0
	s_andn2_b32 s12, s12, exec_lo
	s_and_b32 s40, s40, exec_lo
	s_or_b32 s12, s12, s40
	s_or_b32 exec_lo, exec_lo, s29
	s_and_saveexec_b32 s29, s12
	s_cbranch_execnz .LBB6_9829
	s_branch .LBB6_9830
.LBB6_10187:                            ;   in Loop: Header=BB6_8809 Depth=2
	s_or_saveexec_b32 s29, s29
	v_mov_b32_e32 v36, 0x7f800001
	s_xor_b32 exec_lo, exec_lo, s29
	s_cbranch_execz .LBB6_9836
.LBB6_10188:                            ;   in Loop: Header=BB6_8809 Depth=2
	v_cmp_ne_u16_sdwa s40, v33, v30 src0_sel:BYTE_0 src1_sel:DWORD
	v_mov_b32_e32 v36, 0
	s_andn2_b32 s12, s12, exec_lo
	s_and_b32 s40, s40, exec_lo
	s_or_b32 s12, s12, s40
	s_or_b32 exec_lo, exec_lo, s29
	s_and_saveexec_b32 s29, s12
	s_cbranch_execnz .LBB6_9837
	s_branch .LBB6_9838
.LBB6_10189:                            ;   in Loop: Header=BB6_8809 Depth=2
	s_or_saveexec_b32 s29, s29
	v_mov_b32_e32 v2, 0x7f800001
	s_xor_b32 exec_lo, exec_lo, s29
	s_cbranch_execz .LBB6_9842
.LBB6_10190:                            ;   in Loop: Header=BB6_8809 Depth=2
	v_cmp_ne_u16_sdwa s40, v29, v30 src0_sel:BYTE_0 src1_sel:DWORD
	v_mov_b32_e32 v2, 0
	s_andn2_b32 s12, s12, exec_lo
	s_and_b32 s40, s40, exec_lo
	s_or_b32 s12, s12, s40
	s_or_b32 exec_lo, exec_lo, s29
	s_and_saveexec_b32 s29, s12
	s_cbranch_execnz .LBB6_9843
	s_branch .LBB6_9844
.LBB6_10191:                            ;   in Loop: Header=BB6_8809 Depth=2
	s_or_saveexec_b32 s29, s29
	v_mov_b32_e32 v33, 0x7f800001
	s_xor_b32 exec_lo, exec_lo, s29
	s_cbranch_execz .LBB6_9858
.LBB6_10192:                            ;   in Loop: Header=BB6_8809 Depth=2
	v_cmp_ne_u16_sdwa s40, v28, v30 src0_sel:BYTE_0 src1_sel:DWORD
	v_mov_b32_e32 v33, 0
	s_andn2_b32 s12, s12, exec_lo
	s_and_b32 s40, s40, exec_lo
	s_or_b32 s12, s12, s40
	s_or_b32 exec_lo, exec_lo, s29
	s_and_saveexec_b32 s29, s12
	s_cbranch_execnz .LBB6_9859
	s_branch .LBB6_9860
.LBB6_10193:                            ;   in Loop: Header=BB6_8809 Depth=2
	s_or_saveexec_b32 s29, s29
	v_mov_b32_e32 v2, 0x7f800001
	s_xor_b32 exec_lo, exec_lo, s29
	s_cbranch_execz .LBB6_9864
.LBB6_10194:                            ;   in Loop: Header=BB6_8809 Depth=2
	v_cmp_ne_u16_sdwa s40, v27, v30 src0_sel:BYTE_0 src1_sel:DWORD
	v_mov_b32_e32 v2, 0
	s_andn2_b32 s12, s12, exec_lo
	s_and_b32 s40, s40, exec_lo
	s_or_b32 s12, s12, s40
	s_or_b32 exec_lo, exec_lo, s29
	s_and_saveexec_b32 s29, s12
	s_cbranch_execnz .LBB6_9865
	s_branch .LBB6_9866
.LBB6_10195:                            ;   in Loop: Header=BB6_8809 Depth=2
	s_or_saveexec_b32 s29, s29
	v_mov_b32_e32 v33, 0x7f800001
	s_xor_b32 exec_lo, exec_lo, s29
	s_cbranch_execz .LBB6_9872
.LBB6_10196:                            ;   in Loop: Header=BB6_8809 Depth=2
	v_cmp_ne_u16_sdwa s40, v28, v30 src0_sel:BYTE_0 src1_sel:DWORD
	v_mov_b32_e32 v33, 0
	s_andn2_b32 s12, s12, exec_lo
	s_and_b32 s40, s40, exec_lo
	s_or_b32 s12, s12, s40
	s_or_b32 exec_lo, exec_lo, s29
	s_and_saveexec_b32 s29, s12
	s_cbranch_execnz .LBB6_9873
	s_branch .LBB6_9874
.LBB6_10197:                            ;   in Loop: Header=BB6_8809 Depth=2
	s_or_saveexec_b32 s29, s29
	v_mov_b32_e32 v2, 0x7f800001
	s_xor_b32 exec_lo, exec_lo, s29
	s_cbranch_execz .LBB6_9878
.LBB6_10198:                            ;   in Loop: Header=BB6_8809 Depth=2
	v_cmp_ne_u16_sdwa s40, v27, v30 src0_sel:BYTE_0 src1_sel:DWORD
	v_mov_b32_e32 v2, 0
	s_andn2_b32 s12, s12, exec_lo
	s_and_b32 s40, s40, exec_lo
	s_or_b32 s12, s12, s40
	s_or_b32 exec_lo, exec_lo, s29
	s_and_saveexec_b32 s29, s12
	s_cbranch_execnz .LBB6_9879
	s_branch .LBB6_9880
.LBB6_10199:                            ;   in Loop: Header=BB6_8809 Depth=2
	s_or_saveexec_b32 s29, s29
	v_mov_b32_e32 v28, 0x7f800001
	s_xor_b32 exec_lo, exec_lo, s29
	s_cbranch_execz .LBB6_9894
.LBB6_10200:                            ;   in Loop: Header=BB6_8809 Depth=2
	v_cmp_ne_u16_sdwa s40, v25, v30 src0_sel:BYTE_0 src1_sel:DWORD
	v_mov_b32_e32 v28, 0
	s_andn2_b32 s12, s12, exec_lo
	s_and_b32 s40, s40, exec_lo
	s_or_b32 s12, s12, s40
	s_or_b32 exec_lo, exec_lo, s29
	s_and_saveexec_b32 s29, s12
	s_cbranch_execnz .LBB6_9895
	s_branch .LBB6_9896
.LBB6_10201:                            ;   in Loop: Header=BB6_8809 Depth=2
	s_or_saveexec_b32 s29, s29
	v_mov_b32_e32 v2, 0x7f800001
	s_xor_b32 exec_lo, exec_lo, s29
	s_cbranch_execz .LBB6_9900
.LBB6_10202:                            ;   in Loop: Header=BB6_8809 Depth=2
	v_cmp_ne_u16_sdwa s40, v24, v30 src0_sel:BYTE_0 src1_sel:DWORD
	v_mov_b32_e32 v2, 0
	s_andn2_b32 s12, s12, exec_lo
	s_and_b32 s40, s40, exec_lo
	s_or_b32 s12, s12, s40
	s_or_b32 exec_lo, exec_lo, s29
	s_and_saveexec_b32 s29, s12
	s_cbranch_execnz .LBB6_9901
	s_branch .LBB6_9902
.LBB6_10203:                            ;   in Loop: Header=BB6_8809 Depth=2
	s_or_saveexec_b32 s29, s29
	v_mov_b32_e32 v28, 0x7f800001
	s_xor_b32 exec_lo, exec_lo, s29
	s_cbranch_execz .LBB6_9908
.LBB6_10204:                            ;   in Loop: Header=BB6_8809 Depth=2
	v_cmp_ne_u16_sdwa s40, v25, v30 src0_sel:BYTE_0 src1_sel:DWORD
	v_mov_b32_e32 v28, 0
	s_andn2_b32 s12, s12, exec_lo
	s_and_b32 s40, s40, exec_lo
	s_or_b32 s12, s12, s40
	s_or_b32 exec_lo, exec_lo, s29
	s_and_saveexec_b32 s29, s12
	s_cbranch_execnz .LBB6_9909
	s_branch .LBB6_9910
.LBB6_10205:                            ;   in Loop: Header=BB6_8809 Depth=2
	s_or_saveexec_b32 s29, s29
	v_mov_b32_e32 v2, 0x7f800001
	s_xor_b32 exec_lo, exec_lo, s29
	s_cbranch_execz .LBB6_9914
.LBB6_10206:                            ;   in Loop: Header=BB6_8809 Depth=2
	v_cmp_ne_u16_sdwa s40, v24, v30 src0_sel:BYTE_0 src1_sel:DWORD
	v_mov_b32_e32 v2, 0
	s_andn2_b32 s12, s12, exec_lo
	s_and_b32 s40, s40, exec_lo
	s_or_b32 s12, s12, s40
	s_or_b32 exec_lo, exec_lo, s29
	s_and_saveexec_b32 s29, s12
	s_cbranch_execnz .LBB6_9915
	s_branch .LBB6_9916
.LBB6_10207:                            ;   in Loop: Header=BB6_8809 Depth=2
	s_or_saveexec_b32 s29, s29
	v_mov_b32_e32 v25, 0x7f800001
	s_xor_b32 exec_lo, exec_lo, s29
	s_cbranch_execz .LBB6_9930
.LBB6_10208:                            ;   in Loop: Header=BB6_8809 Depth=2
	v_cmp_ne_u16_sdwa s40, v22, v30 src0_sel:BYTE_0 src1_sel:DWORD
	v_mov_b32_e32 v25, 0
	s_andn2_b32 s12, s12, exec_lo
	s_and_b32 s40, s40, exec_lo
	s_or_b32 s12, s12, s40
	s_or_b32 exec_lo, exec_lo, s29
	s_and_saveexec_b32 s29, s12
	s_cbranch_execnz .LBB6_9931
	s_branch .LBB6_9932
.LBB6_10209:                            ;   in Loop: Header=BB6_8809 Depth=2
	s_or_saveexec_b32 s29, s29
	v_mov_b32_e32 v2, 0x7f800001
	s_xor_b32 exec_lo, exec_lo, s29
	s_cbranch_execz .LBB6_9936
.LBB6_10210:                            ;   in Loop: Header=BB6_8809 Depth=2
	v_cmp_ne_u16_sdwa s40, v21, v30 src0_sel:BYTE_0 src1_sel:DWORD
	v_mov_b32_e32 v2, 0
	s_andn2_b32 s12, s12, exec_lo
	s_and_b32 s40, s40, exec_lo
	s_or_b32 s12, s12, s40
	s_or_b32 exec_lo, exec_lo, s29
	s_and_saveexec_b32 s29, s12
	s_cbranch_execnz .LBB6_9937
	s_branch .LBB6_9938
.LBB6_10211:                            ;   in Loop: Header=BB6_8809 Depth=2
	s_or_saveexec_b32 s29, s29
	v_mov_b32_e32 v25, 0x7f800001
	s_xor_b32 exec_lo, exec_lo, s29
	s_cbranch_execz .LBB6_9944
.LBB6_10212:                            ;   in Loop: Header=BB6_8809 Depth=2
	v_cmp_ne_u16_sdwa s40, v22, v30 src0_sel:BYTE_0 src1_sel:DWORD
	v_mov_b32_e32 v25, 0
	s_andn2_b32 s12, s12, exec_lo
	s_and_b32 s40, s40, exec_lo
	s_or_b32 s12, s12, s40
	s_or_b32 exec_lo, exec_lo, s29
	s_and_saveexec_b32 s29, s12
	s_cbranch_execnz .LBB6_9945
	s_branch .LBB6_9946
.LBB6_10213:                            ;   in Loop: Header=BB6_8809 Depth=2
	s_or_saveexec_b32 s29, s29
	v_mov_b32_e32 v2, 0x7f800001
	s_xor_b32 exec_lo, exec_lo, s29
	s_cbranch_execz .LBB6_9950
.LBB6_10214:                            ;   in Loop: Header=BB6_8809 Depth=2
	v_cmp_ne_u16_sdwa s40, v21, v30 src0_sel:BYTE_0 src1_sel:DWORD
	v_mov_b32_e32 v2, 0
	s_andn2_b32 s12, s12, exec_lo
	s_and_b32 s40, s40, exec_lo
	s_or_b32 s12, s12, s40
	s_or_b32 exec_lo, exec_lo, s29
	s_and_saveexec_b32 s29, s12
	s_cbranch_execnz .LBB6_9951
	s_branch .LBB6_9952
.LBB6_10215:                            ;   in Loop: Header=BB6_5201 Depth=1
	s_or_b32 exec_lo, exec_lo, s28
.LBB6_10216:                            ;   in Loop: Header=BB6_5201 Depth=1
	s_or_b32 exec_lo, exec_lo, s26
	v_and_b32_e32 v2, 0xfffffc00, v17
	v_cmp_ne_u32_e32 vcc_lo, v17, v2
	s_and_b32 exec_lo, exec_lo, vcc_lo
	s_cbranch_execz .LBB6_10264
; %bb.10217:                            ;   in Loop: Header=BB6_5201 Depth=1
	v_lshlrev_b32_e32 v3, 5, v19
	v_lshlrev_b32_e32 v10, 5, v20
	v_sub_nc_u32_e32 v3, v18, v3
	v_sub_nc_u32_e32 v3, v3, v10
	v_and_b32_e32 v10, 0x3ff, v17
	v_sub_nc_u32_e32 v17, v10, v3
	v_cmp_lt_i32_e32 vcc_lo, 0, v17
	s_and_b32 exec_lo, exec_lo, vcc_lo
	s_cbranch_execz .LBB6_10264
; %bb.10218:                            ;   in Loop: Header=BB6_5201 Depth=1
	s_trap 2
	ds_read_b128 v[10:13], v0
	ds_read_b64 v[14:15], v0
	v_add3_u32 v2, v2, v16, v3
	s_bitcmp1_b32 s25, 0
	s_mov_b32 s25, 0
	s_cselect_b32 s26, -1, 0
	v_ashrrev_i32_e32 v3, 31, v2
	s_waitcnt lgkmcnt(1)
	v_add_co_u32 v10, vcc_lo, v10, v2
	v_add_co_ci_u32_e64 v11, null, v11, v3, vcc_lo
	v_add_co_u32 v12, vcc_lo, v12, v2
	v_add_co_ci_u32_e64 v13, null, v13, v3, vcc_lo
	s_waitcnt lgkmcnt(0)
	v_add_co_u32 v14, vcc_lo, v14, v2
	v_add_co_ci_u32_e64 v15, null, v15, v3, vcc_lo
	s_branch .LBB6_10222
.LBB6_10219:                            ;   in Loop: Header=BB6_10222 Depth=2
	s_or_b32 exec_lo, exec_lo, s12
	v_lshrrev_b32_e32 v2, 21, v18
	v_cmp_gt_i32_e32 vcc_lo, 32, v16
	v_min_i32_e32 v3, 31, v16
	v_and_b32_sdwa v18, v20, v44 dst_sel:DWORD dst_unused:UNUSED_PAD src0_sel:BYTE_3 src1_sel:DWORD
	v_cndmask_b32_e32 v2, 3, v2, vcc_lo
	v_lshlrev_b32_e32 v3, 2, v3
	v_and_b32_e32 v19, 3, v2
	v_or_b32_e32 v2, v16, v2
	v_or3_b32 v3, v3, v18, v19
	v_cmp_ne_u32_e32 vcc_lo, 0, v2
	v_cndmask_b32_e32 v2, 0, v3, vcc_lo
.LBB6_10220:                            ;   in Loop: Header=BB6_10222 Depth=2
	s_or_b32 exec_lo, exec_lo, s28
.LBB6_10221:                            ;   in Loop: Header=BB6_10222 Depth=2
	s_or_b32 exec_lo, exec_lo, s27
	v_sub_nc_u32_e32 v17, v17, v41
	v_add_co_u32 v10, vcc_lo, v10, v41
	v_add_co_ci_u32_e64 v11, null, 0, v11, vcc_lo
	v_add_co_u32 v12, vcc_lo, v12, v41
	flat_store_byte v[14:15], v2 glc slc
	v_add_co_ci_u32_e64 v13, null, 0, v13, vcc_lo
	v_cmp_gt_i32_e32 vcc_lo, 1, v17
	v_add_co_u32 v14, s12, v14, v41
	v_add_co_ci_u32_e64 v15, null, 0, v15, s12
	s_or_b32 s25, vcc_lo, s25
	s_andn2_b32 exec_lo, exec_lo, s25
	s_cbranch_execz .LBB6_10264
.LBB6_10222:                            ;   Parent Loop BB6_5201 Depth=1
                                        ; =>  This Inner Loop Header: Depth=2
	flat_load_ubyte v18, v[12:13] slc
	flat_load_ubyte v19, v[10:11] slc
	s_mov_b32 s12, -1
	s_waitcnt vmcnt(1) lgkmcnt(1)
	v_and_b32_e32 v2, 3, v18
	v_bfe_u32 v20, v18, 2, 5
	v_lshlrev_b32_e32 v21, 24, v18
	s_waitcnt vmcnt(0) lgkmcnt(0)
	v_cmp_gt_i16_sdwa s27, v19, v43 src0_sel:BYTE_0 src1_sel:DWORD
	v_ffbh_u32_e32 v3, v2
	v_cmp_eq_u32_e32 vcc_lo, 0, v20
	v_min_u32_e32 v3, 32, v3
	v_subrev_nc_u32_e32 v16, 29, v3
	v_sub_nc_u32_e32 v3, 30, v3
	v_lshlrev_b32_e32 v16, v16, v18
	v_cndmask_b32_e32 v3, v20, v3, vcc_lo
                                        ; implicit-def: $vgpr20
	v_and_b32_e32 v16, 3, v16
	v_lshl_add_u32 v3, v3, 23, 0x37800000
	v_cndmask_b32_e32 v2, v2, v16, vcc_lo
	v_and_b32_e32 v16, 0x80000000, v21
	s_and_b32 vcc_lo, exec_lo, s26
	v_lshlrev_b32_e32 v2, 21, v2
	v_or3_b32 v16, v16, v3, v2
	s_cbranch_vccz .LBB6_10236
; %bb.10223:                            ;   in Loop: Header=BB6_10222 Depth=2
	s_mov_b32 s12, 0
	s_and_saveexec_b32 s28, s27
	s_xor_b32 s27, exec_lo, s28
	s_cbranch_execz .LBB6_10256
; %bb.10224:                            ;   in Loop: Header=BB6_10222 Depth=2
	v_cmp_eq_u16_sdwa s29, v19, v44 src0_sel:BYTE_0 src1_sel:DWORD
	s_mov_b32 s12, -1
	s_and_saveexec_b32 s28, s29
; %bb.10225:                            ;   in Loop: Header=BB6_10222 Depth=2
	s_xor_b32 s12, exec_lo, -1
; %bb.10226:                            ;   in Loop: Header=BB6_10222 Depth=2
	s_or_b32 exec_lo, exec_lo, s28
	s_and_b32 s12, s12, exec_lo
	s_or_saveexec_b32 s27, s27
	v_mov_b32_e32 v20, 0x7f800001
	s_xor_b32 exec_lo, exec_lo, s27
	s_cbranch_execnz .LBB6_10257
.LBB6_10227:                            ;   in Loop: Header=BB6_10222 Depth=2
	s_or_b32 exec_lo, exec_lo, s27
	s_and_saveexec_b32 s27, s12
	s_cbranch_execz .LBB6_10229
.LBB6_10228:                            ;   in Loop: Header=BB6_10222 Depth=2
	v_and_b32_e32 v2, 3, v19
	v_lshrrev_b16 v20, 2, v19
	v_lshlrev_b32_e32 v22, 24, v19
	v_ffbh_u32_e32 v3, v2
	v_and_b32_e32 v20, 31, v20
	v_min_u32_e32 v3, 32, v3
	v_cmp_eq_u32_e32 vcc_lo, 0, v20
	v_subrev_nc_u32_e32 v21, 29, v3
	v_sub_nc_u32_e32 v3, 30, v3
	v_lshlrev_b32_e32 v21, v21, v19
	v_cndmask_b32_e32 v3, v20, v3, vcc_lo
	v_and_b32_e32 v20, 0x80000000, v22
	v_and_b32_e32 v21, 3, v21
	v_lshl_add_u32 v3, v3, 23, 0x37800000
	v_cndmask_b32_e32 v2, v2, v21, vcc_lo
	v_lshlrev_b32_e32 v2, 21, v2
	v_or3_b32 v20, v20, v3, v2
.LBB6_10229:                            ;   in Loop: Header=BB6_10222 Depth=2
	s_or_b32 exec_lo, exec_lo, s27
	v_cmp_gt_i16_sdwa s27, v18, v43 src0_sel:BYTE_0 src1_sel:DWORD
	s_mov_b32 s12, 0
	s_and_saveexec_b32 s28, s27
	s_xor_b32 s27, exec_lo, s28
	s_cbranch_execz .LBB6_10258
; %bb.10230:                            ;   in Loop: Header=BB6_10222 Depth=2
	v_cmp_eq_u16_sdwa s29, v18, v44 src0_sel:BYTE_0 src1_sel:DWORD
	s_mov_b32 s12, -1
	s_and_saveexec_b32 s28, s29
; %bb.10231:                            ;   in Loop: Header=BB6_10222 Depth=2
	s_xor_b32 s12, exec_lo, -1
; %bb.10232:                            ;   in Loop: Header=BB6_10222 Depth=2
	s_or_b32 exec_lo, exec_lo, s28
	s_and_b32 s12, s12, exec_lo
	s_or_saveexec_b32 s27, s27
	v_mov_b32_e32 v2, 0x7f800001
	s_xor_b32 exec_lo, exec_lo, s27
	s_cbranch_execnz .LBB6_10259
.LBB6_10233:                            ;   in Loop: Header=BB6_10222 Depth=2
	s_or_b32 exec_lo, exec_lo, s27
	s_and_saveexec_b32 s27, s12
.LBB6_10234:                            ;   in Loop: Header=BB6_10222 Depth=2
	v_mov_b32_e32 v2, v16
.LBB6_10235:                            ;   in Loop: Header=BB6_10222 Depth=2
	s_or_b32 exec_lo, exec_lo, s27
	v_max_f32_e32 v2, v2, v2
	v_max_f32_e32 v3, v20, v20
	s_mov_b32 s12, 0
	v_max_f32_e32 v20, v3, v2
.LBB6_10236:                            ;   in Loop: Header=BB6_10222 Depth=2
	s_and_b32 vcc_lo, exec_lo, s12
	s_cbranch_vccz .LBB6_10250
; %bb.10237:                            ;   in Loop: Header=BB6_10222 Depth=2
	v_cmp_gt_i16_sdwa s27, v19, v43 src0_sel:BYTE_0 src1_sel:DWORD
	s_mov_b32 s12, 0
	s_and_saveexec_b32 s28, s27
	s_xor_b32 s27, exec_lo, s28
	s_cbranch_execz .LBB6_10260
; %bb.10238:                            ;   in Loop: Header=BB6_10222 Depth=2
	v_cmp_eq_u16_sdwa s29, v19, v44 src0_sel:BYTE_0 src1_sel:DWORD
	s_mov_b32 s12, -1
	s_and_saveexec_b32 s28, s29
; %bb.10239:                            ;   in Loop: Header=BB6_10222 Depth=2
	s_xor_b32 s12, exec_lo, -1
; %bb.10240:                            ;   in Loop: Header=BB6_10222 Depth=2
	s_or_b32 exec_lo, exec_lo, s28
	s_and_b32 s12, s12, exec_lo
	s_or_saveexec_b32 s27, s27
	v_mov_b32_e32 v20, 0x7f800001
	s_xor_b32 exec_lo, exec_lo, s27
	s_cbranch_execnz .LBB6_10261
.LBB6_10241:                            ;   in Loop: Header=BB6_10222 Depth=2
	s_or_b32 exec_lo, exec_lo, s27
	s_and_saveexec_b32 s27, s12
	s_cbranch_execz .LBB6_10243
.LBB6_10242:                            ;   in Loop: Header=BB6_10222 Depth=2
	v_and_b32_e32 v2, 3, v19
	v_lshrrev_b16 v20, 2, v19
	v_ffbh_u32_e32 v3, v2
	v_and_b32_e32 v20, 31, v20
	v_min_u32_e32 v3, 32, v3
	v_cmp_eq_u32_e32 vcc_lo, 0, v20
	v_subrev_nc_u32_e32 v21, 29, v3
	v_sub_nc_u32_e32 v3, 30, v3
	v_lshlrev_b32_e32 v21, v21, v19
	v_lshlrev_b32_e32 v19, 24, v19
	v_cndmask_b32_e32 v3, v20, v3, vcc_lo
	v_and_b32_e32 v21, 3, v21
	v_and_b32_e32 v19, 0x80000000, v19
	v_lshl_add_u32 v3, v3, 23, 0x37800000
	v_cndmask_b32_e32 v2, v2, v21, vcc_lo
	v_lshlrev_b32_e32 v2, 21, v2
	v_or3_b32 v20, v19, v3, v2
.LBB6_10243:                            ;   in Loop: Header=BB6_10222 Depth=2
	s_or_b32 exec_lo, exec_lo, s27
	v_cmp_gt_i16_sdwa s27, v18, v43 src0_sel:BYTE_0 src1_sel:DWORD
	s_mov_b32 s12, 0
	s_and_saveexec_b32 s28, s27
	s_xor_b32 s27, exec_lo, s28
	s_cbranch_execz .LBB6_10262
; %bb.10244:                            ;   in Loop: Header=BB6_10222 Depth=2
	v_cmp_eq_u16_sdwa s29, v18, v44 src0_sel:BYTE_0 src1_sel:DWORD
	s_mov_b32 s12, -1
	s_and_saveexec_b32 s28, s29
; %bb.10245:                            ;   in Loop: Header=BB6_10222 Depth=2
	s_xor_b32 s12, exec_lo, -1
; %bb.10246:                            ;   in Loop: Header=BB6_10222 Depth=2
	s_or_b32 exec_lo, exec_lo, s28
	s_and_b32 s12, s12, exec_lo
                                        ; implicit-def: $vgpr18
	s_or_saveexec_b32 s27, s27
	v_mov_b32_e32 v2, 0x7f800001
	s_xor_b32 exec_lo, exec_lo, s27
	s_cbranch_execnz .LBB6_10263
.LBB6_10247:                            ;   in Loop: Header=BB6_10222 Depth=2
	s_or_b32 exec_lo, exec_lo, s27
	s_and_saveexec_b32 s27, s12
.LBB6_10248:                            ;   in Loop: Header=BB6_10222 Depth=2
	v_mov_b32_e32 v2, v16
.LBB6_10249:                            ;   in Loop: Header=BB6_10222 Depth=2
	s_or_b32 exec_lo, exec_lo, s27
	v_max_f32_e32 v2, v2, v2
	v_max_f32_e32 v3, v20, v20
	v_min_f32_e32 v20, v3, v2
.LBB6_10250:                            ;   in Loop: Header=BB6_10222 Depth=2
	v_and_b32_e32 v2, 0x7f800000, v20
	v_cmp_ne_u32_e32 vcc_lo, 0x7f800000, v2
	v_mov_b32_e32 v2, 0x80
	s_and_saveexec_b32 s27, vcc_lo
	s_cbranch_execz .LBB6_10221
; %bb.10251:                            ;   in Loop: Header=BB6_10222 Depth=2
	v_mov_b32_e32 v2, 0
	s_mov_b32 s28, exec_lo
	v_cmpx_ne_u32_e32 0, v20
	s_cbranch_execz .LBB6_10220
; %bb.10252:                            ;   in Loop: Header=BB6_10222 Depth=2
	v_bfe_u32 v2, v20, 23, 8
	v_and_b32_e32 v3, 0x7fffff, v20
	v_sub_nc_u32_e32 v16, 0x70, v2
	v_cmp_gt_u32_e32 vcc_lo, 0x71, v2
	v_or_b32_e32 v18, 0x800000, v3
	v_cndmask_b32_e32 v16, 0, v16, vcc_lo
	v_cmp_eq_u32_e32 vcc_lo, 0, v2
	v_add_nc_u32_e32 v2, 0xffffff91, v2
	v_cndmask_b32_e64 v16, v16, 0x6f, vcc_lo
	v_cndmask_b32_e32 v3, v18, v3, vcc_lo
	v_cndmask_b32_e64 v2, v2, 0xffffff92, vcc_lo
	v_lshl_add_u32 v19, 0x200000, v16, -1
	v_lshrrev_b32_e32 v18, v16, v3
	v_lshlrev_b32_e64 v22, v16, 0x100000
	v_add_nc_u32_e32 v2, v16, v2
	v_and_b32_e32 v3, v19, v3
	v_bfe_u32 v21, v18, 21, 1
	v_cmp_eq_u32_e64 s12, v3, v22
	v_add_nc_u32_e32 v19, -1, v21
	v_cndmask_b32_e64 v3, 0, v19, s12
	v_lshrrev_b32_e32 v19, 23, v18
	s_mov_b32 s12, exec_lo
	v_add_nc_u32_e32 v3, v3, v18
	v_and_b32_e32 v16, 0x1fffff, v3
	v_xor_b32_e32 v3, 1, v19
	v_add_nc_u32_e32 v18, v16, v18
                                        ; implicit-def: $vgpr16
	v_cmpx_ne_u32_e64 v2, v3
	s_xor_b32 s12, exec_lo, s12
; %bb.10253:                            ;   in Loop: Header=BB6_10222 Depth=2
	v_cmp_lt_u32_e32 vcc_lo, 0xffffff, v18
	v_sub_nc_u32_e32 v2, v2, v3
	v_cndmask_b32_e64 v3, 0, 1, vcc_lo
	v_add_co_ci_u32_e64 v16, null, 0, v2, vcc_lo
	v_lshrrev_b32_e32 v18, v3, v18
; %bb.10254:                            ;   in Loop: Header=BB6_10222 Depth=2
	s_andn2_saveexec_b32 s12, s12
	s_cbranch_execz .LBB6_10219
; %bb.10255:                            ;   in Loop: Header=BB6_10222 Depth=2
	v_bfe_u32 v16, v18, 23, 1
	s_branch .LBB6_10219
.LBB6_10256:                            ;   in Loop: Header=BB6_10222 Depth=2
	s_or_saveexec_b32 s27, s27
	v_mov_b32_e32 v20, 0x7f800001
	s_xor_b32 exec_lo, exec_lo, s27
	s_cbranch_execz .LBB6_10227
.LBB6_10257:                            ;   in Loop: Header=BB6_10222 Depth=2
	v_cmp_ne_u16_sdwa s28, v19, v30 src0_sel:BYTE_0 src1_sel:DWORD
	v_mov_b32_e32 v20, 0
	s_andn2_b32 s12, s12, exec_lo
	s_and_b32 s28, s28, exec_lo
	s_or_b32 s12, s12, s28
	s_or_b32 exec_lo, exec_lo, s27
	s_and_saveexec_b32 s27, s12
	s_cbranch_execnz .LBB6_10228
	s_branch .LBB6_10229
.LBB6_10258:                            ;   in Loop: Header=BB6_10222 Depth=2
	s_or_saveexec_b32 s27, s27
	v_mov_b32_e32 v2, 0x7f800001
	s_xor_b32 exec_lo, exec_lo, s27
	s_cbranch_execz .LBB6_10233
.LBB6_10259:                            ;   in Loop: Header=BB6_10222 Depth=2
	v_cmp_ne_u16_sdwa s28, v18, v30 src0_sel:BYTE_0 src1_sel:DWORD
	v_mov_b32_e32 v2, 0
	s_andn2_b32 s12, s12, exec_lo
	s_and_b32 s28, s28, exec_lo
	s_or_b32 s12, s12, s28
	s_or_b32 exec_lo, exec_lo, s27
	s_and_saveexec_b32 s27, s12
	s_cbranch_execnz .LBB6_10234
	s_branch .LBB6_10235
.LBB6_10260:                            ;   in Loop: Header=BB6_10222 Depth=2
	s_or_saveexec_b32 s27, s27
	v_mov_b32_e32 v20, 0x7f800001
	s_xor_b32 exec_lo, exec_lo, s27
	s_cbranch_execz .LBB6_10241
.LBB6_10261:                            ;   in Loop: Header=BB6_10222 Depth=2
	v_cmp_ne_u16_sdwa s28, v19, v30 src0_sel:BYTE_0 src1_sel:DWORD
	v_mov_b32_e32 v20, 0
	s_andn2_b32 s12, s12, exec_lo
	s_and_b32 s28, s28, exec_lo
	s_or_b32 s12, s12, s28
	s_or_b32 exec_lo, exec_lo, s27
	s_and_saveexec_b32 s27, s12
	s_cbranch_execnz .LBB6_10242
	s_branch .LBB6_10243
.LBB6_10262:                            ;   in Loop: Header=BB6_10222 Depth=2
	s_or_saveexec_b32 s27, s27
	v_mov_b32_e32 v2, 0x7f800001
	s_xor_b32 exec_lo, exec_lo, s27
	s_cbranch_execz .LBB6_10247
.LBB6_10263:                            ;   in Loop: Header=BB6_10222 Depth=2
	v_cmp_ne_u16_sdwa s28, v18, v30 src0_sel:BYTE_0 src1_sel:DWORD
	v_mov_b32_e32 v2, 0
	s_andn2_b32 s12, s12, exec_lo
	s_and_b32 s28, s28, exec_lo
	s_or_b32 s12, s12, s28
	s_or_b32 exec_lo, exec_lo, s27
	s_and_saveexec_b32 s27, s12
	s_cbranch_execnz .LBB6_10248
	s_branch .LBB6_10249
.LBB6_10264:                            ;   in Loop: Header=BB6_5201 Depth=1
	s_or_b32 exec_lo, exec_lo, s13
	v_cmp_ne_u32_e64 s12, 0, v57
	s_and_saveexec_b32 s13, s6
	s_cbranch_execz .LBB6_10283
.LBB6_10265:                            ;   in Loop: Header=BB6_5201 Depth=1
	s_and_saveexec_b32 s25, s19
	s_xor_b32 s25, exec_lo, s25
	s_cbranch_execz .LBB6_10280
; %bb.10266:                            ;   in Loop: Header=BB6_5201 Depth=1
	s_and_saveexec_b32 s26, s7
	s_cbranch_execz .LBB6_10279
; %bb.10267:                            ;   in Loop: Header=BB6_5201 Depth=1
	s_mov_b32 s28, exec_lo
	s_mov_b32 s27, exec_lo
	v_mbcnt_lo_u32_b32 v2, s28, 0
	s_waitcnt vmcnt(0) lgkmcnt(0)
	s_waitcnt_vscnt null, 0x0
	buffer_gl1_inv
	buffer_gl0_inv
	v_cmpx_eq_u32_e32 0, v2
	s_cbranch_execz .LBB6_10269
; %bb.10268:                            ;   in Loop: Header=BB6_5201 Depth=1
	s_bcnt1_i32_b32 s28, s28
	v_mov_b32_e32 v29, s28
	ds_add_u64 v0, v[29:30]
	s_trap 2
.LBB6_10269:                            ;   in Loop: Header=BB6_5201 Depth=1
	s_or_b32 exec_lo, exec_lo, s27
	s_trap 2
	ds_read_b64 v[2:3], v0
	s_waitcnt lgkmcnt(0)
	buffer_gl0_inv
	v_add_co_u32 v68, vcc_lo, v68, v113
	v_add_co_ci_u32_e64 v69, null, 0, v69, vcc_lo
	s_mov_b32 s27, exec_lo
	v_cmpx_lt_u64_e64 v[2:3], v[68:69]
	s_cbranch_execz .LBB6_10278
; %bb.10270:                            ;   in Loop: Header=BB6_5201 Depth=1
	s_mov_b32 s28, 0
	s_mov_b32 s41, 0
                                        ; implicit-def: $sgpr29
                                        ; implicit-def: $sgpr40
	s_inst_prefetch 0x1
	s_branch .LBB6_10272
	.p2align	6
.LBB6_10271:                            ;   in Loop: Header=BB6_10272 Depth=2
	s_or_b32 exec_lo, exec_lo, s43
	s_and_b32 s42, exec_lo, s44
	s_or_b32 s28, s42, s28
	s_andn2_b32 s29, s29, exec_lo
	s_and_b32 s42, s40, exec_lo
	s_or_b32 s29, s29, s42
	s_andn2_b32 exec_lo, exec_lo, s28
	s_cbranch_execz .LBB6_10276
.LBB6_10272:                            ;   Parent Loop BB6_5201 Depth=1
                                        ; =>  This Inner Loop Header: Depth=2
	s_add_i32 s41, s41, 1
	s_cmpk_lg_i32 s41, 0x2710
	s_cselect_b32 s42, -1, 0
	s_and_b32 vcc_lo, exec_lo, s42
	s_cbranch_vccz .LBB6_10274
; %bb.10273:                            ;   in Loop: Header=BB6_10272 Depth=2
	s_mov_b32 s44, -1
	s_or_b32 s40, s40, exec_lo
	s_and_saveexec_b32 s43, s42
	s_cbranch_execz .LBB6_10271
	s_branch .LBB6_10275
	.p2align	6
.LBB6_10274:                            ;   in Loop: Header=BB6_10272 Depth=2
	s_trap 2
	ds_read_b64 v[2:3], v0
	s_andn2_b32 s42, s42, exec_lo
	s_mov_b32 s41, 0
	s_waitcnt lgkmcnt(0)
	flat_load_dword v2, v[2:3] glc dlc
	s_waitcnt vmcnt(0) lgkmcnt(0)
	buffer_gl1_inv
	buffer_gl0_inv
	v_cmp_eq_u32_e32 vcc_lo, 0, v2
	s_and_b32 s43, vcc_lo, exec_lo
	s_or_b32 s42, s42, s43
	s_mov_b32 s44, -1
	s_or_b32 s40, s40, exec_lo
	s_and_saveexec_b32 s43, s42
	s_cbranch_execz .LBB6_10271
.LBB6_10275:                            ;   in Loop: Header=BB6_10272 Depth=2
	s_sleep 1
	s_trap 2
	ds_read_b64 v[2:3], v0
	s_waitcnt lgkmcnt(0)
	buffer_gl0_inv
	s_andn2_b32 s40, s40, exec_lo
	v_cmp_ge_u64_e32 vcc_lo, v[2:3], v[68:69]
	s_orn2_b32 s44, vcc_lo, exec_lo
	s_branch .LBB6_10271
.LBB6_10276:                            ;   in Loop: Header=BB6_5201 Depth=1
	s_inst_prefetch 0x2
	s_or_b32 exec_lo, exec_lo, s28
	s_and_saveexec_b32 s28, s29
	s_xor_b32 s28, exec_lo, s28
	s_cbranch_execz .LBB6_10278
; %bb.10277:                            ;   in Loop: Header=BB6_5201 Depth=1
	v_mov_b32_e32 v2, 1
	ds_write_b32 v0, v2
	s_trap 2
.LBB6_10278:                            ;   in Loop: Header=BB6_5201 Depth=1
	s_or_b32 exec_lo, exec_lo, s27
	;;#ASMSTART
	s_wakeup
	;;#ASMEND
.LBB6_10279:                            ;   in Loop: Header=BB6_5201 Depth=1
	s_or_b32 exec_lo, exec_lo, s26
.LBB6_10280:                            ;   in Loop: Header=BB6_5201 Depth=1
	s_andn2_saveexec_b32 s25, s25
	s_cbranch_execz .LBB6_10282
; %bb.10281:                            ;   in Loop: Header=BB6_5201 Depth=1
	s_waitcnt vmcnt(0) lgkmcnt(0)
	s_waitcnt_vscnt null, 0x0
	buffer_gl1_inv
	buffer_gl0_inv
	s_barrier
.LBB6_10282:                            ;   in Loop: Header=BB6_5201 Depth=1
	s_or_b32 exec_lo, exec_lo, s25
.LBB6_10283:                            ;   in Loop: Header=BB6_5201 Depth=1
	s_or_b32 exec_lo, exec_lo, s13
	v_and_b32_e32 v2, 16, v117
	v_cmp_ne_u32_e32 vcc_lo, 0, v2
	s_and_b32 s13, vcc_lo, s12
	s_and_saveexec_b32 s12, s13
	s_cbranch_execz .LBB6_10285
; %bb.10284:                            ;   in Loop: Header=BB6_5201 Depth=1
	s_waitcnt vmcnt(0) lgkmcnt(0)
	s_waitcnt_vscnt null, 0x0
	buffer_gl1_inv
	buffer_gl0_inv
.LBB6_10285:                            ;   in Loop: Header=BB6_5201 Depth=1
	s_or_b32 exec_lo, exec_lo, s12
	v_and_b32_e32 v2, 32, v117
	s_mov_b32 s12, exec_lo
	v_cmpx_ne_u32_e32 0, v2
	s_cbranch_execz .LBB6_10287
; %bb.10286:                            ;   in Loop: Header=BB6_5201 Depth=1
	v_add_co_u32 v8, vcc_lo, v8, 1
	v_add_co_ci_u32_e64 v9, null, 0, v9, vcc_lo
	s_waitcnt vmcnt(0) lgkmcnt(0)
	s_waitcnt_vscnt null, 0x0
	flat_store_dwordx2 v[64:65], v[8:9]
.LBB6_10287:                            ;   in Loop: Header=BB6_5201 Depth=1
	s_or_b32 exec_lo, exec_lo, s12
	v_mov_b32_e32 v14, v56
.LBB6_10288:                            ;   in Loop: Header=BB6_5201 Depth=1
	s_or_b32 exec_lo, exec_lo, s24
	s_and_saveexec_b32 s13, s23
	s_cbranch_execnz .LBB6_10289
; %bb.10586:                            ;   in Loop: Header=BB6_5201 Depth=1
	s_getpc_b64 s[34:35]
.Lpost_getpc22:
	s_add_u32 s34, s34, (.LBB6_5200-.Lpost_getpc22)&4294967295
	s_addc_u32 s35, s35, (.LBB6_5200-.Lpost_getpc22)>>32
	s_setpc_b64 s[34:35]
.LBB6_10289:                            ;   in Loop: Header=BB6_5201 Depth=1
	v_and_b32_e32 v2, 4, v117
	s_mov_b32 s23, exec_lo
	v_cmpx_ne_u32_e32 0, v2
	s_cbranch_execz .LBB6_10311
; %bb.10290:                            ;   in Loop: Header=BB6_5201 Depth=1
	s_waitcnt lgkmcnt(0)
	v_add_co_u32 v10, vcc_lo, v8, 1
	v_add_co_ci_u32_e64 v11, null, 0, v9, vcc_lo
	s_mov_b32 s24, exec_lo
	s_waitcnt vmcnt(0)
	v_cmpx_lt_u64_e64 v[70:71], v[10:11]
	s_cbranch_execz .LBB6_10302
; %bb.10291:                            ;   in Loop: Header=BB6_5201 Depth=1
	v_and_b32_e32 v2, 64, v117
	s_mov_b32 s25, 0
	s_mov_b32 s29, 0
                                        ; implicit-def: $sgpr26
                                        ; implicit-def: $sgpr27
                                        ; implicit-def: $sgpr28
	v_cmp_eq_u32_e32 vcc_lo, 0, v2
	s_branch .LBB6_10295
.LBB6_10292:                            ;   in Loop: Header=BB6_10295 Depth=2
	s_waitcnt vmcnt(0) lgkmcnt(0)
	v_cmp_ge_u64_e64 s12, v[70:71], v[10:11]
	s_or_b32 s42, s42, exec_lo
	s_orn2_b32 s41, s12, exec_lo
.LBB6_10293:                            ;   in Loop: Header=BB6_10295 Depth=2
	s_or_b32 exec_lo, exec_lo, s44
	s_andn2_b32 s12, s28, exec_lo
	s_and_b32 s28, s42, exec_lo
	s_andn2_b32 s27, s27, exec_lo
	s_and_b32 s41, s41, exec_lo
	s_or_b32 s28, s12, s28
	s_or_b32 s27, s27, s41
.LBB6_10294:                            ;   in Loop: Header=BB6_10295 Depth=2
	s_or_b32 exec_lo, exec_lo, s40
	s_and_b32 s12, exec_lo, s27
	s_or_b32 s25, s12, s25
	s_andn2_b32 s12, s26, exec_lo
	s_and_b32 s26, s28, exec_lo
	s_or_b32 s26, s12, s26
	s_andn2_b32 exec_lo, exec_lo, s25
	s_cbranch_execz .LBB6_10299
.LBB6_10295:                            ;   Parent Loop BB6_5201 Depth=1
                                        ; =>  This Inner Loop Header: Depth=2
	s_sleep 1
	s_waitcnt vmcnt(0) lgkmcnt(0)
	flat_load_dwordx2 v[70:71], v[64:65] glc dlc
	s_or_b32 s28, s28, exec_lo
	s_or_b32 s27, s27, exec_lo
                                        ; implicit-def: $vgpr9
	s_and_saveexec_b32 s40, vcc_lo
	s_cbranch_execz .LBB6_10294
; %bb.10296:                            ;   in Loop: Header=BB6_10295 Depth=2
	s_cmpk_lt_i32 s29, 0x270f
	s_mov_b32 s41, -1
	s_cselect_b32 s43, -1, 0
	s_cmpk_gt_i32 s29, 0x270e
	s_cbranch_scc0 .LBB6_10298
; %bb.10297:                            ;   in Loop: Header=BB6_10295 Depth=2
	s_trap 2
	ds_read_b64 v[2:3], v0
	s_andn2_b32 s29, s43, exec_lo
	s_mov_b32 s42, 0
	s_waitcnt vmcnt(0) lgkmcnt(0)
	s_waitcnt_vscnt null, 0x0
	flat_load_dword v9, v[2:3] glc dlc
	s_waitcnt vmcnt(0) lgkmcnt(0)
	buffer_gl1_inv
	buffer_gl0_inv
	v_cmp_eq_u32_e64 s12, 0, v9
	s_and_b32 s12, s12, exec_lo
	s_or_b32 s43, s29, s12
	s_mov_b32 s29, 0
	s_and_saveexec_b32 s44, s43
	s_cbranch_execz .LBB6_10293
	s_branch .LBB6_10292
.LBB6_10298:                            ;   in Loop: Header=BB6_10295 Depth=2
	s_add_i32 s29, s29, 1
	s_mov_b32 s42, -1
                                        ; implicit-def: $vgpr9
	s_and_saveexec_b32 s44, s43
	s_cbranch_execz .LBB6_10293
	s_branch .LBB6_10292
.LBB6_10299:                            ;   in Loop: Header=BB6_5201 Depth=1
	s_or_b32 exec_lo, exec_lo, s25
	s_xor_b32 s12, s26, -1
	s_and_saveexec_b32 s25, s12
	s_xor_b32 s12, exec_lo, s25
	s_cbranch_execz .LBB6_10301
; %bb.10300:                            ;   in Loop: Header=BB6_5201 Depth=1
	v_or_b32_e32 v117, 64, v117
	s_waitcnt vmcnt(0) lgkmcnt(0)
	s_waitcnt_vscnt null, 0x0
	ds_write_b32 v0, v9
	s_trap 2
.LBB6_10301:                            ;   in Loop: Header=BB6_5201 Depth=1
	s_or_b32 exec_lo, exec_lo, s12
.LBB6_10302:                            ;   in Loop: Header=BB6_5201 Depth=1
	s_or_b32 exec_lo, exec_lo, s24
	v_and_b32_e32 v2, 0x100, v117
	v_and_b32_e32 v15, 7, v8
	s_mov_b32 s12, -1
	s_mov_b32 s24, exec_lo
	;;#ASMSTART
	s_wakeup
	;;#ASMEND
                                        ; implicit-def: $vgpr8_vgpr9
	v_cmpx_ne_u32_e32 0, v2
	s_cbranch_execz .LBB6_10306
; %bb.10303:                            ;   in Loop: Header=BB6_5201 Depth=1
	v_mad_u64_u32 v[12:13], null, v15, 24, v[6:7]
	s_mov_b32 s25, exec_lo
                                        ; implicit-def: $vgpr8_vgpr9
	flat_load_dword v2, v[12:13]
	s_waitcnt vmcnt(0) lgkmcnt(0)
	v_cmp_ne_u32_e32 vcc_lo, 1, v2
	v_cmpx_eq_u32_e32 1, v2
	s_cbranch_execz .LBB6_10305
; %bb.10304:                            ;   in Loop: Header=BB6_5201 Depth=1
	flat_load_dword v8, v[12:13] offset:4 glc dlc
	s_waitcnt vmcnt(0) lgkmcnt(0)
	v_ashrrev_i32_e32 v9, 31, v8
.LBB6_10305:                            ;   in Loop: Header=BB6_5201 Depth=1
	s_or_b32 exec_lo, exec_lo, s25
	s_orn2_b32 s12, vcc_lo, exec_lo
.LBB6_10306:                            ;   in Loop: Header=BB6_5201 Depth=1
	s_or_b32 exec_lo, exec_lo, s24
	s_and_saveexec_b32 s24, s12
; %bb.10307:                            ;   in Loop: Header=BB6_5201 Depth=1
	v_mad_i64_i32 v[8:9], null, v15, v118, 0
; %bb.10308:                            ;   in Loop: Header=BB6_5201 Depth=1
	s_or_b32 exec_lo, exec_lo, s24
	v_add_co_u32 v2, vcc_lo, v66, v8
	v_and_b32_e32 v12, 0x2000, v117
	v_add_co_ci_u32_e64 v3, null, v67, v9, vcc_lo
	s_mov_b32 s12, exec_lo
	ds_write_b64 v0, v[2:3] offset:728
	v_cmpx_ne_u32_e32 0, v12
	s_cbranch_execz .LBB6_10310
; %bb.10309:                            ;   in Loop: Header=BB6_5201 Depth=1
	ds_read_b64 v[2:3], v0 offset:872
	s_waitcnt lgkmcnt(0)
	v_add_co_u32 v2, vcc_lo, v2, 1
	v_add_co_ci_u32_e64 v3, null, 0, v3, vcc_lo
	ds_write_b64 v0, v[2:3] offset:872
.LBB6_10310:                            ;   in Loop: Header=BB6_5201 Depth=1
	s_or_b32 exec_lo, exec_lo, s12
	v_mov_b32_e32 v8, v10
	v_mov_b32_e32 v9, v11
.LBB6_10311:                            ;   in Loop: Header=BB6_5201 Depth=1
	s_or_b32 exec_lo, exec_lo, s23
	s_and_saveexec_b32 s12, s6
	s_cbranch_execz .LBB6_10330
; %bb.10312:                            ;   in Loop: Header=BB6_5201 Depth=1
	s_and_saveexec_b32 s23, s19
	s_xor_b32 s23, exec_lo, s23
	s_cbranch_execz .LBB6_10327
; %bb.10313:                            ;   in Loop: Header=BB6_5201 Depth=1
	s_and_saveexec_b32 s24, s7
	s_cbranch_execz .LBB6_10326
; %bb.10314:                            ;   in Loop: Header=BB6_5201 Depth=1
	s_mov_b32 s26, exec_lo
	s_mov_b32 s25, exec_lo
	v_mbcnt_lo_u32_b32 v2, s26, 0
	s_waitcnt vmcnt(0) lgkmcnt(0)
	s_waitcnt_vscnt null, 0x0
	buffer_gl1_inv
	buffer_gl0_inv
	v_cmpx_eq_u32_e32 0, v2
	s_cbranch_execz .LBB6_10316
; %bb.10315:                            ;   in Loop: Header=BB6_5201 Depth=1
	s_bcnt1_i32_b32 s26, s26
	v_mov_b32_e32 v29, s26
	ds_add_u64 v0, v[29:30]
	s_trap 2
.LBB6_10316:                            ;   in Loop: Header=BB6_5201 Depth=1
	s_or_b32 exec_lo, exec_lo, s25
	s_trap 2
	ds_read_b64 v[2:3], v0
	s_waitcnt lgkmcnt(0)
	buffer_gl0_inv
	v_add_co_u32 v68, vcc_lo, v68, v113
	v_add_co_ci_u32_e64 v69, null, 0, v69, vcc_lo
	s_mov_b32 s25, exec_lo
	v_cmpx_lt_u64_e64 v[2:3], v[68:69]
	s_cbranch_execz .LBB6_10325
; %bb.10317:                            ;   in Loop: Header=BB6_5201 Depth=1
	s_mov_b32 s26, 0
	s_mov_b32 s29, 0
                                        ; implicit-def: $sgpr27
                                        ; implicit-def: $sgpr28
	s_inst_prefetch 0x1
	s_branch .LBB6_10319
	.p2align	6
.LBB6_10318:                            ;   in Loop: Header=BB6_10319 Depth=2
	s_or_b32 exec_lo, exec_lo, s41
	s_and_b32 s40, exec_lo, s42
	s_or_b32 s26, s40, s26
	s_andn2_b32 s27, s27, exec_lo
	s_and_b32 s40, s28, exec_lo
	s_or_b32 s27, s27, s40
	s_andn2_b32 exec_lo, exec_lo, s26
	s_cbranch_execz .LBB6_10323
.LBB6_10319:                            ;   Parent Loop BB6_5201 Depth=1
                                        ; =>  This Inner Loop Header: Depth=2
	s_add_i32 s29, s29, 1
	s_cmpk_lg_i32 s29, 0x2710
	s_cselect_b32 s40, -1, 0
	s_and_b32 vcc_lo, exec_lo, s40
	s_cbranch_vccz .LBB6_10321
; %bb.10320:                            ;   in Loop: Header=BB6_10319 Depth=2
	s_mov_b32 s42, -1
	s_or_b32 s28, s28, exec_lo
	s_and_saveexec_b32 s41, s40
	s_cbranch_execz .LBB6_10318
	s_branch .LBB6_10322
	.p2align	6
.LBB6_10321:                            ;   in Loop: Header=BB6_10319 Depth=2
	s_trap 2
	ds_read_b64 v[2:3], v0
	s_andn2_b32 s40, s40, exec_lo
	s_mov_b32 s29, 0
	s_waitcnt lgkmcnt(0)
	flat_load_dword v2, v[2:3] glc dlc
	s_waitcnt vmcnt(0) lgkmcnt(0)
	buffer_gl1_inv
	buffer_gl0_inv
	v_cmp_eq_u32_e32 vcc_lo, 0, v2
	s_and_b32 s41, vcc_lo, exec_lo
	s_or_b32 s40, s40, s41
	s_mov_b32 s42, -1
	s_or_b32 s28, s28, exec_lo
	s_and_saveexec_b32 s41, s40
	s_cbranch_execz .LBB6_10318
.LBB6_10322:                            ;   in Loop: Header=BB6_10319 Depth=2
	s_sleep 1
	s_trap 2
	ds_read_b64 v[2:3], v0
	s_waitcnt lgkmcnt(0)
	buffer_gl0_inv
	s_andn2_b32 s28, s28, exec_lo
	v_cmp_ge_u64_e32 vcc_lo, v[2:3], v[68:69]
	s_orn2_b32 s42, vcc_lo, exec_lo
	s_branch .LBB6_10318
.LBB6_10323:                            ;   in Loop: Header=BB6_5201 Depth=1
	s_inst_prefetch 0x2
	s_or_b32 exec_lo, exec_lo, s26
	s_and_saveexec_b32 s26, s27
	s_xor_b32 s26, exec_lo, s26
	s_cbranch_execz .LBB6_10325
; %bb.10324:                            ;   in Loop: Header=BB6_5201 Depth=1
	v_mov_b32_e32 v2, 1
	ds_write_b32 v0, v2
	s_trap 2
.LBB6_10325:                            ;   in Loop: Header=BB6_5201 Depth=1
	s_or_b32 exec_lo, exec_lo, s25
	;;#ASMSTART
	s_wakeup
	;;#ASMEND
.LBB6_10326:                            ;   in Loop: Header=BB6_5201 Depth=1
	s_or_b32 exec_lo, exec_lo, s24
.LBB6_10327:                            ;   in Loop: Header=BB6_5201 Depth=1
	s_andn2_saveexec_b32 s23, s23
	s_cbranch_execz .LBB6_10329
; %bb.10328:                            ;   in Loop: Header=BB6_5201 Depth=1
	s_waitcnt vmcnt(0) lgkmcnt(0)
	s_waitcnt_vscnt null, 0x0
	buffer_gl1_inv
	buffer_gl0_inv
	s_barrier
.LBB6_10329:                            ;   in Loop: Header=BB6_5201 Depth=1
	s_or_b32 exec_lo, exec_lo, s23
.LBB6_10330:                            ;   in Loop: Header=BB6_5201 Depth=1
	s_or_b32 exec_lo, exec_lo, s12
	s_trap 2
	ds_read_b32 v2, v0
	v_sub_nc_u32_e32 v3, v84, v14
	v_min_i32_e32 v3, v56, v3
	v_cmp_lt_i32_e32 vcc_lo, 0, v3
	s_waitcnt lgkmcnt(0)
	v_readfirstlane_b32 s12, v2
	v_and_b32_e32 v2, 16, v117
	s_cmp_eq_u32 s12, 0
	v_cmp_ne_u32_e64 s12, 0, v2
	s_cselect_b32 s23, -1, 0
	s_and_b32 s23, vcc_lo, s23
	s_and_b32 s23, s12, s23
	s_and_saveexec_b32 s12, s23
	s_cbranch_execz .LBB6_10332
; %bb.10331:                            ;   in Loop: Header=BB6_5201 Depth=1
	s_waitcnt vmcnt(0)
	s_waitcnt_vscnt null, 0x0
	buffer_gl1_inv
	buffer_gl0_inv
.LBB6_10332:                            ;   in Loop: Header=BB6_5201 Depth=1
	s_or_b32 exec_lo, exec_lo, s12
	v_and_b32_e32 v2, 32, v117
	s_mov_b32 s12, exec_lo
	v_cmpx_ne_u32_e32 0, v2
	s_cbranch_execnz .LBB6_10333
; %bb.10588:                            ;   in Loop: Header=BB6_5201 Depth=1
	s_getpc_b64 s[34:35]
.Lpost_getpc23:
	s_add_u32 s34, s34, (.LBB6_5199-.Lpost_getpc23)&4294967295
	s_addc_u32 s35, s35, (.LBB6_5199-.Lpost_getpc23)>>32
	s_setpc_b64 s[34:35]
.LBB6_10333:                            ;   in Loop: Header=BB6_5201 Depth=1
	v_add_co_u32 v8, vcc_lo, v8, 1
	v_add_co_ci_u32_e64 v9, null, 0, v9, vcc_lo
	s_waitcnt vmcnt(0)
	s_waitcnt_vscnt null, 0x0
	flat_store_dwordx2 v[64:65], v[8:9]
; %bb.10556:                            ;   in Loop: Header=BB6_5201 Depth=1
	s_getpc_b64 s[34:35]
.Lpost_getpc7:
	s_add_u32 s34, s34, (.LBB6_5199-.Lpost_getpc7)&4294967295
	s_addc_u32 s35, s35, (.LBB6_5199-.Lpost_getpc7)>>32
	s_setpc_b64 s[34:35]
.LBB6_10334:
	s_or_b32 exec_lo, exec_lo, s20
.LBB6_10335:
	s_or_b32 exec_lo, exec_lo, s18
.LBB6_10336:
	s_or_b32 exec_lo, exec_lo, s14
                                        ; implicit-def: $vgpr52_vgpr53
                                        ; implicit-def: $vgpr4_vgpr5
                                        ; implicit-def: $vgpr82_vgpr83
                                        ; implicit-def: $vgpr118
                                        ; implicit-def: $vgpr70_vgpr71
                                        ; implicit-def: $vgpr66_vgpr67
                                        ; implicit-def: $vgpr64_vgpr65
                                        ; implicit-def: $vgpr0
                                        ; implicit-def: $vgpr25
                                        ; implicit-def: $vgpr80
.LBB6_10337:
	s_andn2_saveexec_b32 s17, s17
	s_cbranch_execz .LBB6_10509
; %bb.10338:
	v_mov_b32_e32 v68, 0
	v_mov_b32_e32 v69, 0
	s_mov_b32 s18, exec_lo
	v_cmpx_ne_u64_e32 0, v[4:5]
	s_cbranch_execz .LBB6_10508
; %bb.10339:
	v_and_b32_e32 v23, 31, v0
	v_and_b32_e32 v2, 31, v31
	v_lshrrev_b32_e32 v24, 5, v1
	s_ashr_i32 s6, s16, 31
	v_cmp_eq_u32_e32 vcc_lo, 32, v1
	v_cmp_lt_u32_e64 s11, v23, v25
	v_lshrrev_b32_e32 v25, 5, v0
	v_lshlrev_b32_e32 v26, 4, v23
	s_lshr_b32 s6, s6, 24
	s_waitcnt vmcnt(2)
	v_mov_b32_e32 v12, 0
	s_waitcnt vmcnt(1) lgkmcnt(1)
	v_cmp_ne_u64_e64 s12, 0, v[82:83]
	v_mov_b32_e32 v68, 0
	v_cmp_ge_u32_e64 s5, v0, v1
	s_add_i32 s13, s16, s6
	v_cmp_ne_u32_e64 s6, 32, v1
	s_waitcnt vmcnt(0)
	v_cmp_ne_u32_sdwa s16, v1, v116 src0_sel:DWORD src1_sel:WORD_0
	v_cmp_eq_u32_e64 s7, 0, v2
	v_mov_b32_e32 v11, 0
	v_cmp_eq_u32_e64 s10, 0, v23
	v_lshlrev_b32_e32 v27, 12, v24
	v_lshlrev_b32_e32 v28, 9, v24
	;; [unrolled: 1-line block ×3, first 2 shown]
	v_and_b32_e32 v30, 0x1fe0, v1
	v_mov_b32_e32 v13, 0
	v_lshl_or_b32 v32, v25, 12, v26
	v_mov_b32_e32 v69, 0
	v_mov_b32_e32 v33, 1
	s_ashr_i32 s20, s13, 8
	s_mov_b32 s19, 0
	s_xor_b32 s21, vcc_lo, -1
	s_trap 2
	s_branch .LBB6_10343
.LBB6_10340:                            ;   in Loop: Header=BB6_10343 Depth=1
	s_or_b32 exec_lo, exec_lo, s22
	v_add_co_u32 v8, vcc_lo, v8, 1
	v_add_co_ci_u32_e64 v9, null, 0, v9, vcc_lo
	s_waitcnt vmcnt(0) lgkmcnt(0)
	s_waitcnt_vscnt null, 0x0
	flat_store_dwordx2 v[64:65], v[8:9]
.LBB6_10341:                            ;   in Loop: Header=BB6_10343 Depth=1
	s_or_b32 exec_lo, exec_lo, s13
.LBB6_10342:                            ;   in Loop: Header=BB6_10343 Depth=1
	s_or_b32 exec_lo, exec_lo, s14
	v_add_co_u32 v12, vcc_lo, v12, v80
	v_add_co_ci_u32_e64 v13, null, 0, v13, vcc_lo
	v_cmp_ge_u64_e32 vcc_lo, v[12:13], v[4:5]
	s_or_b32 s19, vcc_lo, s19
	s_andn2_b32 exec_lo, exec_lo, s19
	s_cbranch_execz .LBB6_10507
.LBB6_10343:                            ; =>This Loop Header: Depth=1
                                        ;     Child Loop BB6_10352 Depth 2
                                        ;     Child Loop BB6_10376 Depth 2
	;; [unrolled: 1-line block ×10, first 2 shown]
	v_sub_co_u32 v2, vcc_lo, v4, v12
	v_sub_co_ci_u32_e64 v3, null, v5, v13, vcc_lo
	v_cmp_lt_u64_e32 vcc_lo, v[80:81], v[2:3]
	v_cndmask_b32_e32 v14, v2, v80, vcc_lo
	v_cndmask_b32_e64 v15, v3, 0, vcc_lo
	v_add_nc_u32_e32 v2, 15, v14
	v_cmp_eq_u64_e32 vcc_lo, 0, v[14:15]
	v_and_b32_e32 v2, 0x7ffffff0, v2
	s_or_b32 s22, s5, vcc_lo
	s_xor_b32 s13, s22, -1
	v_max_i32_e32 v10, s20, v2
	v_mov_b32_e32 v2, 0
	s_and_saveexec_b32 s23, s13
	s_cbranch_execz .LBB6_10460
; %bb.10344:                            ;   in Loop: Header=BB6_10343 Depth=1
	s_and_saveexec_b32 s13, s4
	s_cbranch_execz .LBB6_10346
; %bb.10345:                            ;   in Loop: Header=BB6_10343 Depth=1
	s_trap 2
	ds_read_b64 v[2:3], v0
	s_waitcnt lgkmcnt(0)
	v_add_co_u32 v15, vcc_lo, v2, v52
	v_add_co_ci_u32_e64 v3, null, v3, v53, vcc_lo
	v_mov_b32_e32 v2, v11
	v_add_co_u32 v15, vcc_lo, v15, v12
	v_add_co_ci_u32_e64 v16, null, v3, v13, vcc_lo
	v_mov_b32_e32 v3, v11
	ds_write_b64 v0, v[15:16]
	ds_write_b64 v0, v[2:3]
.LBB6_10346:                            ;   in Loop: Header=BB6_10343 Depth=1
	s_or_b32 exec_lo, exec_lo, s13
	v_and_b32_e32 v2, 8, v117
	v_min_u32_e32 v10, v10, v14
	s_mov_b32 s14, exec_lo
	v_cmpx_ne_u32_e32 0, v2
	s_cbranch_execz .LBB6_10368
; %bb.10347:                            ;   in Loop: Header=BB6_10343 Depth=1
	s_waitcnt vmcnt(0)
	v_add_co_u32 v2, vcc_lo, v70, 8
	v_add_co_ci_u32_e64 v3, null, 0, v71, vcc_lo
	s_waitcnt lgkmcnt(0)
	v_add_co_u32 v15, vcc_lo, v8, 1
	v_add_co_ci_u32_e64 v16, null, 0, v9, vcc_lo
	s_mov_b32 s24, exec_lo
	v_cmpx_lt_u64_e64 v[2:3], v[15:16]
	s_cbranch_execz .LBB6_10359
; %bb.10348:                            ;   in Loop: Header=BB6_10343 Depth=1
	v_and_b32_e32 v2, 64, v117
	s_mov_b32 s25, 0
	s_mov_b32 s29, 0
                                        ; implicit-def: $sgpr26
                                        ; implicit-def: $sgpr27
                                        ; implicit-def: $sgpr28
	v_cmp_eq_u32_e32 vcc_lo, 0, v2
	s_branch .LBB6_10352
.LBB6_10349:                            ;   in Loop: Header=BB6_10352 Depth=2
	s_waitcnt vmcnt(0) lgkmcnt(0)
	v_add_co_u32 v2, s13, v70, 8
	v_add_co_ci_u32_e64 v3, null, 0, v71, s13
	s_or_b32 s42, s42, exec_lo
	v_cmp_ge_u64_e64 s13, v[2:3], v[15:16]
	s_orn2_b32 s41, s13, exec_lo
.LBB6_10350:                            ;   in Loop: Header=BB6_10352 Depth=2
	s_or_b32 exec_lo, exec_lo, s44
	s_andn2_b32 s13, s28, exec_lo
	s_and_b32 s28, s42, exec_lo
	s_andn2_b32 s27, s27, exec_lo
	s_and_b32 s41, s41, exec_lo
	s_or_b32 s28, s13, s28
	s_or_b32 s27, s27, s41
.LBB6_10351:                            ;   in Loop: Header=BB6_10352 Depth=2
	s_or_b32 exec_lo, exec_lo, s40
	s_and_b32 s13, exec_lo, s27
	s_or_b32 s25, s13, s25
	s_andn2_b32 s13, s26, exec_lo
	s_and_b32 s26, s28, exec_lo
	s_or_b32 s26, s13, s26
	s_andn2_b32 exec_lo, exec_lo, s25
	s_cbranch_execz .LBB6_10356
.LBB6_10352:                            ;   Parent Loop BB6_10343 Depth=1
                                        ; =>  This Inner Loop Header: Depth=2
	s_sleep 1
	s_waitcnt vmcnt(0) lgkmcnt(0)
	flat_load_dwordx2 v[70:71], v[64:65] glc dlc
	s_or_b32 s28, s28, exec_lo
	s_or_b32 s27, s27, exec_lo
                                        ; implicit-def: $vgpr9
	s_and_saveexec_b32 s40, vcc_lo
	s_cbranch_execz .LBB6_10351
; %bb.10353:                            ;   in Loop: Header=BB6_10352 Depth=2
	s_cmpk_lt_i32 s29, 0x270f
	s_mov_b32 s41, -1
	s_cselect_b32 s43, -1, 0
	s_cmpk_gt_i32 s29, 0x270e
	s_cbranch_scc0 .LBB6_10355
; %bb.10354:                            ;   in Loop: Header=BB6_10352 Depth=2
	s_trap 2
	ds_read_b64 v[2:3], v0
	s_andn2_b32 s29, s43, exec_lo
	s_mov_b32 s42, 0
	s_waitcnt vmcnt(0) lgkmcnt(0)
	s_waitcnt_vscnt null, 0x0
	flat_load_dword v9, v[2:3] glc dlc
	s_waitcnt vmcnt(0) lgkmcnt(0)
	buffer_gl1_inv
	buffer_gl0_inv
	v_cmp_eq_u32_e64 s13, 0, v9
	s_and_b32 s13, s13, exec_lo
	s_or_b32 s43, s29, s13
	s_mov_b32 s29, 0
	s_and_saveexec_b32 s44, s43
	s_cbranch_execz .LBB6_10350
	s_branch .LBB6_10349
.LBB6_10355:                            ;   in Loop: Header=BB6_10352 Depth=2
	s_add_i32 s29, s29, 1
	s_mov_b32 s42, -1
                                        ; implicit-def: $vgpr9
	s_and_saveexec_b32 s44, s43
	s_cbranch_execz .LBB6_10350
	s_branch .LBB6_10349
.LBB6_10356:                            ;   in Loop: Header=BB6_10343 Depth=1
	s_or_b32 exec_lo, exec_lo, s25
	s_xor_b32 s13, s26, -1
	s_and_saveexec_b32 s25, s13
	s_xor_b32 s13, exec_lo, s25
	s_cbranch_execz .LBB6_10358
; %bb.10357:                            ;   in Loop: Header=BB6_10343 Depth=1
	v_or_b32_e32 v117, 64, v117
	s_waitcnt vmcnt(0) lgkmcnt(0)
	s_waitcnt_vscnt null, 0x0
	ds_write_b32 v0, v9
	s_trap 2
.LBB6_10358:                            ;   in Loop: Header=BB6_10343 Depth=1
	s_or_b32 exec_lo, exec_lo, s13
.LBB6_10359:                            ;   in Loop: Header=BB6_10343 Depth=1
	s_or_b32 exec_lo, exec_lo, s24
	v_and_b32_e32 v2, 0x100, v117
	v_and_b32_e32 v19, 7, v8
	s_mov_b32 s13, -1
	s_mov_b32 s24, exec_lo
	;;#ASMSTART
	s_wakeup
	;;#ASMEND
                                        ; implicit-def: $vgpr8_vgpr9
	v_cmpx_ne_u32_e32 0, v2
	s_cbranch_execz .LBB6_10363
; %bb.10360:                            ;   in Loop: Header=BB6_10343 Depth=1
	v_mad_u64_u32 v[17:18], null, v19, 24, v[6:7]
	s_mov_b32 s25, exec_lo
                                        ; implicit-def: $vgpr8_vgpr9
	flat_load_dword v2, v[17:18]
	flat_store_dwordx2 v[17:18], v[10:11] offset:8
	s_waitcnt vmcnt(0) lgkmcnt(1)
	v_cmp_ne_u32_e32 vcc_lo, 1, v2
	v_cmpx_eq_u32_e32 1, v2
	s_cbranch_execz .LBB6_10362
; %bb.10361:                            ;   in Loop: Header=BB6_10343 Depth=1
	flat_load_dword v8, v[17:18] offset:4 glc dlc
	s_waitcnt vmcnt(0) lgkmcnt(0)
	v_ashrrev_i32_e32 v9, 31, v8
.LBB6_10362:                            ;   in Loop: Header=BB6_10343 Depth=1
	s_or_b32 exec_lo, exec_lo, s25
	s_orn2_b32 s13, vcc_lo, exec_lo
.LBB6_10363:                            ;   in Loop: Header=BB6_10343 Depth=1
	s_or_b32 exec_lo, exec_lo, s24
	s_and_saveexec_b32 s24, s13
; %bb.10364:                            ;   in Loop: Header=BB6_10343 Depth=1
	v_mad_i64_i32 v[8:9], null, v19, v118, 0
; %bb.10365:                            ;   in Loop: Header=BB6_10343 Depth=1
	s_or_b32 exec_lo, exec_lo, s24
	v_add_co_u32 v2, vcc_lo, v66, v8
	v_and_b32_e32 v17, 0x2000, v117
	v_add_co_ci_u32_e64 v3, null, v67, v9, vcc_lo
	s_mov_b32 s13, exec_lo
	ds_write_b64 v0, v[2:3] offset:784
	v_cmpx_ne_u32_e32 0, v17
	s_cbranch_execz .LBB6_10367
; %bb.10366:                            ;   in Loop: Header=BB6_10343 Depth=1
	ds_read_b64 v[2:3], v0 offset:872
	s_waitcnt lgkmcnt(0)
	v_add_co_u32 v2, vcc_lo, v2, 1
	v_add_co_ci_u32_e64 v3, null, 0, v3, vcc_lo
	ds_write_b64 v0, v[2:3] offset:872
.LBB6_10367:                            ;   in Loop: Header=BB6_10343 Depth=1
	s_or_b32 exec_lo, exec_lo, s13
	v_mov_b32_e32 v8, v15
	v_mov_b32_e32 v9, v16
.LBB6_10368:                            ;   in Loop: Header=BB6_10343 Depth=1
	s_or_b32 exec_lo, exec_lo, s14
	s_and_saveexec_b32 s13, s6
	s_cbranch_execz .LBB6_10387
; %bb.10369:                            ;   in Loop: Header=BB6_10343 Depth=1
	s_and_saveexec_b32 s14, s16
	s_xor_b32 s14, exec_lo, s14
	s_cbranch_execz .LBB6_10384
; %bb.10370:                            ;   in Loop: Header=BB6_10343 Depth=1
	s_and_saveexec_b32 s24, s7
	s_cbranch_execz .LBB6_10383
; %bb.10371:                            ;   in Loop: Header=BB6_10343 Depth=1
	s_mov_b32 s26, exec_lo
	s_mov_b32 s25, exec_lo
	v_mbcnt_lo_u32_b32 v2, s26, 0
	s_waitcnt vmcnt(0) lgkmcnt(0)
	s_waitcnt_vscnt null, 0x0
	buffer_gl1_inv
	buffer_gl0_inv
	v_cmpx_eq_u32_e32 0, v2
	s_cbranch_execz .LBB6_10373
; %bb.10372:                            ;   in Loop: Header=BB6_10343 Depth=1
	s_bcnt1_i32_b32 s26, s26
	v_mov_b32_e32 v3, v11
	v_mov_b32_e32 v2, s26
	ds_add_u64 v0, v[2:3]
	s_trap 2
.LBB6_10373:                            ;   in Loop: Header=BB6_10343 Depth=1
	s_or_b32 exec_lo, exec_lo, s25
	s_trap 2
	ds_read_b64 v[2:3], v0
	s_waitcnt lgkmcnt(0)
	buffer_gl0_inv
	v_add_co_u32 v68, vcc_lo, v68, v24
	v_add_co_ci_u32_e64 v69, null, 0, v69, vcc_lo
	s_mov_b32 s25, exec_lo
	v_cmpx_lt_u64_e64 v[2:3], v[68:69]
	s_cbranch_execz .LBB6_10382
; %bb.10374:                            ;   in Loop: Header=BB6_10343 Depth=1
	s_mov_b32 s26, 0
	s_mov_b32 s29, 0
                                        ; implicit-def: $sgpr27
                                        ; implicit-def: $sgpr28
	s_inst_prefetch 0x1
	s_branch .LBB6_10376
	.p2align	6
.LBB6_10375:                            ;   in Loop: Header=BB6_10376 Depth=2
	s_or_b32 exec_lo, exec_lo, s41
	s_and_b32 s40, exec_lo, s42
	s_or_b32 s26, s40, s26
	s_andn2_b32 s27, s27, exec_lo
	s_and_b32 s40, s28, exec_lo
	s_or_b32 s27, s27, s40
	s_andn2_b32 exec_lo, exec_lo, s26
	s_cbranch_execz .LBB6_10380
.LBB6_10376:                            ;   Parent Loop BB6_10343 Depth=1
                                        ; =>  This Inner Loop Header: Depth=2
	s_add_i32 s29, s29, 1
	s_cmpk_lg_i32 s29, 0x2710
	s_cselect_b32 s40, -1, 0
	s_and_b32 vcc_lo, exec_lo, s40
	s_cbranch_vccz .LBB6_10378
; %bb.10377:                            ;   in Loop: Header=BB6_10376 Depth=2
	s_mov_b32 s42, -1
	s_or_b32 s28, s28, exec_lo
	s_and_saveexec_b32 s41, s40
	s_cbranch_execz .LBB6_10375
	s_branch .LBB6_10379
	.p2align	6
.LBB6_10378:                            ;   in Loop: Header=BB6_10376 Depth=2
	s_trap 2
	ds_read_b64 v[2:3], v0
	s_andn2_b32 s40, s40, exec_lo
	s_mov_b32 s29, 0
	s_waitcnt lgkmcnt(0)
	flat_load_dword v2, v[2:3] glc dlc
	s_waitcnt vmcnt(0) lgkmcnt(0)
	buffer_gl1_inv
	buffer_gl0_inv
	v_cmp_eq_u32_e32 vcc_lo, 0, v2
	s_and_b32 s41, vcc_lo, exec_lo
	s_or_b32 s40, s40, s41
	s_mov_b32 s42, -1
	s_or_b32 s28, s28, exec_lo
	s_and_saveexec_b32 s41, s40
	s_cbranch_execz .LBB6_10375
.LBB6_10379:                            ;   in Loop: Header=BB6_10376 Depth=2
	s_sleep 1
	s_trap 2
	ds_read_b64 v[2:3], v0
	s_waitcnt lgkmcnt(0)
	buffer_gl0_inv
	s_andn2_b32 s28, s28, exec_lo
	v_cmp_ge_u64_e32 vcc_lo, v[2:3], v[68:69]
	s_orn2_b32 s42, vcc_lo, exec_lo
	s_branch .LBB6_10375
.LBB6_10380:                            ;   in Loop: Header=BB6_10343 Depth=1
	s_inst_prefetch 0x2
	s_or_b32 exec_lo, exec_lo, s26
	s_and_saveexec_b32 s26, s27
	s_xor_b32 s26, exec_lo, s26
	s_cbranch_execz .LBB6_10382
; %bb.10381:                            ;   in Loop: Header=BB6_10343 Depth=1
	ds_write_b32 v0, v33
	s_trap 2
.LBB6_10382:                            ;   in Loop: Header=BB6_10343 Depth=1
	s_or_b32 exec_lo, exec_lo, s25
	;;#ASMSTART
	s_wakeup
	;;#ASMEND
.LBB6_10383:                            ;   in Loop: Header=BB6_10343 Depth=1
	s_or_b32 exec_lo, exec_lo, s24
.LBB6_10384:                            ;   in Loop: Header=BB6_10343 Depth=1
	s_andn2_saveexec_b32 s14, s14
	s_cbranch_execz .LBB6_10386
; %bb.10385:                            ;   in Loop: Header=BB6_10343 Depth=1
	s_waitcnt vmcnt(0) lgkmcnt(0)
	s_waitcnt_vscnt null, 0x0
	buffer_gl1_inv
	buffer_gl0_inv
	s_barrier
.LBB6_10386:                            ;   in Loop: Header=BB6_10343 Depth=1
	s_or_b32 exec_lo, exec_lo, s14
.LBB6_10387:                            ;   in Loop: Header=BB6_10343 Depth=1
	s_or_b32 exec_lo, exec_lo, s13
	s_trap 2
	ds_read_b32 v19, v0
	v_and_b32_e32 v2, 0x4000, v117
	v_cmp_ne_u32_e32 vcc_lo, 0, v2
	s_and_b32 s14, s21, vcc_lo
	s_and_saveexec_b32 s13, s14
	s_cbranch_execz .LBB6_10406
; %bb.10388:                            ;   in Loop: Header=BB6_10343 Depth=1
	s_and_saveexec_b32 s14, s16
	s_xor_b32 s14, exec_lo, s14
	s_cbranch_execz .LBB6_10403
; %bb.10389:                            ;   in Loop: Header=BB6_10343 Depth=1
	s_and_saveexec_b32 s24, s7
	s_cbranch_execz .LBB6_10402
; %bb.10390:                            ;   in Loop: Header=BB6_10343 Depth=1
	s_mov_b32 s26, exec_lo
	s_mov_b32 s25, exec_lo
	v_mbcnt_lo_u32_b32 v2, s26, 0
	s_waitcnt vmcnt(0) lgkmcnt(0)
	s_waitcnt_vscnt null, 0x0
	buffer_gl1_inv
	buffer_gl0_inv
	v_cmpx_eq_u32_e32 0, v2
	s_cbranch_execz .LBB6_10392
; %bb.10391:                            ;   in Loop: Header=BB6_10343 Depth=1
	s_bcnt1_i32_b32 s26, s26
	v_mov_b32_e32 v3, v11
	v_mov_b32_e32 v2, s26
	ds_add_u64 v0, v[2:3]
	s_trap 2
.LBB6_10392:                            ;   in Loop: Header=BB6_10343 Depth=1
	s_or_b32 exec_lo, exec_lo, s25
	s_trap 2
	ds_read_b64 v[2:3], v0
	s_waitcnt lgkmcnt(0)
	buffer_gl0_inv
	v_add_co_u32 v68, vcc_lo, v68, v24
	v_add_co_ci_u32_e64 v69, null, 0, v69, vcc_lo
	s_mov_b32 s25, exec_lo
	v_cmpx_lt_u64_e64 v[2:3], v[68:69]
	s_cbranch_execz .LBB6_10401
; %bb.10393:                            ;   in Loop: Header=BB6_10343 Depth=1
	s_mov_b32 s26, 0
	s_mov_b32 s29, 0
                                        ; implicit-def: $sgpr27
                                        ; implicit-def: $sgpr28
	s_inst_prefetch 0x1
	s_branch .LBB6_10395
	.p2align	6
.LBB6_10394:                            ;   in Loop: Header=BB6_10395 Depth=2
	s_or_b32 exec_lo, exec_lo, s41
	s_and_b32 s40, exec_lo, s42
	s_or_b32 s26, s40, s26
	s_andn2_b32 s27, s27, exec_lo
	s_and_b32 s40, s28, exec_lo
	s_or_b32 s27, s27, s40
	s_andn2_b32 exec_lo, exec_lo, s26
	s_cbranch_execz .LBB6_10399
.LBB6_10395:                            ;   Parent Loop BB6_10343 Depth=1
                                        ; =>  This Inner Loop Header: Depth=2
	s_add_i32 s29, s29, 1
	s_cmpk_lg_i32 s29, 0x2710
	s_cselect_b32 s40, -1, 0
	s_and_b32 vcc_lo, exec_lo, s40
	s_cbranch_vccz .LBB6_10397
; %bb.10396:                            ;   in Loop: Header=BB6_10395 Depth=2
	s_mov_b32 s42, -1
	s_or_b32 s28, s28, exec_lo
	s_and_saveexec_b32 s41, s40
	s_cbranch_execz .LBB6_10394
	s_branch .LBB6_10398
	.p2align	6
.LBB6_10397:                            ;   in Loop: Header=BB6_10395 Depth=2
	s_trap 2
	ds_read_b64 v[2:3], v0
	s_andn2_b32 s40, s40, exec_lo
	s_mov_b32 s29, 0
	s_waitcnt lgkmcnt(0)
	flat_load_dword v2, v[2:3] glc dlc
	s_waitcnt vmcnt(0) lgkmcnt(0)
	buffer_gl1_inv
	buffer_gl0_inv
	v_cmp_eq_u32_e32 vcc_lo, 0, v2
	s_and_b32 s41, vcc_lo, exec_lo
	s_or_b32 s40, s40, s41
	s_mov_b32 s42, -1
	s_or_b32 s28, s28, exec_lo
	s_and_saveexec_b32 s41, s40
	s_cbranch_execz .LBB6_10394
.LBB6_10398:                            ;   in Loop: Header=BB6_10395 Depth=2
	s_sleep 1
	s_trap 2
	ds_read_b64 v[2:3], v0
	s_waitcnt lgkmcnt(0)
	buffer_gl0_inv
	s_andn2_b32 s28, s28, exec_lo
	v_cmp_ge_u64_e32 vcc_lo, v[2:3], v[68:69]
	s_orn2_b32 s42, vcc_lo, exec_lo
	s_branch .LBB6_10394
.LBB6_10399:                            ;   in Loop: Header=BB6_10343 Depth=1
	s_inst_prefetch 0x2
	s_or_b32 exec_lo, exec_lo, s26
	s_and_saveexec_b32 s26, s27
	s_xor_b32 s26, exec_lo, s26
	s_cbranch_execz .LBB6_10401
; %bb.10400:                            ;   in Loop: Header=BB6_10343 Depth=1
	ds_write_b32 v0, v33
	s_trap 2
.LBB6_10401:                            ;   in Loop: Header=BB6_10343 Depth=1
	s_or_b32 exec_lo, exec_lo, s25
	;;#ASMSTART
	s_wakeup
	;;#ASMEND
.LBB6_10402:                            ;   in Loop: Header=BB6_10343 Depth=1
	s_or_b32 exec_lo, exec_lo, s24
.LBB6_10403:                            ;   in Loop: Header=BB6_10343 Depth=1
	s_andn2_saveexec_b32 s14, s14
	s_cbranch_execz .LBB6_10405
; %bb.10404:                            ;   in Loop: Header=BB6_10343 Depth=1
	s_waitcnt vmcnt(0) lgkmcnt(0)
	s_waitcnt_vscnt null, 0x0
	buffer_gl1_inv
	buffer_gl0_inv
	s_barrier
.LBB6_10405:                            ;   in Loop: Header=BB6_10343 Depth=1
	s_or_b32 exec_lo, exec_lo, s14
.LBB6_10406:                            ;   in Loop: Header=BB6_10343 Depth=1
	s_or_b32 exec_lo, exec_lo, s13
	s_trap 2
	ds_read_b64 v[15:16], v0
	s_waitcnt lgkmcnt(0)
	v_cmp_eq_u64_e32 vcc_lo, 0, v[15:16]
	s_cbranch_vccnz .LBB6_10414
; %bb.10407:                            ;   in Loop: Header=BB6_10343 Depth=1
	s_trap 2
	ds_read_b64 v[17:18], v0
	s_waitcnt lgkmcnt(0)
	v_cmp_eq_u64_e32 vcc_lo, 0, v[17:18]
	s_cbranch_vccnz .LBB6_10414
; %bb.10408:                            ;   in Loop: Header=BB6_10343 Depth=1
	s_mov_b32 s13, -1
	s_and_saveexec_b32 s14, s10
	s_cbranch_execz .LBB6_10410
; %bb.10409:                            ;   in Loop: Header=BB6_10343 Depth=1
	ds_read_b32 v2, v0 offset:720
	s_waitcnt lgkmcnt(0)
	v_and_b32_e32 v2, 15, v2
	v_cmp_eq_u32_e32 vcc_lo, 0, v2
	s_orn2_b32 s13, vcc_lo, exec_lo
.LBB6_10410:                            ;   in Loop: Header=BB6_10343 Depth=1
	s_or_b32 exec_lo, exec_lo, s14
	s_and_saveexec_b32 s14, s11
	s_cbranch_execz .LBB6_10412
; %bb.10411:                            ;   in Loop: Header=BB6_10343 Depth=1
	ds_read_b32 v2, v0 offset:784
	s_waitcnt lgkmcnt(0)
	v_and_b32_e32 v2, 15, v2
	v_cmp_eq_u32_e32 vcc_lo, 0, v2
	s_and_b32 s24, s13, vcc_lo
	s_andn2_b32 s13, s13, exec_lo
	s_and_b32 s24, s24, exec_lo
	s_or_b32 s13, s13, s24
.LBB6_10412:                            ;   in Loop: Header=BB6_10343 Depth=1
	s_or_b32 exec_lo, exec_lo, s14
	v_cmp_eq_u32_e32 vcc_lo, 0, v19
	s_xor_b32 s13, s13, -1
	v_mov_b32_e32 v19, 0
	v_cndmask_b32_e64 v2, 0, 1, s13
	v_mov_b32_e32 v21, v0
	v_cndmask_b32_e32 v34, 0, v10, vcc_lo
	s_mov_b32 s13, -1
	v_cmp_ne_u32_e32 vcc_lo, 0, v2
	v_mov_b32_e32 v20, v34
	s_cbranch_vccz .LBB6_10415
; %bb.10413:                            ;   in Loop: Header=BB6_10343 Depth=1
	s_and_saveexec_b32 s14, s13
	s_cbranch_execnz .LBB6_10426
	s_branch .LBB6_10434
.LBB6_10414:                            ;   in Loop: Header=BB6_10343 Depth=1
	s_mov_b32 s13, 0
	s_and_saveexec_b32 s14, s6
	s_cbranch_execnz .LBB6_10435
	s_branch .LBB6_10453
.LBB6_10415:                            ;   in Loop: Header=BB6_10343 Depth=1
	v_lshrrev_b32_e32 v2, 12, v34
	s_mov_b32 s14, exec_lo
	v_sub_nc_u32_e32 v35, v2, v25
	v_cmpx_lt_i32_e32 0, v35
	s_cbranch_execz .LBB6_10419
; %bb.10416:                            ;   in Loop: Header=BB6_10343 Depth=1
	v_mov_b32_e32 v20, v18
	v_mov_b32_e32 v22, v16
	;; [unrolled: 1-line block ×4, first 2 shown]
	s_mov_b32 s24, 0
.LBB6_10417:                            ;   Parent Loop BB6_10343 Depth=1
                                        ; =>  This Inner Loop Header: Depth=2
	v_add_co_u32 v2, vcc_lo, v32, v21
	v_add_co_ci_u32_e64 v3, null, 0, v22, vcc_lo
	v_sub_nc_u32_e32 v35, v35, v24
	v_add_co_u32 v44, vcc_lo, 0x800, v2
	v_add_co_ci_u32_e64 v45, null, 0, v3, vcc_lo
	s_clause 0x3
	global_load_dwordx4 v[36:39], v[2:3], off slc
	global_load_dwordx4 v[48:51], v[2:3], off offset:512 slc
	global_load_dwordx4 v[84:87], v[2:3], off offset:1024 slc
	;; [unrolled: 1-line block ×3, first 2 shown]
	s_clause 0x3
	global_load_dwordx4 v[100:103], v[44:45], off slc
	global_load_dwordx4 v[112:115], v[44:45], off offset:512 slc
	global_load_dwordx4 v[40:43], v[44:45], off offset:1024 slc
	;; [unrolled: 1-line block ×3, first 2 shown]
	v_add_co_u32 v2, vcc_lo, v32, v19
	v_add_co_ci_u32_e64 v3, null, 0, v20, vcc_lo
	v_add_co_u32 v21, vcc_lo, v21, v27
	v_add_co_ci_u32_e64 v22, null, 0, v22, vcc_lo
	;; [unrolled: 2-line block ×3, first 2 shown]
	v_cmp_gt_i32_e32 vcc_lo, 1, v35
	v_add_co_u32 v56, s13, 0x800, v2
	v_add_co_ci_u32_e64 v57, null, 0, v3, s13
	s_or_b32 s24, vcc_lo, s24
	s_waitcnt vmcnt(7)
	global_store_dwordx4 v[2:3], v[36:39], off glc slc
	s_waitcnt vmcnt(6)
	global_store_dwordx4 v[2:3], v[48:51], off offset:512 glc slc
	s_waitcnt vmcnt(5)
	global_store_dwordx4 v[2:3], v[84:87], off offset:1024 glc slc
	;; [unrolled: 2-line block ×3, first 2 shown]
	s_waitcnt vmcnt(3)
	global_store_dwordx4 v[56:57], v[100:103], off glc slc
	s_waitcnt vmcnt(2)
	global_store_dwordx4 v[56:57], v[112:115], off offset:512 glc slc
	s_waitcnt vmcnt(1)
	global_store_dwordx4 v[56:57], v[40:43], off offset:1024 glc slc
	s_waitcnt vmcnt(0)
	global_store_dwordx4 v[56:57], v[44:47], off offset:1536 glc slc
	s_andn2_b32 exec_lo, exec_lo, s24
	s_cbranch_execnz .LBB6_10417
; %bb.10418:                            ;   in Loop: Header=BB6_10343 Depth=1
	s_or_b32 exec_lo, exec_lo, s24
.LBB6_10419:                            ;   in Loop: Header=BB6_10343 Depth=1
	s_or_b32 exec_lo, exec_lo, s14
	v_and_b32_e32 v2, 0x3ffff000, v34
	v_mov_b32_e32 v19, 0
	s_mov_b32 s13, 0
	s_mov_b32 s24, exec_lo
                                        ; implicit-def: $vgpr20
                                        ; implicit-def: $vgpr21
	v_cmpx_ne_u32_e64 v34, v2
	s_cbranch_execz .LBB6_10425
; %bb.10420:                            ;   in Loop: Header=BB6_10343 Depth=1
	v_and_b32_e32 v19, 0x1ff, v34
	v_lshlrev_b32_e32 v3, 9, v35
	v_sub_nc_u32_e32 v20, 0, v35
	v_bfe_u32 v22, v34, 9, 3
	v_and_b32_e32 v21, 0xfff, v34
	v_cmp_lt_u32_e32 vcc_lo, 15, v19
	v_sub_nc_u32_e32 v3, v26, v3
	v_and_b32_e32 v35, 0x7ffffff, v20
	s_mov_b32 s25, exec_lo
	v_add_co_ci_u32_e64 v22, null, 0, v22, vcc_lo
	v_sub_nc_u32_e32 v20, v21, v3
	v_sub_nc_u32_e32 v21, v22, v35
	v_cmpx_lt_i32_e32 15, v20
	s_cbranch_execz .LBB6_10424
; %bb.10421:                            ;   in Loop: Header=BB6_10343 Depth=1
	v_add_nc_u32_e32 v22, v3, v2
	v_mov_b32_e32 v35, v11
	s_mov_b32 s26, 0
	.p2align	6
.LBB6_10422:                            ;   Parent Loop BB6_10343 Depth=1
                                        ; =>  This Inner Loop Header: Depth=2
	v_add_co_u32 v2, s13, v15, v22
	v_add_co_ci_u32_e64 v3, null, v16, v35, s13
	v_sub_nc_u32_e32 v20, v20, v28
	v_sub_nc_u32_e32 v21, v21, v24
	global_load_dwordx4 v[36:39], v[2:3], off slc
	v_add_co_u32 v2, s13, v17, v22
	v_add_co_ci_u32_e64 v3, null, v18, v35, s13
	v_cmp_gt_i32_e64 s13, 16, v20
	v_add_co_u32 v22, s14, v22, v28
	v_add_co_ci_u32_e64 v35, null, 0, v35, s14
	s_or_b32 s26, s13, s26
	s_waitcnt vmcnt(0)
	global_store_dwordx4 v[2:3], v[36:39], off glc slc
	s_andn2_b32 exec_lo, exec_lo, s26
	s_cbranch_execnz .LBB6_10422
; %bb.10423:                            ;   in Loop: Header=BB6_10343 Depth=1
	s_or_b32 exec_lo, exec_lo, s26
.LBB6_10424:                            ;   in Loop: Header=BB6_10343 Depth=1
	s_or_b32 exec_lo, exec_lo, s25
	v_cmp_lt_i32_e64 s13, 0, v21
	v_and_b32_e32 v2, 15, v34
	v_and_b32_e32 v3, 0x1f0, v34
	v_cndmask_b32_e64 v22, 0, v24, s13
	v_cndmask_b32_e32 v20, v19, v2, vcc_lo
	v_cndmask_b32_e32 v2, 0, v3, vcc_lo
	v_sub_nc_u32_e32 v3, v22, v21
	v_cmp_ne_u32_e32 vcc_lo, 0, v20
	v_and_or_b32 v19, 0x3ffffe00, v34, v2
	v_lshl_or_b32 v21, v3, 5, v23
	s_and_b32 s13, vcc_lo, exec_lo
.LBB6_10425:                            ;   in Loop: Header=BB6_10343 Depth=1
	s_or_b32 exec_lo, exec_lo, s24
	s_and_saveexec_b32 s14, s13
	s_cbranch_execz .LBB6_10434
.LBB6_10426:                            ;   in Loop: Header=BB6_10343 Depth=1
	v_ashrrev_i32_e32 v2, 31, v21
	v_lshrrev_b32_e32 v3, 10, v20
	s_mov_b32 s13, exec_lo
	v_lshrrev_b32_e32 v2, 27, v2
	v_add_nc_u32_e32 v2, v21, v2
	v_ashrrev_i32_e32 v22, 5, v2
	v_sub_nc_u32_e32 v35, v3, v22
	v_cmpx_lt_i32_e32 0, v35
	s_cbranch_execz .LBB6_10430
; %bb.10427:                            ;   in Loop: Header=BB6_10343 Depth=1
	v_and_b32_e32 v2, 0xffffffe0, v2
	v_lshlrev_b32_e32 v3, 10, v22
	s_mov_b32 s24, 0
	v_sub_nc_u32_e32 v2, v21, v2
	v_add3_u32 v36, v19, v2, v3
	v_ashrrev_i32_e32 v37, 31, v36
.LBB6_10428:                            ;   Parent Loop BB6_10343 Depth=1
                                        ; =>  This Inner Loop Header: Depth=2
	v_add_co_u32 v2, vcc_lo, v36, v15
	v_add_co_ci_u32_e64 v3, null, v37, v16, vcc_lo
	v_sub_nc_u32_e32 v35, v35, v24
	s_clause 0x1f
	flat_load_ubyte v38, v[2:3] slc
	flat_load_ubyte v39, v[2:3] offset:32 slc
	flat_load_ubyte v48, v[2:3] offset:64 slc
	;; [unrolled: 1-line block ×31, first 2 shown]
	v_add_co_u32 v2, vcc_lo, v36, v17
	v_add_co_ci_u32_e64 v3, null, v37, v18, vcc_lo
	v_add_co_u32 v15, vcc_lo, v15, v29
	v_add_co_ci_u32_e64 v16, null, 0, v16, vcc_lo
	;; [unrolled: 2-line block ×3, first 2 shown]
	v_cmp_gt_i32_e32 vcc_lo, 1, v35
	s_waitcnt vmcnt(31) lgkmcnt(31)
	flat_store_byte v[2:3], v38 glc slc
	s_waitcnt vmcnt(30) lgkmcnt(31)
	flat_store_byte v[2:3], v39 offset:32 glc slc
	s_waitcnt vmcnt(29) lgkmcnt(31)
	flat_store_byte v[2:3], v48 offset:64 glc slc
	;; [unrolled: 2-line block ×31, first 2 shown]
	s_or_b32 s24, vcc_lo, s24
	s_andn2_b32 exec_lo, exec_lo, s24
	s_cbranch_execnz .LBB6_10428
; %bb.10429:                            ;   in Loop: Header=BB6_10343 Depth=1
	s_or_b32 exec_lo, exec_lo, s24
.LBB6_10430:                            ;   in Loop: Header=BB6_10343 Depth=1
	s_or_b32 exec_lo, exec_lo, s13
	v_and_b32_e32 v2, 0xfffffc00, v20
	v_cmp_ne_u32_e32 vcc_lo, v20, v2
	s_and_b32 exec_lo, exec_lo, vcc_lo
	s_cbranch_execz .LBB6_10434
; %bb.10431:                            ;   in Loop: Header=BB6_10343 Depth=1
	v_lshlrev_b32_e32 v3, 5, v22
	v_lshlrev_b32_e32 v15, 5, v35
	v_sub_nc_u32_e32 v3, v21, v3
	v_sub_nc_u32_e32 v3, v3, v15
	v_and_b32_e32 v15, 0x3ff, v20
	v_sub_nc_u32_e32 v17, v15, v3
	v_cmp_lt_i32_e32 vcc_lo, 0, v17
	s_and_b32 exec_lo, exec_lo, vcc_lo
	s_cbranch_execz .LBB6_10434
; %bb.10432:                            ;   in Loop: Header=BB6_10343 Depth=1
	s_trap 2
	ds_read_b64 v[15:16], v0
	v_add3_u32 v2, v2, v19, v3
	s_mov_b32 s24, 0
	v_ashrrev_i32_e32 v3, 31, v2
	.p2align	6
.LBB6_10433:                            ;   Parent Loop BB6_10343 Depth=1
                                        ; =>  This Inner Loop Header: Depth=2
	s_waitcnt lgkmcnt(0)
	v_add_co_u32 v18, vcc_lo, v15, v2
	v_add_co_ci_u32_e64 v19, null, v16, v3, vcc_lo
	v_sub_nc_u32_e32 v17, v17, v30
	v_add_co_u32 v2, s13, v2, v30
	flat_load_ubyte v20, v[18:19] slc
	v_add_co_ci_u32_e64 v3, null, 0, v3, s13
	v_cmp_gt_i32_e32 vcc_lo, 1, v17
	s_or_b32 s24, vcc_lo, s24
	s_waitcnt vmcnt(0) lgkmcnt(0)
	flat_store_byte v[18:19], v20 glc slc
	s_andn2_b32 exec_lo, exec_lo, s24
	s_cbranch_execnz .LBB6_10433
.LBB6_10434:                            ;   in Loop: Header=BB6_10343 Depth=1
	s_or_b32 exec_lo, exec_lo, s14
	v_cmp_ne_u32_e64 s13, 0, v34
	s_and_saveexec_b32 s14, s6
	s_cbranch_execz .LBB6_10453
.LBB6_10435:                            ;   in Loop: Header=BB6_10343 Depth=1
	s_and_saveexec_b32 s24, s16
	s_xor_b32 s24, exec_lo, s24
	s_cbranch_execz .LBB6_10450
; %bb.10436:                            ;   in Loop: Header=BB6_10343 Depth=1
	s_and_saveexec_b32 s25, s7
	s_cbranch_execz .LBB6_10449
; %bb.10437:                            ;   in Loop: Header=BB6_10343 Depth=1
	s_mov_b32 s27, exec_lo
	s_mov_b32 s26, exec_lo
	v_mbcnt_lo_u32_b32 v2, s27, 0
	s_waitcnt vmcnt(0) lgkmcnt(0)
	s_waitcnt_vscnt null, 0x0
	buffer_gl1_inv
	buffer_gl0_inv
	v_cmpx_eq_u32_e32 0, v2
	s_cbranch_execz .LBB6_10439
; %bb.10438:                            ;   in Loop: Header=BB6_10343 Depth=1
	s_bcnt1_i32_b32 s27, s27
	v_mov_b32_e32 v3, v11
	v_mov_b32_e32 v2, s27
	ds_add_u64 v0, v[2:3]
	s_trap 2
.LBB6_10439:                            ;   in Loop: Header=BB6_10343 Depth=1
	s_or_b32 exec_lo, exec_lo, s26
	s_trap 2
	ds_read_b64 v[2:3], v0
	s_waitcnt lgkmcnt(0)
	buffer_gl0_inv
	v_add_co_u32 v68, vcc_lo, v68, v24
	v_add_co_ci_u32_e64 v69, null, 0, v69, vcc_lo
	s_mov_b32 s26, exec_lo
	v_cmpx_lt_u64_e64 v[2:3], v[68:69]
	s_cbranch_execz .LBB6_10448
; %bb.10440:                            ;   in Loop: Header=BB6_10343 Depth=1
	s_mov_b32 s27, 0
	s_mov_b32 s40, 0
                                        ; implicit-def: $sgpr28
                                        ; implicit-def: $sgpr29
	s_inst_prefetch 0x1
	s_branch .LBB6_10442
	.p2align	6
.LBB6_10441:                            ;   in Loop: Header=BB6_10442 Depth=2
	s_or_b32 exec_lo, exec_lo, s42
	s_and_b32 s41, exec_lo, s43
	s_or_b32 s27, s41, s27
	s_andn2_b32 s28, s28, exec_lo
	s_and_b32 s41, s29, exec_lo
	s_or_b32 s28, s28, s41
	s_andn2_b32 exec_lo, exec_lo, s27
	s_cbranch_execz .LBB6_10446
.LBB6_10442:                            ;   Parent Loop BB6_10343 Depth=1
                                        ; =>  This Inner Loop Header: Depth=2
	s_add_i32 s40, s40, 1
	s_cmpk_lg_i32 s40, 0x2710
	s_cselect_b32 s41, -1, 0
	s_and_b32 vcc_lo, exec_lo, s41
	s_cbranch_vccz .LBB6_10444
; %bb.10443:                            ;   in Loop: Header=BB6_10442 Depth=2
	s_mov_b32 s43, -1
	s_or_b32 s29, s29, exec_lo
	s_and_saveexec_b32 s42, s41
	s_cbranch_execz .LBB6_10441
	s_branch .LBB6_10445
	.p2align	6
.LBB6_10444:                            ;   in Loop: Header=BB6_10442 Depth=2
	s_trap 2
	ds_read_b64 v[2:3], v0
	s_andn2_b32 s41, s41, exec_lo
	s_mov_b32 s40, 0
	s_waitcnt lgkmcnt(0)
	flat_load_dword v2, v[2:3] glc dlc
	s_waitcnt vmcnt(0) lgkmcnt(0)
	buffer_gl1_inv
	buffer_gl0_inv
	v_cmp_eq_u32_e32 vcc_lo, 0, v2
	s_and_b32 s42, vcc_lo, exec_lo
	s_or_b32 s41, s41, s42
	s_mov_b32 s43, -1
	s_or_b32 s29, s29, exec_lo
	s_and_saveexec_b32 s42, s41
	s_cbranch_execz .LBB6_10441
.LBB6_10445:                            ;   in Loop: Header=BB6_10442 Depth=2
	s_sleep 1
	s_trap 2
	ds_read_b64 v[2:3], v0
	s_waitcnt lgkmcnt(0)
	buffer_gl0_inv
	s_andn2_b32 s29, s29, exec_lo
	v_cmp_ge_u64_e32 vcc_lo, v[2:3], v[68:69]
	s_orn2_b32 s43, vcc_lo, exec_lo
	s_branch .LBB6_10441
.LBB6_10446:                            ;   in Loop: Header=BB6_10343 Depth=1
	s_inst_prefetch 0x2
	s_or_b32 exec_lo, exec_lo, s27
	s_and_saveexec_b32 s27, s28
	s_xor_b32 s27, exec_lo, s27
	s_cbranch_execz .LBB6_10448
; %bb.10447:                            ;   in Loop: Header=BB6_10343 Depth=1
	ds_write_b32 v0, v33
	s_trap 2
.LBB6_10448:                            ;   in Loop: Header=BB6_10343 Depth=1
	s_or_b32 exec_lo, exec_lo, s26
	;;#ASMSTART
	s_wakeup
	;;#ASMEND
.LBB6_10449:                            ;   in Loop: Header=BB6_10343 Depth=1
	s_or_b32 exec_lo, exec_lo, s25
.LBB6_10450:                            ;   in Loop: Header=BB6_10343 Depth=1
	s_andn2_saveexec_b32 s24, s24
	s_cbranch_execz .LBB6_10452
; %bb.10451:                            ;   in Loop: Header=BB6_10343 Depth=1
	s_waitcnt vmcnt(0) lgkmcnt(0)
	s_waitcnt_vscnt null, 0x0
	buffer_gl1_inv
	buffer_gl0_inv
	s_barrier
.LBB6_10452:                            ;   in Loop: Header=BB6_10343 Depth=1
	s_or_b32 exec_lo, exec_lo, s24
.LBB6_10453:                            ;   in Loop: Header=BB6_10343 Depth=1
	s_or_b32 exec_lo, exec_lo, s14
	v_and_b32_e32 v2, 16, v117
	v_cmp_ne_u32_e32 vcc_lo, 0, v2
	s_and_b32 s14, vcc_lo, s13
	s_and_saveexec_b32 s13, s14
	s_cbranch_execz .LBB6_10455
; %bb.10454:                            ;   in Loop: Header=BB6_10343 Depth=1
	s_waitcnt vmcnt(0) lgkmcnt(0)
	s_waitcnt_vscnt null, 0x0
	buffer_gl1_inv
	buffer_gl0_inv
.LBB6_10455:                            ;   in Loop: Header=BB6_10343 Depth=1
	s_or_b32 exec_lo, exec_lo, s13
	s_mov_b32 s13, exec_lo
	v_cmpx_ne_u32_e32 0, v2
	s_cbranch_execz .LBB6_10459
; %bb.10456:                            ;   in Loop: Header=BB6_10343 Depth=1
	s_and_saveexec_b32 s14, s12
	s_cbranch_execz .LBB6_10458
; %bb.10457:                            ;   in Loop: Header=BB6_10343 Depth=1
	s_waitcnt vmcnt(0) lgkmcnt(0)
	s_waitcnt_vscnt null, 0x0
	flat_store_dword v[82:83], v33
.LBB6_10458:                            ;   in Loop: Header=BB6_10343 Depth=1
	s_or_b32 exec_lo, exec_lo, s14
	v_add_co_u32 v8, vcc_lo, v8, 1
	v_add_co_ci_u32_e64 v9, null, 0, v9, vcc_lo
	s_waitcnt vmcnt(0) lgkmcnt(0)
	s_waitcnt_vscnt null, 0x0
	flat_store_dwordx2 v[64:65], v[8:9]
.LBB6_10459:                            ;   in Loop: Header=BB6_10343 Depth=1
	s_or_b32 exec_lo, exec_lo, s13
	v_mov_b32_e32 v2, v10
.LBB6_10460:                            ;   in Loop: Header=BB6_10343 Depth=1
	s_or_b32 exec_lo, exec_lo, s23
	s_and_saveexec_b32 s14, s22
	s_cbranch_execz .LBB6_10342
; %bb.10461:                            ;   in Loop: Header=BB6_10343 Depth=1
	v_sub_nc_u32_e32 v2, v14, v2
	v_and_b32_e32 v3, 8, v117
	s_mov_b32 s22, exec_lo
	v_min_i32_e32 v14, v10, v2
	v_cmpx_ne_u32_e32 0, v3
	s_cbranch_execz .LBB6_10483
; %bb.10462:                            ;   in Loop: Header=BB6_10343 Depth=1
	s_waitcnt vmcnt(0)
	v_add_co_u32 v2, vcc_lo, v70, 8
	v_add_co_ci_u32_e64 v3, null, 0, v71, vcc_lo
	s_waitcnt lgkmcnt(0)
	v_add_co_u32 v16, vcc_lo, v8, 1
	v_add_co_ci_u32_e64 v17, null, 0, v9, vcc_lo
	s_mov_b32 s23, exec_lo
	v_cmpx_lt_u64_e64 v[2:3], v[16:17]
	s_cbranch_execz .LBB6_10474
; %bb.10463:                            ;   in Loop: Header=BB6_10343 Depth=1
	v_and_b32_e32 v2, 64, v117
	s_mov_b32 s24, 0
	s_mov_b32 s28, 0
                                        ; implicit-def: $sgpr25
                                        ; implicit-def: $sgpr26
                                        ; implicit-def: $sgpr27
	v_cmp_eq_u32_e32 vcc_lo, 0, v2
	s_branch .LBB6_10467
.LBB6_10464:                            ;   in Loop: Header=BB6_10467 Depth=2
	s_waitcnt vmcnt(0) lgkmcnt(0)
	v_add_co_u32 v2, s13, v70, 8
	v_add_co_ci_u32_e64 v3, null, 0, v71, s13
	s_or_b32 s41, s41, exec_lo
	v_cmp_ge_u64_e64 s13, v[2:3], v[16:17]
	s_orn2_b32 s40, s13, exec_lo
.LBB6_10465:                            ;   in Loop: Header=BB6_10467 Depth=2
	s_or_b32 exec_lo, exec_lo, s43
	s_andn2_b32 s13, s27, exec_lo
	s_and_b32 s27, s41, exec_lo
	s_andn2_b32 s26, s26, exec_lo
	s_and_b32 s40, s40, exec_lo
	s_or_b32 s27, s13, s27
	s_or_b32 s26, s26, s40
.LBB6_10466:                            ;   in Loop: Header=BB6_10467 Depth=2
	s_or_b32 exec_lo, exec_lo, s29
	s_and_b32 s13, exec_lo, s26
	s_or_b32 s24, s13, s24
	s_andn2_b32 s13, s25, exec_lo
	s_and_b32 s25, s27, exec_lo
	s_or_b32 s25, s13, s25
	s_andn2_b32 exec_lo, exec_lo, s24
	s_cbranch_execz .LBB6_10471
.LBB6_10467:                            ;   Parent Loop BB6_10343 Depth=1
                                        ; =>  This Inner Loop Header: Depth=2
	s_sleep 1
	s_waitcnt vmcnt(0) lgkmcnt(0)
	flat_load_dwordx2 v[70:71], v[64:65] glc dlc
	s_or_b32 s27, s27, exec_lo
	s_or_b32 s26, s26, exec_lo
                                        ; implicit-def: $vgpr9
	s_and_saveexec_b32 s29, vcc_lo
	s_cbranch_execz .LBB6_10466
; %bb.10468:                            ;   in Loop: Header=BB6_10467 Depth=2
	s_cmpk_lt_i32 s28, 0x270f
	s_mov_b32 s40, -1
	s_cselect_b32 s42, -1, 0
	s_cmpk_gt_i32 s28, 0x270e
	s_cbranch_scc0 .LBB6_10470
; %bb.10469:                            ;   in Loop: Header=BB6_10467 Depth=2
	s_trap 2
	ds_read_b64 v[2:3], v0
	s_andn2_b32 s28, s42, exec_lo
	s_mov_b32 s41, 0
	s_waitcnt vmcnt(0) lgkmcnt(0)
	s_waitcnt_vscnt null, 0x0
	flat_load_dword v9, v[2:3] glc dlc
	s_waitcnt vmcnt(0) lgkmcnt(0)
	buffer_gl1_inv
	buffer_gl0_inv
	v_cmp_eq_u32_e64 s13, 0, v9
	s_and_b32 s13, s13, exec_lo
	s_or_b32 s42, s28, s13
	s_mov_b32 s28, 0
	s_and_saveexec_b32 s43, s42
	s_cbranch_execz .LBB6_10465
	s_branch .LBB6_10464
.LBB6_10470:                            ;   in Loop: Header=BB6_10467 Depth=2
	s_add_i32 s28, s28, 1
	s_mov_b32 s41, -1
                                        ; implicit-def: $vgpr9
	s_and_saveexec_b32 s43, s42
	s_cbranch_execz .LBB6_10465
	s_branch .LBB6_10464
.LBB6_10471:                            ;   in Loop: Header=BB6_10343 Depth=1
	s_or_b32 exec_lo, exec_lo, s24
	s_xor_b32 s13, s25, -1
	s_and_saveexec_b32 s24, s13
	s_xor_b32 s13, exec_lo, s24
	s_cbranch_execz .LBB6_10473
; %bb.10472:                            ;   in Loop: Header=BB6_10343 Depth=1
	v_or_b32_e32 v117, 64, v117
	s_waitcnt vmcnt(0) lgkmcnt(0)
	s_waitcnt_vscnt null, 0x0
	ds_write_b32 v0, v9
	s_trap 2
.LBB6_10473:                            ;   in Loop: Header=BB6_10343 Depth=1
	s_or_b32 exec_lo, exec_lo, s13
.LBB6_10474:                            ;   in Loop: Header=BB6_10343 Depth=1
	s_or_b32 exec_lo, exec_lo, s23
	v_and_b32_e32 v2, 0x100, v117
	v_and_b32_e32 v10, 7, v8
	s_mov_b32 s13, -1
	s_mov_b32 s23, exec_lo
	;;#ASMSTART
	s_wakeup
	;;#ASMEND
                                        ; implicit-def: $vgpr8_vgpr9
	v_cmpx_ne_u32_e32 0, v2
	s_cbranch_execz .LBB6_10478
; %bb.10475:                            ;   in Loop: Header=BB6_10343 Depth=1
	v_mad_u64_u32 v[18:19], null, v10, 24, v[6:7]
	v_ashrrev_i32_e32 v15, 31, v14
	s_mov_b32 s24, exec_lo
                                        ; implicit-def: $vgpr8_vgpr9
	flat_load_dword v2, v[18:19]
	flat_store_dwordx2 v[18:19], v[14:15] offset:8
	s_waitcnt vmcnt(0) lgkmcnt(1)
	v_cmp_ne_u32_e32 vcc_lo, 1, v2
	v_cmpx_eq_u32_e32 1, v2
	s_cbranch_execz .LBB6_10477
; %bb.10476:                            ;   in Loop: Header=BB6_10343 Depth=1
	flat_load_dword v8, v[18:19] offset:4 glc dlc
	s_waitcnt vmcnt(0) lgkmcnt(0)
	v_ashrrev_i32_e32 v9, 31, v8
.LBB6_10477:                            ;   in Loop: Header=BB6_10343 Depth=1
	s_or_b32 exec_lo, exec_lo, s24
	s_orn2_b32 s13, vcc_lo, exec_lo
.LBB6_10478:                            ;   in Loop: Header=BB6_10343 Depth=1
	s_or_b32 exec_lo, exec_lo, s23
	s_and_saveexec_b32 s23, s13
; %bb.10479:                            ;   in Loop: Header=BB6_10343 Depth=1
	v_mad_i64_i32 v[8:9], null, v10, v118, 0
; %bb.10480:                            ;   in Loop: Header=BB6_10343 Depth=1
	s_or_b32 exec_lo, exec_lo, s23
	v_add_co_u32 v2, vcc_lo, v66, v8
	v_and_b32_e32 v10, 0x2000, v117
	v_add_co_ci_u32_e64 v3, null, v67, v9, vcc_lo
	s_mov_b32 s13, exec_lo
	ds_write_b64 v0, v[2:3] offset:784
	v_cmpx_ne_u32_e32 0, v10
	s_cbranch_execz .LBB6_10482
; %bb.10481:                            ;   in Loop: Header=BB6_10343 Depth=1
	ds_read_b64 v[2:3], v0 offset:872
	s_waitcnt lgkmcnt(0)
	v_add_co_u32 v2, vcc_lo, v2, 1
	v_add_co_ci_u32_e64 v3, null, 0, v3, vcc_lo
	ds_write_b64 v0, v[2:3] offset:872
.LBB6_10482:                            ;   in Loop: Header=BB6_10343 Depth=1
	s_or_b32 exec_lo, exec_lo, s13
	v_mov_b32_e32 v8, v16
	v_mov_b32_e32 v9, v17
.LBB6_10483:                            ;   in Loop: Header=BB6_10343 Depth=1
	s_or_b32 exec_lo, exec_lo, s22
	s_and_saveexec_b32 s13, s6
	s_cbranch_execz .LBB6_10502
; %bb.10484:                            ;   in Loop: Header=BB6_10343 Depth=1
	s_and_saveexec_b32 s22, s16
	s_xor_b32 s22, exec_lo, s22
	s_cbranch_execz .LBB6_10499
; %bb.10485:                            ;   in Loop: Header=BB6_10343 Depth=1
	s_and_saveexec_b32 s23, s7
	s_cbranch_execz .LBB6_10498
; %bb.10486:                            ;   in Loop: Header=BB6_10343 Depth=1
	s_mov_b32 s25, exec_lo
	s_mov_b32 s24, exec_lo
	v_mbcnt_lo_u32_b32 v2, s25, 0
	s_waitcnt vmcnt(0) lgkmcnt(0)
	s_waitcnt_vscnt null, 0x0
	buffer_gl1_inv
	buffer_gl0_inv
	v_cmpx_eq_u32_e32 0, v2
	s_cbranch_execz .LBB6_10488
; %bb.10487:                            ;   in Loop: Header=BB6_10343 Depth=1
	s_bcnt1_i32_b32 s25, s25
	v_mov_b32_e32 v10, s25
	ds_add_u64 v0, v[10:11]
	s_trap 2
.LBB6_10488:                            ;   in Loop: Header=BB6_10343 Depth=1
	s_or_b32 exec_lo, exec_lo, s24
	s_trap 2
	ds_read_b64 v[2:3], v0
	s_waitcnt lgkmcnt(0)
	buffer_gl0_inv
	v_add_co_u32 v68, vcc_lo, v68, v24
	v_add_co_ci_u32_e64 v69, null, 0, v69, vcc_lo
	s_mov_b32 s24, exec_lo
	v_cmpx_lt_u64_e64 v[2:3], v[68:69]
	s_cbranch_execz .LBB6_10497
; %bb.10489:                            ;   in Loop: Header=BB6_10343 Depth=1
	s_mov_b32 s25, 0
	s_mov_b32 s28, 0
                                        ; implicit-def: $sgpr26
                                        ; implicit-def: $sgpr27
	s_inst_prefetch 0x1
	s_branch .LBB6_10491
	.p2align	6
.LBB6_10490:                            ;   in Loop: Header=BB6_10491 Depth=2
	s_or_b32 exec_lo, exec_lo, s40
	s_and_b32 s29, exec_lo, s41
	s_or_b32 s25, s29, s25
	s_andn2_b32 s26, s26, exec_lo
	s_and_b32 s29, s27, exec_lo
	s_or_b32 s26, s26, s29
	s_andn2_b32 exec_lo, exec_lo, s25
	s_cbranch_execz .LBB6_10495
.LBB6_10491:                            ;   Parent Loop BB6_10343 Depth=1
                                        ; =>  This Inner Loop Header: Depth=2
	s_add_i32 s28, s28, 1
	s_cmpk_lg_i32 s28, 0x2710
	s_cselect_b32 s29, -1, 0
	s_and_b32 vcc_lo, exec_lo, s29
	s_cbranch_vccz .LBB6_10493
; %bb.10492:                            ;   in Loop: Header=BB6_10491 Depth=2
	s_mov_b32 s41, -1
	s_or_b32 s27, s27, exec_lo
	s_and_saveexec_b32 s40, s29
	s_cbranch_execz .LBB6_10490
	s_branch .LBB6_10494
	.p2align	6
.LBB6_10493:                            ;   in Loop: Header=BB6_10491 Depth=2
	s_trap 2
	ds_read_b64 v[2:3], v0
	s_andn2_b32 s29, s29, exec_lo
	s_mov_b32 s28, 0
	s_waitcnt lgkmcnt(0)
	flat_load_dword v2, v[2:3] glc dlc
	s_waitcnt vmcnt(0) lgkmcnt(0)
	buffer_gl1_inv
	buffer_gl0_inv
	v_cmp_eq_u32_e32 vcc_lo, 0, v2
	s_and_b32 s40, vcc_lo, exec_lo
	s_or_b32 s29, s29, s40
	s_mov_b32 s41, -1
	s_or_b32 s27, s27, exec_lo
	s_and_saveexec_b32 s40, s29
	s_cbranch_execz .LBB6_10490
.LBB6_10494:                            ;   in Loop: Header=BB6_10491 Depth=2
	s_sleep 1
	s_trap 2
	ds_read_b64 v[2:3], v0
	s_waitcnt lgkmcnt(0)
	buffer_gl0_inv
	s_andn2_b32 s27, s27, exec_lo
	v_cmp_ge_u64_e32 vcc_lo, v[2:3], v[68:69]
	s_orn2_b32 s41, vcc_lo, exec_lo
	s_branch .LBB6_10490
.LBB6_10495:                            ;   in Loop: Header=BB6_10343 Depth=1
	s_inst_prefetch 0x2
	s_or_b32 exec_lo, exec_lo, s25
	s_and_saveexec_b32 s25, s26
	s_xor_b32 s25, exec_lo, s25
	s_cbranch_execz .LBB6_10497
; %bb.10496:                            ;   in Loop: Header=BB6_10343 Depth=1
	ds_write_b32 v0, v33
	s_trap 2
.LBB6_10497:                            ;   in Loop: Header=BB6_10343 Depth=1
	s_or_b32 exec_lo, exec_lo, s24
	;;#ASMSTART
	s_wakeup
	;;#ASMEND
.LBB6_10498:                            ;   in Loop: Header=BB6_10343 Depth=1
	s_or_b32 exec_lo, exec_lo, s23
.LBB6_10499:                            ;   in Loop: Header=BB6_10343 Depth=1
	s_andn2_saveexec_b32 s22, s22
	s_cbranch_execz .LBB6_10501
; %bb.10500:                            ;   in Loop: Header=BB6_10343 Depth=1
	s_waitcnt vmcnt(0) lgkmcnt(0)
	s_waitcnt_vscnt null, 0x0
	buffer_gl1_inv
	buffer_gl0_inv
	s_barrier
.LBB6_10501:                            ;   in Loop: Header=BB6_10343 Depth=1
	s_or_b32 exec_lo, exec_lo, s22
.LBB6_10502:                            ;   in Loop: Header=BB6_10343 Depth=1
	s_or_b32 exec_lo, exec_lo, s13
	s_trap 2
	ds_read_b32 v2, v0
	v_cmp_lt_i32_e32 vcc_lo, 0, v14
	s_waitcnt lgkmcnt(0)
	v_readfirstlane_b32 s13, v2
	v_and_b32_e32 v2, 16, v117
	s_cmp_eq_u32 s13, 0
	v_cmp_ne_u32_e64 s13, 0, v2
	s_cselect_b32 s22, -1, 0
	s_and_b32 s22, vcc_lo, s22
	s_and_b32 s22, s13, s22
	s_and_saveexec_b32 s13, s22
	s_cbranch_execz .LBB6_10504
; %bb.10503:                            ;   in Loop: Header=BB6_10343 Depth=1
	s_waitcnt vmcnt(0)
	s_waitcnt_vscnt null, 0x0
	buffer_gl1_inv
	buffer_gl0_inv
.LBB6_10504:                            ;   in Loop: Header=BB6_10343 Depth=1
	s_or_b32 exec_lo, exec_lo, s13
	s_mov_b32 s13, exec_lo
	v_cmpx_ne_u32_e32 0, v2
	s_cbranch_execz .LBB6_10341
; %bb.10505:                            ;   in Loop: Header=BB6_10343 Depth=1
	s_and_saveexec_b32 s22, s12
	s_cbranch_execz .LBB6_10340
; %bb.10506:                            ;   in Loop: Header=BB6_10343 Depth=1
	s_waitcnt vmcnt(0)
	s_waitcnt_vscnt null, 0x0
	flat_store_dword v[82:83], v33
	s_branch .LBB6_10340
.LBB6_10507:
	s_or_b32 exec_lo, exec_lo, s19
.LBB6_10508:
	s_or_b32 exec_lo, exec_lo, s18
.LBB6_10509:
	s_or_b32 exec_lo, exec_lo, s17
	v_and_b32_e32 v0, 0x800, v117
	s_mov_b32 s5, exec_lo
	v_cmpx_eq_u32_e32 0, v0
	s_cbranch_execz .LBB6_10542
; %bb.10510:
	v_and_b32_e32 v0, 48, v117
	s_mov_b32 s4, exec_lo
	v_cmpx_ne_u32_e32 0, v0
	s_cbranch_execz .LBB6_10512
; %bb.10511:
	s_waitcnt vmcnt(0) lgkmcnt(0)
	flat_store_dwordx2 v[54:55], v[8:9] offset:104
.LBB6_10512:
	s_or_b32 exec_lo, exec_lo, s4
	v_and_b32_e32 v0, 0x88, v117
	s_mov_b32 s6, exec_lo
	v_cmpx_eq_u32_e32 0x88, v0
	s_cbranch_execz .LBB6_10522
; %bb.10513:
	s_waitcnt vmcnt(0) lgkmcnt(0)
	v_add_nc_u32_e32 v0, -1, v8
	s_mov_b32 s7, 0
	v_and_b32_e32 v0, 7, v0
	v_mad_u64_u32 v[4:5], null, v0, 24, v[6:7]
	v_and_b32_e32 v0, 64, v117
	v_cmp_eq_u32_e64 s4, 0, v0
	flat_load_dwordx2 v[2:3], v[4:5] offset:8 glc dlc
	s_waitcnt vmcnt(0) lgkmcnt(0)
	v_cmp_ne_u64_e32 vcc_lo, -1, v[2:3]
	s_and_b32 s4, vcc_lo, s4
	s_and_b32 exec_lo, exec_lo, s4
	s_cbranch_execz .LBB6_10522
; %bb.10514:
	s_mov_b32 s11, 0
                                        ; implicit-def: $sgpr4
                                        ; implicit-def: $sgpr10
	s_inst_prefetch 0x1
	s_branch .LBB6_10517
	.p2align	6
.LBB6_10515:                            ;   in Loop: Header=BB6_10517 Depth=1
	flat_load_dwordx2 v[2:3], v[4:5] offset:8 glc dlc
	s_waitcnt vmcnt(0)
	s_andn2_b32 s10, s10, exec_lo
	s_waitcnt lgkmcnt(0)
	v_cmp_eq_u64_e32 vcc_lo, -1, v[2:3]
	s_orn2_b32 s13, vcc_lo, exec_lo
.LBB6_10516:                            ;   in Loop: Header=BB6_10517 Depth=1
	s_or_b32 exec_lo, exec_lo, s14
	s_and_b32 s12, exec_lo, s13
	s_or_b32 s7, s12, s7
	s_andn2_b32 s4, s4, exec_lo
	s_and_b32 s12, s10, exec_lo
	s_or_b32 s4, s4, s12
	s_andn2_b32 exec_lo, exec_lo, s7
	s_cbranch_execz .LBB6_10520
.LBB6_10517:                            ; =>This Inner Loop Header: Depth=1
	s_cmpk_lt_i32 s11, 0x270f
	s_cselect_b32 s12, -1, 0
	s_and_b32 vcc_lo, exec_lo, s12
	s_cbranch_vccnz .LBB6_10519
; %bb.10518:                            ;   in Loop: Header=BB6_10517 Depth=1
	s_trap 2
	ds_read_b64 v[2:3], v0
	s_andn2_b32 s12, s12, exec_lo
	s_mov_b32 s11, 0
	s_waitcnt lgkmcnt(0)
	s_waitcnt_vscnt null, 0x0
	flat_load_dword v0, v[2:3] glc dlc
	s_waitcnt vmcnt(0) lgkmcnt(0)
	buffer_gl1_inv
	buffer_gl0_inv
	v_cmp_eq_u32_e32 vcc_lo, 0, v0
	s_and_b32 s13, vcc_lo, exec_lo
	s_or_b32 s12, s12, s13
	s_mov_b32 s13, -1
	s_or_b32 s10, s10, exec_lo
	s_and_saveexec_b32 s14, s12
	s_cbranch_execz .LBB6_10516
	s_branch .LBB6_10515
	.p2align	6
.LBB6_10519:                            ;   in Loop: Header=BB6_10517 Depth=1
	s_add_i32 s11, s11, 1
                                        ; implicit-def: $vgpr0
	s_mov_b32 s13, -1
	s_or_b32 s10, s10, exec_lo
	s_and_saveexec_b32 s14, s12
	s_cbranch_execz .LBB6_10516
	s_branch .LBB6_10515
.LBB6_10520:
	s_inst_prefetch 0x2
	s_or_b32 exec_lo, exec_lo, s7
	s_and_saveexec_b32 s7, s4
	s_xor_b32 s7, exec_lo, s7
	s_cbranch_execz .LBB6_10522
; %bb.10521:
	s_waitcnt_vscnt null, 0x0
	ds_write_b32 v0, v0
	s_trap 2
.LBB6_10522:
	s_or_b32 exec_lo, exec_lo, s6
	v_and_b32_e32 v0, 0x2000, v117
	s_mov_b32 s4, exec_lo
	v_cmpx_ne_u32_e32 0, v0
	s_cbranch_execz .LBB6_10524
; %bb.10523:
	s_trap 2
	ds_read_b64 v[2:3], v0
	s_clause 0x1
	buffer_load_dword v4, off, s[0:3], s33 offset:188
	buffer_load_dword v5, off, s[0:3], s33 offset:192
	s_waitcnt vmcnt(0) lgkmcnt(0)
	flat_store_dwordx2 v[4:5], v[2:3] offset:16
.LBB6_10524:
	s_or_b32 exec_lo, exec_lo, s4
	v_cmp_ne_u32_e32 vcc_lo, 32, v1
	s_and_b32 exec_lo, exec_lo, vcc_lo
	s_cbranch_execz .LBB6_10542
; %bb.10525:
	s_waitcnt vmcnt(0)
	v_cmp_ne_u32_sdwa s4, v1, v116 src0_sel:DWORD src1_sel:WORD_0
	s_and_saveexec_b32 s6, s4
	s_xor_b32 s4, exec_lo, s6
	s_cbranch_execz .LBB6_10540
; %bb.10526:
	v_and_b32_e32 v0, 31, v31
	s_mov_b32 s6, exec_lo
	v_cmpx_eq_u32_e32 0, v0
	s_cbranch_execz .LBB6_10539
; %bb.10527:
	s_mov_b32 s10, exec_lo
	s_mov_b32 s7, exec_lo
	v_mbcnt_lo_u32_b32 v0, s10, 0
	s_waitcnt lgkmcnt(0)
	s_waitcnt_vscnt null, 0x0
	buffer_gl1_inv
	buffer_gl0_inv
	v_cmpx_eq_u32_e32 0, v0
	s_cbranch_execz .LBB6_10529
; %bb.10528:
	s_bcnt1_i32_b32 s10, s10
	v_mov_b32_e32 v3, 0
	v_mov_b32_e32 v2, s10
	ds_add_u64 v0, v[2:3]
	s_trap 2
.LBB6_10529:
	s_or_b32 exec_lo, exec_lo, s7
	s_trap 2
	ds_read_b64 v[2:3], v0
	s_waitcnt lgkmcnt(0)
	buffer_gl0_inv
	v_lshrrev_b32_e32 v0, 5, v1
	s_mov_b32 s7, exec_lo
	v_add_co_u32 v0, vcc_lo, v68, v0
	v_add_co_ci_u32_e64 v1, null, 0, v69, vcc_lo
	v_cmpx_lt_u64_e64 v[2:3], v[0:1]
	s_cbranch_execz .LBB6_10538
; %bb.10530:
	s_mov_b32 s10, 0
	s_mov_b32 s13, 0
                                        ; implicit-def: $sgpr11
                                        ; implicit-def: $sgpr12
	s_inst_prefetch 0x1
	s_branch .LBB6_10532
	.p2align	6
.LBB6_10531:                            ;   in Loop: Header=BB6_10532 Depth=1
	s_or_b32 exec_lo, exec_lo, s16
	s_and_b32 s14, exec_lo, s17
	s_or_b32 s10, s14, s10
	s_andn2_b32 s11, s11, exec_lo
	s_and_b32 s14, s12, exec_lo
	s_or_b32 s11, s11, s14
	s_andn2_b32 exec_lo, exec_lo, s10
	s_cbranch_execz .LBB6_10536
.LBB6_10532:                            ; =>This Inner Loop Header: Depth=1
	s_add_i32 s13, s13, 1
	s_cmpk_lg_i32 s13, 0x2710
	s_cselect_b32 s14, -1, 0
	s_and_b32 vcc_lo, exec_lo, s14
	s_cbranch_vccz .LBB6_10534
; %bb.10533:                            ;   in Loop: Header=BB6_10532 Depth=1
	s_mov_b32 s17, -1
	s_or_b32 s12, s12, exec_lo
	s_and_saveexec_b32 s16, s14
	s_cbranch_execz .LBB6_10531
	s_branch .LBB6_10535
.LBB6_10534:                            ;   in Loop: Header=BB6_10532 Depth=1
	s_trap 2
	ds_read_b64 v[2:3], v0
	s_andn2_b32 s14, s14, exec_lo
	s_mov_b32 s13, 0
	s_waitcnt lgkmcnt(0)
	flat_load_dword v2, v[2:3] glc dlc
	s_waitcnt vmcnt(0) lgkmcnt(0)
	buffer_gl1_inv
	buffer_gl0_inv
	v_cmp_eq_u32_e32 vcc_lo, 0, v2
	s_and_b32 s16, vcc_lo, exec_lo
	s_or_b32 s14, s14, s16
	s_mov_b32 s17, -1
	s_or_b32 s12, s12, exec_lo
	s_and_saveexec_b32 s16, s14
	s_cbranch_execz .LBB6_10531
.LBB6_10535:                            ;   in Loop: Header=BB6_10532 Depth=1
	s_sleep 1
	s_trap 2
	ds_read_b64 v[2:3], v0
	s_waitcnt lgkmcnt(0)
	buffer_gl0_inv
	s_andn2_b32 s12, s12, exec_lo
	v_cmp_ge_u64_e32 vcc_lo, v[2:3], v[0:1]
	s_orn2_b32 s17, vcc_lo, exec_lo
	s_branch .LBB6_10531
.LBB6_10536:
	s_inst_prefetch 0x2
	s_or_b32 exec_lo, exec_lo, s10
	s_and_saveexec_b32 s10, s11
	s_xor_b32 s10, exec_lo, s10
	s_cbranch_execz .LBB6_10538
; %bb.10537:
	v_mov_b32_e32 v0, 1
	ds_write_b32 v0, v0
	s_trap 2
.LBB6_10538:
	s_or_b32 exec_lo, exec_lo, s7
	;;#ASMSTART
	s_wakeup
	;;#ASMEND
.LBB6_10539:
	s_or_b32 exec_lo, exec_lo, s6
.LBB6_10540:
	s_andn2_saveexec_b32 s4, s4
	s_cbranch_execz .LBB6_10542
; %bb.10541:
	s_waitcnt lgkmcnt(0)
	s_waitcnt_vscnt null, 0x0
	buffer_gl1_inv
	buffer_gl0_inv
	s_barrier
.LBB6_10542:
	s_or_b32 exec_lo, exec_lo, s5
.LBB6_10543:
	s_andn2_saveexec_b32 s25, s15
	s_cbranch_execz .LBB6_10545
; %bb.10544:
	s_getpc_b64 s[4:5]
	s_add_u32 s4, s4, __PRETTY_FUNCTION__._ZN10PrimitivesI12rccl_bfloat810FuncMinMaxIS0_E12FanSymmetricILi1EELi0E11ProtoSimpleILi1ELi1ELi0ELi4ELi0ELi0EELi0ELb0ELi0ELi0ELi0EEC2EiiPKiS9_PKvPvmhhhP15ncclDevWorkCollP14ncclDevWorkP2pii@rel32@lo+4
	s_addc_u32 s5, s5, __PRETTY_FUNCTION__._ZN10PrimitivesI12rccl_bfloat810FuncMinMaxIS0_E12FanSymmetricILi1EELi0E11ProtoSimpleILi1ELi1ELi0ELi4ELi0ELi0EELi0ELb0ELi0ELi0ELi0EEC2EiiPKiS9_PKvPvmhhhP15ncclDevWorkCollP14ncclDevWorkP2pii@rel32@hi+12
	v_mov_b32_e32 v0, s4
	v_mov_b32_e32 v1, s5
	s_getpc_b64 s[6:7]
	s_add_u32 s6, s6, __assert_fail@rel32@lo+4
	s_addc_u32 s7, s7, __assert_fail@rel32@hi+12
	s_swappc_b64 s[30:31], s[6:7]
	; divergent unreachable
.LBB6_10545:
	s_or_b32 exec_lo, exec_lo, s25
	s_clause 0x2e
	buffer_load_dword v126, off, s[0:3], s33
	buffer_load_dword v125, off, s[0:3], s33 offset:4
	buffer_load_dword v124, off, s[0:3], s33 offset:8
	;; [unrolled: 1-line block ×46, first 2 shown]
	v_readlane_b32 s30, v127, 0
	v_readlane_b32 s31, v127, 1
	s_mov_b32 s32, s33
	s_or_saveexec_b32 s4, -1
	buffer_load_dword v127, off, s[0:3], s33 offset:200 ; 4-byte Folded Reload
	s_mov_b32 exec_lo, s4
	s_mov_b32 s33, s47
	s_waitcnt vmcnt(0) lgkmcnt(0)
	s_setpc_b64 s[30:31]
.Lfunc_end6:
	.size	_ZN12_GLOBAL__N_17runRingI12rccl_bfloat810FuncMinMaxIS1_E11ProtoSimpleILi1ELi1ELi0ELi4ELi0ELi0EELi0ELi4ELi0EEEviiP15ncclDevWorkColl, .Lfunc_end6-_ZN12_GLOBAL__N_17runRingI12rccl_bfloat810FuncMinMaxIS1_E11ProtoSimpleILi1ELi1ELi0ELi4ELi0ELi0EELi0ELi4ELi0EEEviiP15ncclDevWorkColl
                                        ; -- End function
	.set .L_ZN12_GLOBAL__N_17runRingI12rccl_bfloat810FuncMinMaxIS1_E11ProtoSimpleILi1ELi1ELi0ELi4ELi0ELi0EELi0ELi4ELi0EEEviiP15ncclDevWorkColl.num_vgpr, max(128, .L__assert_fail.num_vgpr)
	.set .L_ZN12_GLOBAL__N_17runRingI12rccl_bfloat810FuncMinMaxIS1_E11ProtoSimpleILi1ELi1ELi0ELi4ELi0ELi0EELi0ELi4ELi0EEEviiP15ncclDevWorkColl.num_agpr, max(0, .L__assert_fail.num_agpr)
	.set .L_ZN12_GLOBAL__N_17runRingI12rccl_bfloat810FuncMinMaxIS1_E11ProtoSimpleILi1ELi1ELi0ELi4ELi0ELi0EELi0ELi4ELi0EEEviiP15ncclDevWorkColl.numbered_sgpr, max(48, .L__assert_fail.numbered_sgpr)
	.set .L_ZN12_GLOBAL__N_17runRingI12rccl_bfloat810FuncMinMaxIS1_E11ProtoSimpleILi1ELi1ELi0ELi4ELi0ELi0EELi0ELi4ELi0EEEviiP15ncclDevWorkColl.num_named_barrier, max(0, .L__assert_fail.num_named_barrier)
	.set .L_ZN12_GLOBAL__N_17runRingI12rccl_bfloat810FuncMinMaxIS1_E11ProtoSimpleILi1ELi1ELi0ELi4ELi0ELi0EELi0ELi4ELi0EEEviiP15ncclDevWorkColl.private_seg_size, 208+max(.L__assert_fail.private_seg_size)
	.set .L_ZN12_GLOBAL__N_17runRingI12rccl_bfloat810FuncMinMaxIS1_E11ProtoSimpleILi1ELi1ELi0ELi4ELi0ELi0EELi0ELi4ELi0EEEviiP15ncclDevWorkColl.uses_vcc, or(1, .L__assert_fail.uses_vcc)
	.set .L_ZN12_GLOBAL__N_17runRingI12rccl_bfloat810FuncMinMaxIS1_E11ProtoSimpleILi1ELi1ELi0ELi4ELi0ELi0EELi0ELi4ELi0EEEviiP15ncclDevWorkColl.uses_flat_scratch, or(1, .L__assert_fail.uses_flat_scratch)
	.set .L_ZN12_GLOBAL__N_17runRingI12rccl_bfloat810FuncMinMaxIS1_E11ProtoSimpleILi1ELi1ELi0ELi4ELi0ELi0EELi0ELi4ELi0EEEviiP15ncclDevWorkColl.has_dyn_sized_stack, or(0, .L__assert_fail.has_dyn_sized_stack)
	.set .L_ZN12_GLOBAL__N_17runRingI12rccl_bfloat810FuncMinMaxIS1_E11ProtoSimpleILi1ELi1ELi0ELi4ELi0ELi0EELi0ELi4ELi0EEEviiP15ncclDevWorkColl.has_recursion, or(1, .L__assert_fail.has_recursion)
	.set .L_ZN12_GLOBAL__N_17runRingI12rccl_bfloat810FuncMinMaxIS1_E11ProtoSimpleILi1ELi1ELi0ELi4ELi0ELi0EELi0ELi4ELi0EEEviiP15ncclDevWorkColl.has_indirect_call, or(0, .L__assert_fail.has_indirect_call)
	.section	.AMDGPU.csdata,"",@progbits
; Function info:
; codeLenInByte = 328984
; TotalNumSgprs: 50
; NumVgprs: 128
; ScratchSize: 272
; MemoryBound: 1
	.text
	.p2align	2                               ; -- Begin function _Z50ncclDevFunc_Reduce_RING_SIMPLE_MinMax_f8e5m2_0_0_4v
	.type	_Z50ncclDevFunc_Reduce_RING_SIMPLE_MinMax_f8e5m2_0_0_4v,@function
_Z50ncclDevFunc_Reduce_RING_SIMPLE_MinMax_f8e5m2_0_0_4v: ; @_Z50ncclDevFunc_Reduce_RING_SIMPLE_MinMax_f8e5m2_0_0_4v
; %bb.0:
	s_waitcnt vmcnt(0) expcnt(0) lgkmcnt(0)
	s_mov_b32 s61, s33
	s_mov_b32 s33, s32
	s_or_saveexec_b32 s4, -1
	buffer_store_dword v43, off, s[0:3], s33 offset:16 ; 4-byte Folded Spill
	s_mov_b32 exec_lo, s4
	s_addk_i32 s32, 0x400
	buffer_store_dword v40, off, s[0:3], s33 offset:12 ; 4-byte Folded Spill
	buffer_store_dword v41, off, s[0:3], s33 offset:8 ; 4-byte Folded Spill
	;; [unrolled: 1-line block ×3, first 2 shown]
	buffer_store_dword v127, off, s[0:3], s33 ; 4-byte Folded Spill
	v_writelane_b32 v43, s34, 0
	v_writelane_b32 v43, s35, 1
	;; [unrolled: 1-line block ×4, first 2 shown]
	s_trap 2
	ds_read_b32 v0, v0
	v_mov_b32_e32 v40, v31
	s_mov_b32 s58, s12
	s_mov_b64 s[56:57], s[8:9]
	s_mov_b32 s4, exec_lo
	v_and_b32_e32 v41, 0x3ff, v40
	s_waitcnt lgkmcnt(0)
	v_cmpx_lt_i32_e64 v41, v0
	s_cbranch_execz .LBB7_5
; %bb.1:
	s_load_dword s5, s[56:57], 0x0
	v_mov_b32_e32 v1, 0
	v_mov_b32_e32 v3, v41
                                        ; implicit-def: $vgpr4
	s_waitcnt lgkmcnt(0)
	s_cmp_lt_u32 s58, s5
	s_cselect_b32 s5, 12, 18
	s_add_u32 s6, s56, s5
	s_addc_u32 s7, s57, 0
	s_mov_b32 s5, 0
	global_load_ushort v1, v1, s[6:7]
	s_trap 2
	ds_read_b32 v2, v0
	s_mov_b32 s6, 0
	s_waitcnt vmcnt(0) lgkmcnt(0)
	v_mul_lo_u32 v2, v2, v1
	s_branch .LBB7_3
	.p2align	6
.LBB7_2:                                ;   in Loop: Header=BB7_3 Depth=1
	s_or_b32 exec_lo, exec_lo, s7
	v_add_nc_u32_e32 v3, v3, v1
	v_add_nc_u32_e32 v4, v4, v2
	v_cmp_ge_i32_e32 vcc_lo, v3, v0
	s_or_b32 s6, vcc_lo, s6
	s_andn2_b32 exec_lo, exec_lo, s6
	s_cbranch_execz .LBB7_5
.LBB7_3:                                ; =>This Inner Loop Header: Depth=1
	ds_read_b32 v5, v4
	s_mov_b32 s7, exec_lo
	s_waitcnt lgkmcnt(0)
	v_and_b32_e32 v5, 0x1000000, v5
	v_cmpx_ne_u32_e32 0, v5
	s_cbranch_execz .LBB7_2
; %bb.4:                                ;   in Loop: Header=BB7_3 Depth=1
	ds_read_b64 v[5:6], v4 offset:104
	s_waitcnt lgkmcnt(0)
	flat_load_ubyte v5, v[5:6]
	v_mov_b32_e32 v6, s5
	s_waitcnt vmcnt(0) lgkmcnt(0)
	v_and_b32_e32 v5, 0xffff, v5
	ds_write_b64 v4, v[5:6] offset:104
	s_branch .LBB7_2
.LBB7_5:
	s_or_b32 exec_lo, exec_lo, s4
	s_waitcnt lgkmcnt(0)
	s_waitcnt_vscnt null, 0x0
	s_barrier
	buffer_gl0_inv
	s_trap 2
	ds_read_b32 v0, v0
	s_waitcnt lgkmcnt(0)
	v_cmp_gt_i32_e32 vcc_lo, 1, v0
	s_cbranch_vccnz .LBB7_13
; %bb.6:
	v_mov_b32_e32 v42, 5
	s_mov_b32 s59, 0
	s_inst_prefetch 0x1
	s_branch .LBB7_8
	.p2align	6
.LBB7_7:                                ;   in Loop: Header=BB7_8 Depth=1
	s_or_b32 exec_lo, exec_lo, s60
	s_trap 2
	ds_read_b32 v0, v0
	s_add_i32 s59, s59, 1
	s_waitcnt lgkmcnt(0)
	v_cmp_lt_i32_e32 vcc_lo, s59, v0
	s_cbranch_vccz .LBB7_13
.LBB7_8:                                ; =>This Inner Loop Header: Depth=1
	s_trap 2
	ds_read_b32 v0, v0
	s_cmp_eq_u32 s59, 0
	s_cbranch_scc1 .LBB7_11
; %bb.9:                                ;   in Loop: Header=BB7_8 Depth=1
	s_trap 2
	s_waitcnt lgkmcnt(0)
	ds_read_b32 v1, v0
	s_waitcnt lgkmcnt(0)
	v_xor_b32_e32 v1, v1, v0
	v_and_b32_e32 v1, 0xff0000, v1
	v_cmp_eq_u32_e32 vcc_lo, 0, v1
	s_cbranch_vccnz .LBB7_11
; %bb.10:                               ;   in Loop: Header=BB7_8 Depth=1
	s_barrier
	buffer_gl0_inv
	ds_read_b32 v0, v0
.LBB7_11:                               ;   in Loop: Header=BB7_8 Depth=1
	s_waitcnt lgkmcnt(0)
	v_lshlrev_b32_sdwa v1, v42, v0 dst_sel:DWORD dst_unused:UNUSED_PAD src0_sel:DWORD src1_sel:BYTE_2
	s_mov_b32 s60, exec_lo
	v_cmpx_lt_u32_e64 v41, v1
	s_cbranch_execz .LBB7_7
; %bb.12:                               ;   in Loop: Header=BB7_8 Depth=1
	s_mov_b64 s[4:5], src_shared_base
	v_mov_b32_e32 v31, v40
	v_mov_b32_e32 v0, v41
	;; [unrolled: 1-line block ×3, first 2 shown]
	s_getpc_b64 s[6:7]
	s_add_u32 s6, s6, _ZN12_GLOBAL__N_17runRingI12rccl_bfloat810FuncMinMaxIS1_E11ProtoSimpleILi1ELi1ELi0ELi4ELi0ELi0EELi0ELi4ELi0EEEviiP15ncclDevWorkColl@rel32@lo+4
	s_addc_u32 s7, s7, _ZN12_GLOBAL__N_17runRingI12rccl_bfloat810FuncMinMaxIS1_E11ProtoSimpleILi1ELi1ELi0ELi4ELi0ELi0EELi0ELi4ELi0EEEviiP15ncclDevWorkColl@rel32@hi+12
	s_mov_b64 s[8:9], s[56:57]
	s_mov_b32 s12, s58
	s_swappc_b64 s[30:31], s[6:7]
	s_branch .LBB7_7
.LBB7_13:
	s_inst_prefetch 0x2
	s_clause 0x3
	buffer_load_dword v127, off, s[0:3], s33
	buffer_load_dword v42, off, s[0:3], s33 offset:4
	buffer_load_dword v41, off, s[0:3], s33 offset:8
	;; [unrolled: 1-line block ×3, first 2 shown]
	v_readlane_b32 s30, v43, 2
	v_readlane_b32 s31, v43, 3
	;; [unrolled: 1-line block ×4, first 2 shown]
	s_mov_b32 s32, s33
	s_or_saveexec_b32 s4, -1
	buffer_load_dword v43, off, s[0:3], s33 offset:16 ; 4-byte Folded Reload
	s_mov_b32 exec_lo, s4
	s_mov_b32 s33, s61
	s_waitcnt vmcnt(0)
	s_setpc_b64 s[30:31]
.Lfunc_end7:
	.size	_Z50ncclDevFunc_Reduce_RING_SIMPLE_MinMax_f8e5m2_0_0_4v, .Lfunc_end7-_Z50ncclDevFunc_Reduce_RING_SIMPLE_MinMax_f8e5m2_0_0_4v
                                        ; -- End function
	.set .L_Z50ncclDevFunc_Reduce_RING_SIMPLE_MinMax_f8e5m2_0_0_4v.num_vgpr, max(128, .L_ZN12_GLOBAL__N_17runRingI12rccl_bfloat810FuncMinMaxIS1_E11ProtoSimpleILi1ELi1ELi0ELi4ELi0ELi0EELi0ELi4ELi0EEEviiP15ncclDevWorkColl.num_vgpr)
	.set .L_Z50ncclDevFunc_Reduce_RING_SIMPLE_MinMax_f8e5m2_0_0_4v.num_agpr, max(0, .L_ZN12_GLOBAL__N_17runRingI12rccl_bfloat810FuncMinMaxIS1_E11ProtoSimpleILi1ELi1ELi0ELi4ELi0ELi0EELi0ELi4ELi0EEEviiP15ncclDevWorkColl.num_agpr)
	.set .L_Z50ncclDevFunc_Reduce_RING_SIMPLE_MinMax_f8e5m2_0_0_4v.numbered_sgpr, max(62, .L_ZN12_GLOBAL__N_17runRingI12rccl_bfloat810FuncMinMaxIS1_E11ProtoSimpleILi1ELi1ELi0ELi4ELi0ELi0EELi0ELi4ELi0EEEviiP15ncclDevWorkColl.numbered_sgpr)
	.set .L_Z50ncclDevFunc_Reduce_RING_SIMPLE_MinMax_f8e5m2_0_0_4v.num_named_barrier, max(0, .L_ZN12_GLOBAL__N_17runRingI12rccl_bfloat810FuncMinMaxIS1_E11ProtoSimpleILi1ELi1ELi0ELi4ELi0ELi0EELi0ELi4ELi0EEEviiP15ncclDevWorkColl.num_named_barrier)
	.set .L_Z50ncclDevFunc_Reduce_RING_SIMPLE_MinMax_f8e5m2_0_0_4v.private_seg_size, 32+max(.L_ZN12_GLOBAL__N_17runRingI12rccl_bfloat810FuncMinMaxIS1_E11ProtoSimpleILi1ELi1ELi0ELi4ELi0ELi0EELi0ELi4ELi0EEEviiP15ncclDevWorkColl.private_seg_size)
	.set .L_Z50ncclDevFunc_Reduce_RING_SIMPLE_MinMax_f8e5m2_0_0_4v.uses_vcc, or(1, .L_ZN12_GLOBAL__N_17runRingI12rccl_bfloat810FuncMinMaxIS1_E11ProtoSimpleILi1ELi1ELi0ELi4ELi0ELi0EELi0ELi4ELi0EEEviiP15ncclDevWorkColl.uses_vcc)
	.set .L_Z50ncclDevFunc_Reduce_RING_SIMPLE_MinMax_f8e5m2_0_0_4v.uses_flat_scratch, or(0, .L_ZN12_GLOBAL__N_17runRingI12rccl_bfloat810FuncMinMaxIS1_E11ProtoSimpleILi1ELi1ELi0ELi4ELi0ELi0EELi0ELi4ELi0EEEviiP15ncclDevWorkColl.uses_flat_scratch)
	.set .L_Z50ncclDevFunc_Reduce_RING_SIMPLE_MinMax_f8e5m2_0_0_4v.has_dyn_sized_stack, or(0, .L_ZN12_GLOBAL__N_17runRingI12rccl_bfloat810FuncMinMaxIS1_E11ProtoSimpleILi1ELi1ELi0ELi4ELi0ELi0EELi0ELi4ELi0EEEviiP15ncclDevWorkColl.has_dyn_sized_stack)
	.set .L_Z50ncclDevFunc_Reduce_RING_SIMPLE_MinMax_f8e5m2_0_0_4v.has_recursion, or(1, .L_ZN12_GLOBAL__N_17runRingI12rccl_bfloat810FuncMinMaxIS1_E11ProtoSimpleILi1ELi1ELi0ELi4ELi0ELi0EELi0ELi4ELi0EEEviiP15ncclDevWorkColl.has_recursion)
	.set .L_Z50ncclDevFunc_Reduce_RING_SIMPLE_MinMax_f8e5m2_0_0_4v.has_indirect_call, or(0, .L_ZN12_GLOBAL__N_17runRingI12rccl_bfloat810FuncMinMaxIS1_E11ProtoSimpleILi1ELi1ELi0ELi4ELi0ELi0EELi0ELi4ELi0EEEviiP15ncclDevWorkColl.has_indirect_call)
	.section	.AMDGPU.csdata,"",@progbits
; Function info:
; codeLenInByte = 744
; TotalNumSgprs: 64
; NumVgprs: 128
; ScratchSize: 304
; MemoryBound: 0
	.text
	.p2alignl 6, 3214868480
	.fill 48, 4, 3214868480
	.section	.AMDGPU.gpr_maximums,"",@progbits
	.set amdgpu.max_num_vgpr, 128
	.set amdgpu.max_num_agpr, 0
	.set amdgpu.max_num_sgpr, 62
	.text
	.type	__const.__assert_fail.fmt,@object ; @__const.__assert_fail.fmt
	.section	.rodata.str1.16,"aMS",@progbits,1
	.p2align	4, 0x0
__const.__assert_fail.fmt:
	.asciz	"%s:%u: %s: Device-side assertion `%s' failed.\n"
	.size	__const.__assert_fail.fmt, 47

	.type	.str.3,@object                  ; @.str.3
	.section	.rodata.str1.1,"aMS",@progbits,1
.str.3:
	.asciz	"2*(nrecv+nsend) <= nthreads"
	.size	.str.3, 28

	.type	.str.4,@object                  ; @.str.4
.str.4:
	.asciz	"/root/src/amdgpu-assembly/repos/ROCm__rccl/hipify/src/device/prims_simple.h"
	.size	.str.4, 76

	.type	__PRETTY_FUNCTION__._ZN10PrimitivesI12rccl_bfloat810FuncMinMaxIS0_E12FanSymmetricILi1EELi0E11ProtoSimpleILi1ELi1ELi0ELi1ELi0ELi0EELi0ELb0ELi0ELi0ELi0EEC2EiiPKiS9_PKvPvmhhhP15ncclDevWorkCollP14ncclDevWorkP2pii,@object ; @__PRETTY_FUNCTION__._ZN10PrimitivesI12rccl_bfloat810FuncMinMaxIS0_E12FanSymmetricILi1EELi0E11ProtoSimpleILi1ELi1ELi0ELi1ELi0ELi0EELi0ELb0ELi0ELi0ELi0EEC2EiiPKiS9_PKvPvmhhhP15ncclDevWorkCollP14ncclDevWorkP2pii
__PRETTY_FUNCTION__._ZN10PrimitivesI12rccl_bfloat810FuncMinMaxIS0_E12FanSymmetricILi1EELi0E11ProtoSimpleILi1ELi1ELi0ELi1ELi0ELi0EELi0ELb0ELi0ELi0ELi0EEC2EiiPKiS9_PKvPvmhhhP15ncclDevWorkCollP14ncclDevWorkP2pii:
	.asciz	"Primitives<rccl_bfloat8, FuncMinMax<rccl_bfloat8>, FanSymmetric<1>, 0, ProtoSimple<1, 1, 0, 1>, 0>::Primitives(int, int, const int *, const int *, const void *, void *, uint64_t, uint8_t, uint8_t, uint8_t, struct ncclDevWorkColl *, struct ncclDevWorkP2p *, int, int) [T = rccl_bfloat8, RedOp = FuncMinMax<rccl_bfloat8>, Fan = FanSymmetric<1>, Direct = 0, Proto = ProtoSimple<1, 1, 0, 1>, P2p = 0, isNetOffload = false, Metadata = 0, Pipeline = 0, useAcc = 0]"
	.size	__PRETTY_FUNCTION__._ZN10PrimitivesI12rccl_bfloat810FuncMinMaxIS0_E12FanSymmetricILi1EELi0E11ProtoSimpleILi1ELi1ELi0ELi1ELi0ELi0EELi0ELb0ELi0ELi0ELi0EEC2EiiPKiS9_PKvPvmhhhP15ncclDevWorkCollP14ncclDevWorkP2pii, 459

	.type	__PRETTY_FUNCTION__._ZN10PrimitivesI12rccl_bfloat810FuncMinMaxIS0_E12FanSymmetricILi1EELi0E11ProtoSimpleILi1ELi1ELi0ELi2ELi0ELi0EELi0ELb0ELi0ELi0ELi0EEC2EiiPKiS9_PKvPvmhhhP15ncclDevWorkCollP14ncclDevWorkP2pii,@object ; @__PRETTY_FUNCTION__._ZN10PrimitivesI12rccl_bfloat810FuncMinMaxIS0_E12FanSymmetricILi1EELi0E11ProtoSimpleILi1ELi1ELi0ELi2ELi0ELi0EELi0ELb0ELi0ELi0ELi0EEC2EiiPKiS9_PKvPvmhhhP15ncclDevWorkCollP14ncclDevWorkP2pii
__PRETTY_FUNCTION__._ZN10PrimitivesI12rccl_bfloat810FuncMinMaxIS0_E12FanSymmetricILi1EELi0E11ProtoSimpleILi1ELi1ELi0ELi2ELi0ELi0EELi0ELb0ELi0ELi0ELi0EEC2EiiPKiS9_PKvPvmhhhP15ncclDevWorkCollP14ncclDevWorkP2pii:
	.asciz	"Primitives<rccl_bfloat8, FuncMinMax<rccl_bfloat8>, FanSymmetric<1>, 0, ProtoSimple<1, 1, 0, 2>, 0>::Primitives(int, int, const int *, const int *, const void *, void *, uint64_t, uint8_t, uint8_t, uint8_t, struct ncclDevWorkColl *, struct ncclDevWorkP2p *, int, int) [T = rccl_bfloat8, RedOp = FuncMinMax<rccl_bfloat8>, Fan = FanSymmetric<1>, Direct = 0, Proto = ProtoSimple<1, 1, 0, 2>, P2p = 0, isNetOffload = false, Metadata = 0, Pipeline = 0, useAcc = 0]"
	.size	__PRETTY_FUNCTION__._ZN10PrimitivesI12rccl_bfloat810FuncMinMaxIS0_E12FanSymmetricILi1EELi0E11ProtoSimpleILi1ELi1ELi0ELi2ELi0ELi0EELi0ELb0ELi0ELi0ELi0EEC2EiiPKiS9_PKvPvmhhhP15ncclDevWorkCollP14ncclDevWorkP2pii, 459

	.type	__PRETTY_FUNCTION__._ZN10PrimitivesI12rccl_bfloat810FuncMinMaxIS0_E12FanSymmetricILi1EELi0E11ProtoSimpleILi1ELi1ELi0ELi4ELi0ELi0EELi0ELb0ELi0ELi0ELi0EEC2EiiPKiS9_PKvPvmhhhP15ncclDevWorkCollP14ncclDevWorkP2pii,@object ; @__PRETTY_FUNCTION__._ZN10PrimitivesI12rccl_bfloat810FuncMinMaxIS0_E12FanSymmetricILi1EELi0E11ProtoSimpleILi1ELi1ELi0ELi4ELi0ELi0EELi0ELb0ELi0ELi0ELi0EEC2EiiPKiS9_PKvPvmhhhP15ncclDevWorkCollP14ncclDevWorkP2pii
__PRETTY_FUNCTION__._ZN10PrimitivesI12rccl_bfloat810FuncMinMaxIS0_E12FanSymmetricILi1EELi0E11ProtoSimpleILi1ELi1ELi0ELi4ELi0ELi0EELi0ELb0ELi0ELi0ELi0EEC2EiiPKiS9_PKvPvmhhhP15ncclDevWorkCollP14ncclDevWorkP2pii:
	.asciz	"Primitives<rccl_bfloat8, FuncMinMax<rccl_bfloat8>, FanSymmetric<1>, 0, ProtoSimple<1, 1, 0, 4>, 0>::Primitives(int, int, const int *, const int *, const void *, void *, uint64_t, uint8_t, uint8_t, uint8_t, struct ncclDevWorkColl *, struct ncclDevWorkP2p *, int, int) [T = rccl_bfloat8, RedOp = FuncMinMax<rccl_bfloat8>, Fan = FanSymmetric<1>, Direct = 0, Proto = ProtoSimple<1, 1, 0, 4>, P2p = 0, isNetOffload = false, Metadata = 0, Pipeline = 0, useAcc = 0]"
	.size	__PRETTY_FUNCTION__._ZN10PrimitivesI12rccl_bfloat810FuncMinMaxIS0_E12FanSymmetricILi1EELi0E11ProtoSimpleILi1ELi1ELi0ELi4ELi0ELi0EELi0ELb0ELi0ELi0ELi0EEC2EiiPKiS9_PKvPvmhhhP15ncclDevWorkCollP14ncclDevWorkP2pii, 459

	.type	__hip_cuid_149c96d753d29e9e,@object ; @__hip_cuid_149c96d753d29e9e
	.section	.bss,"aw",@nobits
	.globl	__hip_cuid_149c96d753d29e9e
__hip_cuid_149c96d753d29e9e:
	.byte	0                               ; 0x0
	.size	__hip_cuid_149c96d753d29e9e, 1

	.ident	"AMD clang version 22.0.0git (https://github.com/RadeonOpenCompute/llvm-project roc-7.2.4 26084 f58b06dce1f9c15707c5f808fd002e18c2accf7e)"
	.section	".note.GNU-stack","",@progbits
	.addrsig
	.addrsig_sym _Z50ncclDevFunc_Reduce_RING_SIMPLE_MinMax_f8e5m2_0_0_1v
	.addrsig_sym _Z50ncclDevFunc_Reduce_RING_SIMPLE_MinMax_f8e5m2_0_0_2v
	.addrsig_sym _Z50ncclDevFunc_Reduce_RING_SIMPLE_MinMax_f8e5m2_0_0_4v
	.addrsig_sym ncclShmem
	.addrsig_sym __hip_cuid_149c96d753d29e9e
	.amdgpu_metadata
---
amdhsa.kernels:  []
amdhsa.target:   amdgcn-amd-amdhsa--gfx1030
amdhsa.version:
  - 1
  - 2
...

	.end_amdgpu_metadata
